;; amdgpu-corpus repo=pytorch/pytorch kind=compiled arch=gfx1250 opt=O3
	.amdgcn_target "amdgcn-amd-amdhsa--gfx1250"
	.amdhsa_code_object_version 6
	.section	.text._ZN2at6native29vectorized_elementwise_kernelILi16EZZZNS0_12prelu_kernelERNS_14TensorIteratorEENKUlvE_clEvENKUlvE_clEvEUlddE_St5arrayIPcLm3EEEEviT0_T1_,"axG",@progbits,_ZN2at6native29vectorized_elementwise_kernelILi16EZZZNS0_12prelu_kernelERNS_14TensorIteratorEENKUlvE_clEvENKUlvE_clEvEUlddE_St5arrayIPcLm3EEEEviT0_T1_,comdat
	.globl	_ZN2at6native29vectorized_elementwise_kernelILi16EZZZNS0_12prelu_kernelERNS_14TensorIteratorEENKUlvE_clEvENKUlvE_clEvEUlddE_St5arrayIPcLm3EEEEviT0_T1_ ; -- Begin function _ZN2at6native29vectorized_elementwise_kernelILi16EZZZNS0_12prelu_kernelERNS_14TensorIteratorEENKUlvE_clEvENKUlvE_clEvEUlddE_St5arrayIPcLm3EEEEviT0_T1_
	.p2align	8
	.type	_ZN2at6native29vectorized_elementwise_kernelILi16EZZZNS0_12prelu_kernelERNS_14TensorIteratorEENKUlvE_clEvENKUlvE_clEvEUlddE_St5arrayIPcLm3EEEEviT0_T1_,@function
_ZN2at6native29vectorized_elementwise_kernelILi16EZZZNS0_12prelu_kernelERNS_14TensorIteratorEENKUlvE_clEvENKUlvE_clEvEUlddE_St5arrayIPcLm3EEEEviT0_T1_: ; @_ZN2at6native29vectorized_elementwise_kernelILi16EZZZNS0_12prelu_kernelERNS_14TensorIteratorEENKUlvE_clEvENKUlvE_clEvEUlddE_St5arrayIPcLm3EEEEviT0_T1_
; %bb.0:
	s_clause 0x2
	s_load_b32 s2, s[0:1], 0x0
	s_load_b128 s[4:7], s[0:1], 0x8
	s_load_b64 s[10:11], s[0:1], 0x18
	s_wait_xcnt 0x0
	s_bfe_u32 s0, ttmp6, 0x4000c
	s_and_b32 s1, ttmp6, 15
	s_add_co_i32 s0, s0, 1
	s_getreg_b32 s3, hwreg(HW_REG_IB_STS2, 6, 4)
	s_mul_i32 s0, ttmp9, s0
	s_delay_alu instid0(SALU_CYCLE_1) | instskip(SKIP_2) | instid1(SALU_CYCLE_1)
	s_add_co_i32 s1, s1, s0
	s_cmp_eq_u32 s3, 0
	s_cselect_b32 s0, ttmp9, s1
	s_lshl_b32 s8, s0, 10
	s_mov_b32 s0, -1
	s_wait_kmcnt 0x0
	s_sub_co_i32 s3, s2, s8
	s_delay_alu instid0(SALU_CYCLE_1)
	s_cmp_gt_i32 s3, 0x3ff
	s_cbranch_scc0 .LBB0_2
; %bb.1:
	s_ashr_i32 s9, s8, 31
	v_lshlrev_b32_e32 v1, 5, v0
	s_lshl_b64 s[12:13], s[8:9], 3
	s_delay_alu instid0(SALU_CYCLE_1)
	s_add_nc_u64 s[0:1], s[10:11], s[12:13]
	s_add_nc_u64 s[14:15], s[6:7], s[12:13]
	s_clause 0x3
	global_load_b128 v[2:5], v1, s[0:1]
	global_load_b128 v[6:9], v1, s[14:15]
	global_load_b128 v[10:13], v1, s[14:15] offset:16
	global_load_b128 v[14:17], v1, s[0:1] offset:16
	s_add_nc_u64 s[12:13], s[4:5], s[12:13]
	s_wait_loadcnt 0x2
	v_mul_f64_e32 v[2:3], v[6:7], v[2:3]
	v_cmp_lt_f64_e32 vcc_lo, 0, v[6:7]
	v_mul_f64_e32 v[4:5], v[8:9], v[4:5]
	s_wait_xcnt 0x0
	v_cmp_lt_f64_e64 s0, 0, v[8:9]
	s_wait_loadcnt 0x1
	v_cmp_lt_f64_e64 s1, 0, v[10:11]
	s_wait_loadcnt 0x0
	v_mul_f64_e32 v[16:17], v[12:13], v[16:17]
	v_cmp_lt_f64_e64 s2, 0, v[12:13]
	v_cndmask_b32_e32 v3, v3, v7, vcc_lo
	v_dual_mul_f64 v[14:15], v[10:11], v[14:15] :: v_dual_cndmask_b32 v5, v5, v9, s0
	v_dual_cndmask_b32 v2, v2, v6, vcc_lo :: v_dual_cndmask_b32 v4, v4, v8, s0
	s_delay_alu instid0(VALU_DEP_4) | instskip(SKIP_1) | instid1(VALU_DEP_3)
	v_cndmask_b32_e64 v8, v16, v12, s2
	s_mov_b32 s0, 0
	v_dual_cndmask_b32 v9, v17, v13, s2 :: v_dual_cndmask_b32 v6, v14, v10, s1
	s_delay_alu instid0(VALU_DEP_4)
	v_cndmask_b32_e64 v7, v15, v11, s1
	s_clause 0x1
	global_store_b128 v1, v[2:5], s[12:13]
	global_store_b128 v1, v[6:9], s[12:13] offset:16
.LBB0_2:
	s_and_not1_b32 vcc_lo, exec_lo, s0
	s_cbranch_vccnz .LBB0_15
; %bb.3:
	s_wait_xcnt 0x1
	v_mov_b64_e32 v[2:3], 0
	s_wait_xcnt 0x0
	v_mov_b64_e32 v[6:7], 0
	v_mov_b64_e32 v[8:9], 0
	v_cmp_gt_i32_e32 vcc_lo, s3, v0
	v_dual_mov_b32 v19, v0 :: v_dual_bitop2_b32 v1, s8, v0 bitop3:0x54
	v_or_b32_e32 v18, 0x100, v0
	s_and_saveexec_b32 s0, vcc_lo
	s_cbranch_execz .LBB0_5
; %bb.4:
	s_clause 0x1
	global_load_b64 v[6:7], v1, s[6:7] scale_offset
	global_load_b64 v[8:9], v1, s[10:11] scale_offset
	v_or_b32_e32 v19, 0x100, v0
.LBB0_5:
	s_wait_xcnt 0x0
	s_or_b32 exec_lo, exec_lo, s0
	v_mov_b64_e32 v[12:13], 0
	s_mov_b32 s1, exec_lo
	v_cmpx_gt_i32_e64 s3, v19
	s_cbranch_execz .LBB0_7
; %bb.6:
	v_add_nc_u32_e32 v4, s8, v19
	v_add_nc_u32_e32 v19, 0x100, v19
	s_clause 0x1
	global_load_b64 v[2:3], v4, s[6:7] scale_offset
	global_load_b64 v[12:13], v4, s[10:11] scale_offset
.LBB0_7:
	s_wait_xcnt 0x0
	s_or_b32 exec_lo, exec_lo, s1
	v_mov_b64_e32 v[4:5], 0
	v_mov_b64_e32 v[10:11], 0
	;; [unrolled: 1-line block ×3, first 2 shown]
	s_mov_b32 s1, exec_lo
	v_cmpx_gt_i32_e64 s3, v19
	s_cbranch_execz .LBB0_9
; %bb.8:
	v_add_nc_u32_e32 v16, s8, v19
	v_add_nc_u32_e32 v19, 0x100, v19
	s_clause 0x1
	global_load_b64 v[10:11], v16, s[6:7] scale_offset
	global_load_b64 v[14:15], v16, s[10:11] scale_offset
.LBB0_9:
	s_wait_xcnt 0x0
	s_or_b32 exec_lo, exec_lo, s1
	v_mov_b64_e32 v[16:17], 0
	s_mov_b32 s1, exec_lo
	v_cmpx_gt_i32_e64 s3, v19
	s_cbranch_execnz .LBB0_16
; %bb.10:
	s_or_b32 exec_lo, exec_lo, s1
	s_and_saveexec_b32 s0, vcc_lo
	s_cbranch_execnz .LBB0_17
.LBB0_11:
	s_or_b32 exec_lo, exec_lo, s0
	s_delay_alu instid0(SALU_CYCLE_1)
	s_mov_b32 s0, exec_lo
	v_cmpx_gt_i32_e64 s3, v0
	s_cbranch_execnz .LBB0_18
.LBB0_12:
	s_or_b32 exec_lo, exec_lo, s0
	s_delay_alu instid0(SALU_CYCLE_1)
	s_mov_b32 s0, exec_lo
	v_cmpx_gt_i32_e64 s3, v0
	s_cbranch_execnz .LBB0_19
.LBB0_13:
	s_or_b32 exec_lo, exec_lo, s0
	s_delay_alu instid0(SALU_CYCLE_1)
	s_mov_b32 s0, exec_lo
	v_cmpx_gt_i32_e64 s3, v0
	s_cbranch_execz .LBB0_15
.LBB0_14:
	s_wait_loadcnt 0x0
	v_mul_f64_e32 v[2:3], v[4:5], v[16:17]
	v_cmp_lt_f64_e32 vcc_lo, 0, v[4:5]
	s_delay_alu instid0(VALU_DEP_2) | instskip(NEXT) | instid1(VALU_DEP_3)
	v_dual_cndmask_b32 v3, v3, v5 :: v_dual_add_nc_u32 v0, s8, v0
	v_cndmask_b32_e32 v2, v2, v4, vcc_lo
	global_store_b64 v0, v[2:3], s[4:5] scale_offset
.LBB0_15:
	s_endpgm
.LBB0_16:
	v_add_nc_u32_e32 v19, s8, v19
	s_clause 0x1
	global_load_b64 v[4:5], v19, s[6:7] scale_offset
	global_load_b64 v[16:17], v19, s[10:11] scale_offset
	s_wait_xcnt 0x0
	s_or_b32 exec_lo, exec_lo, s1
	s_and_saveexec_b32 s0, vcc_lo
	s_cbranch_execz .LBB0_11
.LBB0_17:
	s_wait_loadcnt 0x0
	v_mul_f64_e32 v[8:9], v[6:7], v[8:9]
	v_cmp_lt_f64_e32 vcc_lo, 0, v[6:7]
	s_delay_alu instid0(VALU_DEP_2) | instskip(NEXT) | instid1(VALU_DEP_3)
	v_dual_mov_b32 v0, v18 :: v_dual_cndmask_b32 v7, v9, v7
	v_cndmask_b32_e32 v6, v8, v6, vcc_lo
	global_store_b64 v1, v[6:7], s[4:5] scale_offset
	s_wait_xcnt 0x0
	s_or_b32 exec_lo, exec_lo, s0
	s_delay_alu instid0(SALU_CYCLE_1)
	s_mov_b32 s0, exec_lo
	v_cmpx_gt_i32_e64 s3, v0
	s_cbranch_execz .LBB0_12
.LBB0_18:
	s_wait_loadcnt 0x0
	v_mul_f64_e32 v[6:7], v[2:3], v[12:13]
	v_cmp_lt_f64_e32 vcc_lo, 0, v[2:3]
	v_add_nc_u32_e32 v1, s8, v0
	s_delay_alu instid0(VALU_DEP_3) | instskip(NEXT) | instid1(VALU_DEP_4)
	v_dual_cndmask_b32 v3, v7, v3 :: v_dual_add_nc_u32 v0, 0x100, v0
	v_cndmask_b32_e32 v2, v6, v2, vcc_lo
	global_store_b64 v1, v[2:3], s[4:5] scale_offset
	s_wait_xcnt 0x0
	s_or_b32 exec_lo, exec_lo, s0
	s_delay_alu instid0(SALU_CYCLE_1)
	s_mov_b32 s0, exec_lo
	v_cmpx_gt_i32_e64 s3, v0
	s_cbranch_execz .LBB0_13
.LBB0_19:
	s_wait_loadcnt 0x0
	v_dual_mul_f64 v[2:3], v[10:11], v[14:15] :: v_dual_add_nc_u32 v1, s8, v0
	v_cmp_lt_f64_e32 vcc_lo, 0, v[10:11]
	s_delay_alu instid0(VALU_DEP_2) | instskip(NEXT) | instid1(VALU_DEP_3)
	v_dual_cndmask_b32 v3, v3, v11 :: v_dual_add_nc_u32 v0, 0x100, v0
	v_cndmask_b32_e32 v2, v2, v10, vcc_lo
	global_store_b64 v1, v[2:3], s[4:5] scale_offset
	s_wait_xcnt 0x0
	s_or_b32 exec_lo, exec_lo, s0
	s_delay_alu instid0(SALU_CYCLE_1)
	s_mov_b32 s0, exec_lo
	v_cmpx_gt_i32_e64 s3, v0
	s_cbranch_execnz .LBB0_14
	s_branch .LBB0_15
	.section	.rodata,"a",@progbits
	.p2align	6, 0x0
	.amdhsa_kernel _ZN2at6native29vectorized_elementwise_kernelILi16EZZZNS0_12prelu_kernelERNS_14TensorIteratorEENKUlvE_clEvENKUlvE_clEvEUlddE_St5arrayIPcLm3EEEEviT0_T1_
		.amdhsa_group_segment_fixed_size 0
		.amdhsa_private_segment_fixed_size 0
		.amdhsa_kernarg_size 32
		.amdhsa_user_sgpr_count 2
		.amdhsa_user_sgpr_dispatch_ptr 0
		.amdhsa_user_sgpr_queue_ptr 0
		.amdhsa_user_sgpr_kernarg_segment_ptr 1
		.amdhsa_user_sgpr_dispatch_id 0
		.amdhsa_user_sgpr_kernarg_preload_length 0
		.amdhsa_user_sgpr_kernarg_preload_offset 0
		.amdhsa_user_sgpr_private_segment_size 0
		.amdhsa_wavefront_size32 1
		.amdhsa_uses_dynamic_stack 0
		.amdhsa_enable_private_segment 0
		.amdhsa_system_sgpr_workgroup_id_x 1
		.amdhsa_system_sgpr_workgroup_id_y 0
		.amdhsa_system_sgpr_workgroup_id_z 0
		.amdhsa_system_sgpr_workgroup_info 0
		.amdhsa_system_vgpr_workitem_id 0
		.amdhsa_next_free_vgpr 20
		.amdhsa_next_free_sgpr 16
		.amdhsa_named_barrier_count 0
		.amdhsa_reserve_vcc 1
		.amdhsa_float_round_mode_32 0
		.amdhsa_float_round_mode_16_64 0
		.amdhsa_float_denorm_mode_32 3
		.amdhsa_float_denorm_mode_16_64 3
		.amdhsa_fp16_overflow 0
		.amdhsa_memory_ordered 1
		.amdhsa_forward_progress 1
		.amdhsa_inst_pref_size 8
		.amdhsa_round_robin_scheduling 0
		.amdhsa_exception_fp_ieee_invalid_op 0
		.amdhsa_exception_fp_denorm_src 0
		.amdhsa_exception_fp_ieee_div_zero 0
		.amdhsa_exception_fp_ieee_overflow 0
		.amdhsa_exception_fp_ieee_underflow 0
		.amdhsa_exception_fp_ieee_inexact 0
		.amdhsa_exception_int_div_zero 0
	.end_amdhsa_kernel
	.section	.text._ZN2at6native29vectorized_elementwise_kernelILi16EZZZNS0_12prelu_kernelERNS_14TensorIteratorEENKUlvE_clEvENKUlvE_clEvEUlddE_St5arrayIPcLm3EEEEviT0_T1_,"axG",@progbits,_ZN2at6native29vectorized_elementwise_kernelILi16EZZZNS0_12prelu_kernelERNS_14TensorIteratorEENKUlvE_clEvENKUlvE_clEvEUlddE_St5arrayIPcLm3EEEEviT0_T1_,comdat
.Lfunc_end0:
	.size	_ZN2at6native29vectorized_elementwise_kernelILi16EZZZNS0_12prelu_kernelERNS_14TensorIteratorEENKUlvE_clEvENKUlvE_clEvEUlddE_St5arrayIPcLm3EEEEviT0_T1_, .Lfunc_end0-_ZN2at6native29vectorized_elementwise_kernelILi16EZZZNS0_12prelu_kernelERNS_14TensorIteratorEENKUlvE_clEvENKUlvE_clEvEUlddE_St5arrayIPcLm3EEEEviT0_T1_
                                        ; -- End function
	.set _ZN2at6native29vectorized_elementwise_kernelILi16EZZZNS0_12prelu_kernelERNS_14TensorIteratorEENKUlvE_clEvENKUlvE_clEvEUlddE_St5arrayIPcLm3EEEEviT0_T1_.num_vgpr, 20
	.set _ZN2at6native29vectorized_elementwise_kernelILi16EZZZNS0_12prelu_kernelERNS_14TensorIteratorEENKUlvE_clEvENKUlvE_clEvEUlddE_St5arrayIPcLm3EEEEviT0_T1_.num_agpr, 0
	.set _ZN2at6native29vectorized_elementwise_kernelILi16EZZZNS0_12prelu_kernelERNS_14TensorIteratorEENKUlvE_clEvENKUlvE_clEvEUlddE_St5arrayIPcLm3EEEEviT0_T1_.numbered_sgpr, 16
	.set _ZN2at6native29vectorized_elementwise_kernelILi16EZZZNS0_12prelu_kernelERNS_14TensorIteratorEENKUlvE_clEvENKUlvE_clEvEUlddE_St5arrayIPcLm3EEEEviT0_T1_.num_named_barrier, 0
	.set _ZN2at6native29vectorized_elementwise_kernelILi16EZZZNS0_12prelu_kernelERNS_14TensorIteratorEENKUlvE_clEvENKUlvE_clEvEUlddE_St5arrayIPcLm3EEEEviT0_T1_.private_seg_size, 0
	.set _ZN2at6native29vectorized_elementwise_kernelILi16EZZZNS0_12prelu_kernelERNS_14TensorIteratorEENKUlvE_clEvENKUlvE_clEvEUlddE_St5arrayIPcLm3EEEEviT0_T1_.uses_vcc, 1
	.set _ZN2at6native29vectorized_elementwise_kernelILi16EZZZNS0_12prelu_kernelERNS_14TensorIteratorEENKUlvE_clEvENKUlvE_clEvEUlddE_St5arrayIPcLm3EEEEviT0_T1_.uses_flat_scratch, 0
	.set _ZN2at6native29vectorized_elementwise_kernelILi16EZZZNS0_12prelu_kernelERNS_14TensorIteratorEENKUlvE_clEvENKUlvE_clEvEUlddE_St5arrayIPcLm3EEEEviT0_T1_.has_dyn_sized_stack, 0
	.set _ZN2at6native29vectorized_elementwise_kernelILi16EZZZNS0_12prelu_kernelERNS_14TensorIteratorEENKUlvE_clEvENKUlvE_clEvEUlddE_St5arrayIPcLm3EEEEviT0_T1_.has_recursion, 0
	.set _ZN2at6native29vectorized_elementwise_kernelILi16EZZZNS0_12prelu_kernelERNS_14TensorIteratorEENKUlvE_clEvENKUlvE_clEvEUlddE_St5arrayIPcLm3EEEEviT0_T1_.has_indirect_call, 0
	.section	.AMDGPU.csdata,"",@progbits
; Kernel info:
; codeLenInByte = 1008
; TotalNumSgprs: 18
; NumVgprs: 20
; ScratchSize: 0
; MemoryBound: 0
; FloatMode: 240
; IeeeMode: 1
; LDSByteSize: 0 bytes/workgroup (compile time only)
; SGPRBlocks: 0
; VGPRBlocks: 1
; NumSGPRsForWavesPerEU: 18
; NumVGPRsForWavesPerEU: 20
; NamedBarCnt: 0
; Occupancy: 16
; WaveLimiterHint : 0
; COMPUTE_PGM_RSRC2:SCRATCH_EN: 0
; COMPUTE_PGM_RSRC2:USER_SGPR: 2
; COMPUTE_PGM_RSRC2:TRAP_HANDLER: 0
; COMPUTE_PGM_RSRC2:TGID_X_EN: 1
; COMPUTE_PGM_RSRC2:TGID_Y_EN: 0
; COMPUTE_PGM_RSRC2:TGID_Z_EN: 0
; COMPUTE_PGM_RSRC2:TIDIG_COMP_CNT: 0
	.section	.text._ZN2at6native29vectorized_elementwise_kernelILi8EZZZNS0_12prelu_kernelERNS_14TensorIteratorEENKUlvE_clEvENKUlvE_clEvEUlddE_St5arrayIPcLm3EEEEviT0_T1_,"axG",@progbits,_ZN2at6native29vectorized_elementwise_kernelILi8EZZZNS0_12prelu_kernelERNS_14TensorIteratorEENKUlvE_clEvENKUlvE_clEvEUlddE_St5arrayIPcLm3EEEEviT0_T1_,comdat
	.globl	_ZN2at6native29vectorized_elementwise_kernelILi8EZZZNS0_12prelu_kernelERNS_14TensorIteratorEENKUlvE_clEvENKUlvE_clEvEUlddE_St5arrayIPcLm3EEEEviT0_T1_ ; -- Begin function _ZN2at6native29vectorized_elementwise_kernelILi8EZZZNS0_12prelu_kernelERNS_14TensorIteratorEENKUlvE_clEvENKUlvE_clEvEUlddE_St5arrayIPcLm3EEEEviT0_T1_
	.p2align	8
	.type	_ZN2at6native29vectorized_elementwise_kernelILi8EZZZNS0_12prelu_kernelERNS_14TensorIteratorEENKUlvE_clEvENKUlvE_clEvEUlddE_St5arrayIPcLm3EEEEviT0_T1_,@function
_ZN2at6native29vectorized_elementwise_kernelILi8EZZZNS0_12prelu_kernelERNS_14TensorIteratorEENKUlvE_clEvENKUlvE_clEvEUlddE_St5arrayIPcLm3EEEEviT0_T1_: ; @_ZN2at6native29vectorized_elementwise_kernelILi8EZZZNS0_12prelu_kernelERNS_14TensorIteratorEENKUlvE_clEvENKUlvE_clEvEUlddE_St5arrayIPcLm3EEEEviT0_T1_
; %bb.0:
	s_clause 0x2
	s_load_b32 s2, s[0:1], 0x0
	s_load_b128 s[4:7], s[0:1], 0x8
	s_load_b64 s[10:11], s[0:1], 0x18
	s_wait_xcnt 0x0
	s_bfe_u32 s0, ttmp6, 0x4000c
	s_and_b32 s1, ttmp6, 15
	s_add_co_i32 s0, s0, 1
	s_getreg_b32 s3, hwreg(HW_REG_IB_STS2, 6, 4)
	s_mul_i32 s0, ttmp9, s0
	s_delay_alu instid0(SALU_CYCLE_1) | instskip(SKIP_2) | instid1(SALU_CYCLE_1)
	s_add_co_i32 s1, s1, s0
	s_cmp_eq_u32 s3, 0
	s_cselect_b32 s0, ttmp9, s1
	s_lshl_b32 s8, s0, 10
	s_mov_b32 s0, -1
	s_wait_kmcnt 0x0
	s_sub_co_i32 s3, s2, s8
	s_delay_alu instid0(SALU_CYCLE_1)
	s_cmp_gt_i32 s3, 0x3ff
	s_cbranch_scc0 .LBB1_2
; %bb.1:
	s_ashr_i32 s9, s8, 31
	v_lshlrev_b32_e32 v1, 5, v0
	s_lshl_b64 s[12:13], s[8:9], 3
	s_delay_alu instid0(SALU_CYCLE_1)
	s_add_nc_u64 s[0:1], s[10:11], s[12:13]
	s_add_nc_u64 s[14:15], s[6:7], s[12:13]
	s_clause 0x3
	global_load_b128 v[2:5], v1, s[0:1]
	global_load_b128 v[6:9], v1, s[14:15]
	global_load_b128 v[10:13], v1, s[14:15] offset:16
	global_load_b128 v[14:17], v1, s[0:1] offset:16
	s_add_nc_u64 s[12:13], s[4:5], s[12:13]
	s_wait_loadcnt 0x2
	v_mul_f64_e32 v[2:3], v[6:7], v[2:3]
	v_cmp_lt_f64_e32 vcc_lo, 0, v[6:7]
	v_mul_f64_e32 v[4:5], v[8:9], v[4:5]
	s_wait_xcnt 0x0
	v_cmp_lt_f64_e64 s0, 0, v[8:9]
	s_wait_loadcnt 0x1
	v_cmp_lt_f64_e64 s1, 0, v[10:11]
	s_wait_loadcnt 0x0
	v_mul_f64_e32 v[16:17], v[12:13], v[16:17]
	v_cmp_lt_f64_e64 s2, 0, v[12:13]
	v_cndmask_b32_e32 v3, v3, v7, vcc_lo
	v_dual_mul_f64 v[14:15], v[10:11], v[14:15] :: v_dual_cndmask_b32 v5, v5, v9, s0
	v_dual_cndmask_b32 v2, v2, v6, vcc_lo :: v_dual_cndmask_b32 v4, v4, v8, s0
	s_delay_alu instid0(VALU_DEP_4) | instskip(SKIP_1) | instid1(VALU_DEP_3)
	v_cndmask_b32_e64 v8, v16, v12, s2
	s_mov_b32 s0, 0
	v_dual_cndmask_b32 v9, v17, v13, s2 :: v_dual_cndmask_b32 v6, v14, v10, s1
	s_delay_alu instid0(VALU_DEP_4)
	v_cndmask_b32_e64 v7, v15, v11, s1
	s_clause 0x1
	global_store_b128 v1, v[2:5], s[12:13]
	global_store_b128 v1, v[6:9], s[12:13] offset:16
.LBB1_2:
	s_and_not1_b32 vcc_lo, exec_lo, s0
	s_cbranch_vccnz .LBB1_15
; %bb.3:
	s_wait_xcnt 0x1
	v_mov_b64_e32 v[2:3], 0
	s_wait_xcnt 0x0
	v_mov_b64_e32 v[6:7], 0
	v_mov_b64_e32 v[8:9], 0
	v_cmp_gt_i32_e32 vcc_lo, s3, v0
	v_dual_mov_b32 v19, v0 :: v_dual_bitop2_b32 v1, s8, v0 bitop3:0x54
	v_or_b32_e32 v18, 0x100, v0
	s_and_saveexec_b32 s0, vcc_lo
	s_cbranch_execz .LBB1_5
; %bb.4:
	s_clause 0x1
	global_load_b64 v[6:7], v1, s[6:7] scale_offset
	global_load_b64 v[8:9], v1, s[10:11] scale_offset
	v_or_b32_e32 v19, 0x100, v0
.LBB1_5:
	s_wait_xcnt 0x0
	s_or_b32 exec_lo, exec_lo, s0
	v_mov_b64_e32 v[12:13], 0
	s_mov_b32 s1, exec_lo
	v_cmpx_gt_i32_e64 s3, v19
	s_cbranch_execz .LBB1_7
; %bb.6:
	v_add_nc_u32_e32 v4, s8, v19
	v_add_nc_u32_e32 v19, 0x100, v19
	s_clause 0x1
	global_load_b64 v[2:3], v4, s[6:7] scale_offset
	global_load_b64 v[12:13], v4, s[10:11] scale_offset
.LBB1_7:
	s_wait_xcnt 0x0
	s_or_b32 exec_lo, exec_lo, s1
	v_mov_b64_e32 v[4:5], 0
	v_mov_b64_e32 v[10:11], 0
	;; [unrolled: 1-line block ×3, first 2 shown]
	s_mov_b32 s1, exec_lo
	v_cmpx_gt_i32_e64 s3, v19
	s_cbranch_execz .LBB1_9
; %bb.8:
	v_add_nc_u32_e32 v16, s8, v19
	v_add_nc_u32_e32 v19, 0x100, v19
	s_clause 0x1
	global_load_b64 v[10:11], v16, s[6:7] scale_offset
	global_load_b64 v[14:15], v16, s[10:11] scale_offset
.LBB1_9:
	s_wait_xcnt 0x0
	s_or_b32 exec_lo, exec_lo, s1
	v_mov_b64_e32 v[16:17], 0
	s_mov_b32 s1, exec_lo
	v_cmpx_gt_i32_e64 s3, v19
	s_cbranch_execnz .LBB1_16
; %bb.10:
	s_or_b32 exec_lo, exec_lo, s1
	s_and_saveexec_b32 s0, vcc_lo
	s_cbranch_execnz .LBB1_17
.LBB1_11:
	s_or_b32 exec_lo, exec_lo, s0
	s_delay_alu instid0(SALU_CYCLE_1)
	s_mov_b32 s0, exec_lo
	v_cmpx_gt_i32_e64 s3, v0
	s_cbranch_execnz .LBB1_18
.LBB1_12:
	s_or_b32 exec_lo, exec_lo, s0
	s_delay_alu instid0(SALU_CYCLE_1)
	s_mov_b32 s0, exec_lo
	v_cmpx_gt_i32_e64 s3, v0
	s_cbranch_execnz .LBB1_19
.LBB1_13:
	s_or_b32 exec_lo, exec_lo, s0
	s_delay_alu instid0(SALU_CYCLE_1)
	s_mov_b32 s0, exec_lo
	v_cmpx_gt_i32_e64 s3, v0
	s_cbranch_execz .LBB1_15
.LBB1_14:
	s_wait_loadcnt 0x0
	v_mul_f64_e32 v[2:3], v[4:5], v[16:17]
	v_cmp_lt_f64_e32 vcc_lo, 0, v[4:5]
	s_delay_alu instid0(VALU_DEP_2) | instskip(NEXT) | instid1(VALU_DEP_3)
	v_dual_cndmask_b32 v3, v3, v5 :: v_dual_add_nc_u32 v0, s8, v0
	v_cndmask_b32_e32 v2, v2, v4, vcc_lo
	global_store_b64 v0, v[2:3], s[4:5] scale_offset
.LBB1_15:
	s_endpgm
.LBB1_16:
	v_add_nc_u32_e32 v19, s8, v19
	s_clause 0x1
	global_load_b64 v[4:5], v19, s[6:7] scale_offset
	global_load_b64 v[16:17], v19, s[10:11] scale_offset
	s_wait_xcnt 0x0
	s_or_b32 exec_lo, exec_lo, s1
	s_and_saveexec_b32 s0, vcc_lo
	s_cbranch_execz .LBB1_11
.LBB1_17:
	s_wait_loadcnt 0x0
	v_mul_f64_e32 v[8:9], v[6:7], v[8:9]
	v_cmp_lt_f64_e32 vcc_lo, 0, v[6:7]
	s_delay_alu instid0(VALU_DEP_2) | instskip(NEXT) | instid1(VALU_DEP_3)
	v_dual_mov_b32 v0, v18 :: v_dual_cndmask_b32 v7, v9, v7
	v_cndmask_b32_e32 v6, v8, v6, vcc_lo
	global_store_b64 v1, v[6:7], s[4:5] scale_offset
	s_wait_xcnt 0x0
	s_or_b32 exec_lo, exec_lo, s0
	s_delay_alu instid0(SALU_CYCLE_1)
	s_mov_b32 s0, exec_lo
	v_cmpx_gt_i32_e64 s3, v0
	s_cbranch_execz .LBB1_12
.LBB1_18:
	s_wait_loadcnt 0x0
	v_mul_f64_e32 v[6:7], v[2:3], v[12:13]
	v_cmp_lt_f64_e32 vcc_lo, 0, v[2:3]
	v_add_nc_u32_e32 v1, s8, v0
	s_delay_alu instid0(VALU_DEP_3) | instskip(NEXT) | instid1(VALU_DEP_4)
	v_dual_cndmask_b32 v3, v7, v3 :: v_dual_add_nc_u32 v0, 0x100, v0
	v_cndmask_b32_e32 v2, v6, v2, vcc_lo
	global_store_b64 v1, v[2:3], s[4:5] scale_offset
	s_wait_xcnt 0x0
	s_or_b32 exec_lo, exec_lo, s0
	s_delay_alu instid0(SALU_CYCLE_1)
	s_mov_b32 s0, exec_lo
	v_cmpx_gt_i32_e64 s3, v0
	s_cbranch_execz .LBB1_13
.LBB1_19:
	s_wait_loadcnt 0x0
	v_dual_mul_f64 v[2:3], v[10:11], v[14:15] :: v_dual_add_nc_u32 v1, s8, v0
	v_cmp_lt_f64_e32 vcc_lo, 0, v[10:11]
	s_delay_alu instid0(VALU_DEP_2) | instskip(NEXT) | instid1(VALU_DEP_3)
	v_dual_cndmask_b32 v3, v3, v11 :: v_dual_add_nc_u32 v0, 0x100, v0
	v_cndmask_b32_e32 v2, v2, v10, vcc_lo
	global_store_b64 v1, v[2:3], s[4:5] scale_offset
	s_wait_xcnt 0x0
	s_or_b32 exec_lo, exec_lo, s0
	s_delay_alu instid0(SALU_CYCLE_1)
	s_mov_b32 s0, exec_lo
	v_cmpx_gt_i32_e64 s3, v0
	s_cbranch_execnz .LBB1_14
	s_branch .LBB1_15
	.section	.rodata,"a",@progbits
	.p2align	6, 0x0
	.amdhsa_kernel _ZN2at6native29vectorized_elementwise_kernelILi8EZZZNS0_12prelu_kernelERNS_14TensorIteratorEENKUlvE_clEvENKUlvE_clEvEUlddE_St5arrayIPcLm3EEEEviT0_T1_
		.amdhsa_group_segment_fixed_size 0
		.amdhsa_private_segment_fixed_size 0
		.amdhsa_kernarg_size 32
		.amdhsa_user_sgpr_count 2
		.amdhsa_user_sgpr_dispatch_ptr 0
		.amdhsa_user_sgpr_queue_ptr 0
		.amdhsa_user_sgpr_kernarg_segment_ptr 1
		.amdhsa_user_sgpr_dispatch_id 0
		.amdhsa_user_sgpr_kernarg_preload_length 0
		.amdhsa_user_sgpr_kernarg_preload_offset 0
		.amdhsa_user_sgpr_private_segment_size 0
		.amdhsa_wavefront_size32 1
		.amdhsa_uses_dynamic_stack 0
		.amdhsa_enable_private_segment 0
		.amdhsa_system_sgpr_workgroup_id_x 1
		.amdhsa_system_sgpr_workgroup_id_y 0
		.amdhsa_system_sgpr_workgroup_id_z 0
		.amdhsa_system_sgpr_workgroup_info 0
		.amdhsa_system_vgpr_workitem_id 0
		.amdhsa_next_free_vgpr 20
		.amdhsa_next_free_sgpr 16
		.amdhsa_named_barrier_count 0
		.amdhsa_reserve_vcc 1
		.amdhsa_float_round_mode_32 0
		.amdhsa_float_round_mode_16_64 0
		.amdhsa_float_denorm_mode_32 3
		.amdhsa_float_denorm_mode_16_64 3
		.amdhsa_fp16_overflow 0
		.amdhsa_memory_ordered 1
		.amdhsa_forward_progress 1
		.amdhsa_inst_pref_size 8
		.amdhsa_round_robin_scheduling 0
		.amdhsa_exception_fp_ieee_invalid_op 0
		.amdhsa_exception_fp_denorm_src 0
		.amdhsa_exception_fp_ieee_div_zero 0
		.amdhsa_exception_fp_ieee_overflow 0
		.amdhsa_exception_fp_ieee_underflow 0
		.amdhsa_exception_fp_ieee_inexact 0
		.amdhsa_exception_int_div_zero 0
	.end_amdhsa_kernel
	.section	.text._ZN2at6native29vectorized_elementwise_kernelILi8EZZZNS0_12prelu_kernelERNS_14TensorIteratorEENKUlvE_clEvENKUlvE_clEvEUlddE_St5arrayIPcLm3EEEEviT0_T1_,"axG",@progbits,_ZN2at6native29vectorized_elementwise_kernelILi8EZZZNS0_12prelu_kernelERNS_14TensorIteratorEENKUlvE_clEvENKUlvE_clEvEUlddE_St5arrayIPcLm3EEEEviT0_T1_,comdat
.Lfunc_end1:
	.size	_ZN2at6native29vectorized_elementwise_kernelILi8EZZZNS0_12prelu_kernelERNS_14TensorIteratorEENKUlvE_clEvENKUlvE_clEvEUlddE_St5arrayIPcLm3EEEEviT0_T1_, .Lfunc_end1-_ZN2at6native29vectorized_elementwise_kernelILi8EZZZNS0_12prelu_kernelERNS_14TensorIteratorEENKUlvE_clEvENKUlvE_clEvEUlddE_St5arrayIPcLm3EEEEviT0_T1_
                                        ; -- End function
	.set _ZN2at6native29vectorized_elementwise_kernelILi8EZZZNS0_12prelu_kernelERNS_14TensorIteratorEENKUlvE_clEvENKUlvE_clEvEUlddE_St5arrayIPcLm3EEEEviT0_T1_.num_vgpr, 20
	.set _ZN2at6native29vectorized_elementwise_kernelILi8EZZZNS0_12prelu_kernelERNS_14TensorIteratorEENKUlvE_clEvENKUlvE_clEvEUlddE_St5arrayIPcLm3EEEEviT0_T1_.num_agpr, 0
	.set _ZN2at6native29vectorized_elementwise_kernelILi8EZZZNS0_12prelu_kernelERNS_14TensorIteratorEENKUlvE_clEvENKUlvE_clEvEUlddE_St5arrayIPcLm3EEEEviT0_T1_.numbered_sgpr, 16
	.set _ZN2at6native29vectorized_elementwise_kernelILi8EZZZNS0_12prelu_kernelERNS_14TensorIteratorEENKUlvE_clEvENKUlvE_clEvEUlddE_St5arrayIPcLm3EEEEviT0_T1_.num_named_barrier, 0
	.set _ZN2at6native29vectorized_elementwise_kernelILi8EZZZNS0_12prelu_kernelERNS_14TensorIteratorEENKUlvE_clEvENKUlvE_clEvEUlddE_St5arrayIPcLm3EEEEviT0_T1_.private_seg_size, 0
	.set _ZN2at6native29vectorized_elementwise_kernelILi8EZZZNS0_12prelu_kernelERNS_14TensorIteratorEENKUlvE_clEvENKUlvE_clEvEUlddE_St5arrayIPcLm3EEEEviT0_T1_.uses_vcc, 1
	.set _ZN2at6native29vectorized_elementwise_kernelILi8EZZZNS0_12prelu_kernelERNS_14TensorIteratorEENKUlvE_clEvENKUlvE_clEvEUlddE_St5arrayIPcLm3EEEEviT0_T1_.uses_flat_scratch, 0
	.set _ZN2at6native29vectorized_elementwise_kernelILi8EZZZNS0_12prelu_kernelERNS_14TensorIteratorEENKUlvE_clEvENKUlvE_clEvEUlddE_St5arrayIPcLm3EEEEviT0_T1_.has_dyn_sized_stack, 0
	.set _ZN2at6native29vectorized_elementwise_kernelILi8EZZZNS0_12prelu_kernelERNS_14TensorIteratorEENKUlvE_clEvENKUlvE_clEvEUlddE_St5arrayIPcLm3EEEEviT0_T1_.has_recursion, 0
	.set _ZN2at6native29vectorized_elementwise_kernelILi8EZZZNS0_12prelu_kernelERNS_14TensorIteratorEENKUlvE_clEvENKUlvE_clEvEUlddE_St5arrayIPcLm3EEEEviT0_T1_.has_indirect_call, 0
	.section	.AMDGPU.csdata,"",@progbits
; Kernel info:
; codeLenInByte = 1008
; TotalNumSgprs: 18
; NumVgprs: 20
; ScratchSize: 0
; MemoryBound: 0
; FloatMode: 240
; IeeeMode: 1
; LDSByteSize: 0 bytes/workgroup (compile time only)
; SGPRBlocks: 0
; VGPRBlocks: 1
; NumSGPRsForWavesPerEU: 18
; NumVGPRsForWavesPerEU: 20
; NamedBarCnt: 0
; Occupancy: 16
; WaveLimiterHint : 0
; COMPUTE_PGM_RSRC2:SCRATCH_EN: 0
; COMPUTE_PGM_RSRC2:USER_SGPR: 2
; COMPUTE_PGM_RSRC2:TRAP_HANDLER: 0
; COMPUTE_PGM_RSRC2:TGID_X_EN: 1
; COMPUTE_PGM_RSRC2:TGID_Y_EN: 0
; COMPUTE_PGM_RSRC2:TGID_Z_EN: 0
; COMPUTE_PGM_RSRC2:TIDIG_COMP_CNT: 0
	.section	.text._ZN2at6native29vectorized_elementwise_kernelILi4EZZZNS0_12prelu_kernelERNS_14TensorIteratorEENKUlvE_clEvENKUlvE_clEvEUlddE_St5arrayIPcLm3EEEEviT0_T1_,"axG",@progbits,_ZN2at6native29vectorized_elementwise_kernelILi4EZZZNS0_12prelu_kernelERNS_14TensorIteratorEENKUlvE_clEvENKUlvE_clEvEUlddE_St5arrayIPcLm3EEEEviT0_T1_,comdat
	.globl	_ZN2at6native29vectorized_elementwise_kernelILi4EZZZNS0_12prelu_kernelERNS_14TensorIteratorEENKUlvE_clEvENKUlvE_clEvEUlddE_St5arrayIPcLm3EEEEviT0_T1_ ; -- Begin function _ZN2at6native29vectorized_elementwise_kernelILi4EZZZNS0_12prelu_kernelERNS_14TensorIteratorEENKUlvE_clEvENKUlvE_clEvEUlddE_St5arrayIPcLm3EEEEviT0_T1_
	.p2align	8
	.type	_ZN2at6native29vectorized_elementwise_kernelILi4EZZZNS0_12prelu_kernelERNS_14TensorIteratorEENKUlvE_clEvENKUlvE_clEvEUlddE_St5arrayIPcLm3EEEEviT0_T1_,@function
_ZN2at6native29vectorized_elementwise_kernelILi4EZZZNS0_12prelu_kernelERNS_14TensorIteratorEENKUlvE_clEvENKUlvE_clEvEUlddE_St5arrayIPcLm3EEEEviT0_T1_: ; @_ZN2at6native29vectorized_elementwise_kernelILi4EZZZNS0_12prelu_kernelERNS_14TensorIteratorEENKUlvE_clEvENKUlvE_clEvEUlddE_St5arrayIPcLm3EEEEviT0_T1_
; %bb.0:
	s_clause 0x2
	s_load_b32 s2, s[0:1], 0x0
	s_load_b128 s[4:7], s[0:1], 0x8
	s_load_b64 s[10:11], s[0:1], 0x18
	s_wait_xcnt 0x0
	s_bfe_u32 s0, ttmp6, 0x4000c
	s_and_b32 s1, ttmp6, 15
	s_add_co_i32 s0, s0, 1
	s_getreg_b32 s3, hwreg(HW_REG_IB_STS2, 6, 4)
	s_mul_i32 s0, ttmp9, s0
	s_delay_alu instid0(SALU_CYCLE_1) | instskip(SKIP_2) | instid1(SALU_CYCLE_1)
	s_add_co_i32 s1, s1, s0
	s_cmp_eq_u32 s3, 0
	s_cselect_b32 s0, ttmp9, s1
	s_lshl_b32 s8, s0, 10
	s_mov_b32 s0, -1
	s_wait_kmcnt 0x0
	s_sub_co_i32 s3, s2, s8
	s_delay_alu instid0(SALU_CYCLE_1)
	s_cmp_gt_i32 s3, 0x3ff
	s_cbranch_scc0 .LBB2_2
; %bb.1:
	s_ashr_i32 s9, s8, 31
	v_lshlrev_b32_e32 v1, 5, v0
	s_lshl_b64 s[12:13], s[8:9], 3
	s_delay_alu instid0(SALU_CYCLE_1)
	s_add_nc_u64 s[0:1], s[10:11], s[12:13]
	s_add_nc_u64 s[14:15], s[6:7], s[12:13]
	s_clause 0x3
	global_load_b128 v[2:5], v1, s[0:1]
	global_load_b128 v[6:9], v1, s[14:15]
	global_load_b128 v[10:13], v1, s[14:15] offset:16
	global_load_b128 v[14:17], v1, s[0:1] offset:16
	s_add_nc_u64 s[12:13], s[4:5], s[12:13]
	s_wait_loadcnt 0x2
	v_mul_f64_e32 v[2:3], v[6:7], v[2:3]
	v_cmp_lt_f64_e32 vcc_lo, 0, v[6:7]
	v_mul_f64_e32 v[4:5], v[8:9], v[4:5]
	s_wait_xcnt 0x0
	v_cmp_lt_f64_e64 s0, 0, v[8:9]
	s_wait_loadcnt 0x1
	v_cmp_lt_f64_e64 s1, 0, v[10:11]
	s_wait_loadcnt 0x0
	v_mul_f64_e32 v[16:17], v[12:13], v[16:17]
	v_cmp_lt_f64_e64 s2, 0, v[12:13]
	v_cndmask_b32_e32 v3, v3, v7, vcc_lo
	v_dual_mul_f64 v[14:15], v[10:11], v[14:15] :: v_dual_cndmask_b32 v5, v5, v9, s0
	v_dual_cndmask_b32 v2, v2, v6, vcc_lo :: v_dual_cndmask_b32 v4, v4, v8, s0
	s_delay_alu instid0(VALU_DEP_4) | instskip(SKIP_1) | instid1(VALU_DEP_3)
	v_cndmask_b32_e64 v8, v16, v12, s2
	s_mov_b32 s0, 0
	v_dual_cndmask_b32 v9, v17, v13, s2 :: v_dual_cndmask_b32 v6, v14, v10, s1
	s_delay_alu instid0(VALU_DEP_4)
	v_cndmask_b32_e64 v7, v15, v11, s1
	s_clause 0x1
	global_store_b128 v1, v[2:5], s[12:13]
	global_store_b128 v1, v[6:9], s[12:13] offset:16
.LBB2_2:
	s_and_not1_b32 vcc_lo, exec_lo, s0
	s_cbranch_vccnz .LBB2_15
; %bb.3:
	s_wait_xcnt 0x1
	v_mov_b64_e32 v[2:3], 0
	s_wait_xcnt 0x0
	v_mov_b64_e32 v[6:7], 0
	v_mov_b64_e32 v[8:9], 0
	v_cmp_gt_i32_e32 vcc_lo, s3, v0
	v_dual_mov_b32 v19, v0 :: v_dual_bitop2_b32 v1, s8, v0 bitop3:0x54
	v_or_b32_e32 v18, 0x100, v0
	s_and_saveexec_b32 s0, vcc_lo
	s_cbranch_execz .LBB2_5
; %bb.4:
	s_clause 0x1
	global_load_b64 v[6:7], v1, s[6:7] scale_offset
	global_load_b64 v[8:9], v1, s[10:11] scale_offset
	v_or_b32_e32 v19, 0x100, v0
.LBB2_5:
	s_wait_xcnt 0x0
	s_or_b32 exec_lo, exec_lo, s0
	v_mov_b64_e32 v[12:13], 0
	s_mov_b32 s1, exec_lo
	v_cmpx_gt_i32_e64 s3, v19
	s_cbranch_execz .LBB2_7
; %bb.6:
	v_add_nc_u32_e32 v4, s8, v19
	v_add_nc_u32_e32 v19, 0x100, v19
	s_clause 0x1
	global_load_b64 v[2:3], v4, s[6:7] scale_offset
	global_load_b64 v[12:13], v4, s[10:11] scale_offset
.LBB2_7:
	s_wait_xcnt 0x0
	s_or_b32 exec_lo, exec_lo, s1
	v_mov_b64_e32 v[4:5], 0
	v_mov_b64_e32 v[10:11], 0
	;; [unrolled: 1-line block ×3, first 2 shown]
	s_mov_b32 s1, exec_lo
	v_cmpx_gt_i32_e64 s3, v19
	s_cbranch_execz .LBB2_9
; %bb.8:
	v_add_nc_u32_e32 v16, s8, v19
	v_add_nc_u32_e32 v19, 0x100, v19
	s_clause 0x1
	global_load_b64 v[10:11], v16, s[6:7] scale_offset
	global_load_b64 v[14:15], v16, s[10:11] scale_offset
.LBB2_9:
	s_wait_xcnt 0x0
	s_or_b32 exec_lo, exec_lo, s1
	v_mov_b64_e32 v[16:17], 0
	s_mov_b32 s1, exec_lo
	v_cmpx_gt_i32_e64 s3, v19
	s_cbranch_execnz .LBB2_16
; %bb.10:
	s_or_b32 exec_lo, exec_lo, s1
	s_and_saveexec_b32 s0, vcc_lo
	s_cbranch_execnz .LBB2_17
.LBB2_11:
	s_or_b32 exec_lo, exec_lo, s0
	s_delay_alu instid0(SALU_CYCLE_1)
	s_mov_b32 s0, exec_lo
	v_cmpx_gt_i32_e64 s3, v0
	s_cbranch_execnz .LBB2_18
.LBB2_12:
	s_or_b32 exec_lo, exec_lo, s0
	s_delay_alu instid0(SALU_CYCLE_1)
	s_mov_b32 s0, exec_lo
	v_cmpx_gt_i32_e64 s3, v0
	s_cbranch_execnz .LBB2_19
.LBB2_13:
	s_or_b32 exec_lo, exec_lo, s0
	s_delay_alu instid0(SALU_CYCLE_1)
	s_mov_b32 s0, exec_lo
	v_cmpx_gt_i32_e64 s3, v0
	s_cbranch_execz .LBB2_15
.LBB2_14:
	s_wait_loadcnt 0x0
	v_mul_f64_e32 v[2:3], v[4:5], v[16:17]
	v_cmp_lt_f64_e32 vcc_lo, 0, v[4:5]
	s_delay_alu instid0(VALU_DEP_2) | instskip(NEXT) | instid1(VALU_DEP_3)
	v_dual_cndmask_b32 v3, v3, v5 :: v_dual_add_nc_u32 v0, s8, v0
	v_cndmask_b32_e32 v2, v2, v4, vcc_lo
	global_store_b64 v0, v[2:3], s[4:5] scale_offset
.LBB2_15:
	s_endpgm
.LBB2_16:
	v_add_nc_u32_e32 v19, s8, v19
	s_clause 0x1
	global_load_b64 v[4:5], v19, s[6:7] scale_offset
	global_load_b64 v[16:17], v19, s[10:11] scale_offset
	s_wait_xcnt 0x0
	s_or_b32 exec_lo, exec_lo, s1
	s_and_saveexec_b32 s0, vcc_lo
	s_cbranch_execz .LBB2_11
.LBB2_17:
	s_wait_loadcnt 0x0
	v_mul_f64_e32 v[8:9], v[6:7], v[8:9]
	v_cmp_lt_f64_e32 vcc_lo, 0, v[6:7]
	s_delay_alu instid0(VALU_DEP_2) | instskip(NEXT) | instid1(VALU_DEP_3)
	v_dual_mov_b32 v0, v18 :: v_dual_cndmask_b32 v7, v9, v7
	v_cndmask_b32_e32 v6, v8, v6, vcc_lo
	global_store_b64 v1, v[6:7], s[4:5] scale_offset
	s_wait_xcnt 0x0
	s_or_b32 exec_lo, exec_lo, s0
	s_delay_alu instid0(SALU_CYCLE_1)
	s_mov_b32 s0, exec_lo
	v_cmpx_gt_i32_e64 s3, v0
	s_cbranch_execz .LBB2_12
.LBB2_18:
	s_wait_loadcnt 0x0
	v_mul_f64_e32 v[6:7], v[2:3], v[12:13]
	v_cmp_lt_f64_e32 vcc_lo, 0, v[2:3]
	v_add_nc_u32_e32 v1, s8, v0
	s_delay_alu instid0(VALU_DEP_3) | instskip(NEXT) | instid1(VALU_DEP_4)
	v_dual_cndmask_b32 v3, v7, v3 :: v_dual_add_nc_u32 v0, 0x100, v0
	v_cndmask_b32_e32 v2, v6, v2, vcc_lo
	global_store_b64 v1, v[2:3], s[4:5] scale_offset
	s_wait_xcnt 0x0
	s_or_b32 exec_lo, exec_lo, s0
	s_delay_alu instid0(SALU_CYCLE_1)
	s_mov_b32 s0, exec_lo
	v_cmpx_gt_i32_e64 s3, v0
	s_cbranch_execz .LBB2_13
.LBB2_19:
	s_wait_loadcnt 0x0
	v_dual_mul_f64 v[2:3], v[10:11], v[14:15] :: v_dual_add_nc_u32 v1, s8, v0
	v_cmp_lt_f64_e32 vcc_lo, 0, v[10:11]
	s_delay_alu instid0(VALU_DEP_2) | instskip(NEXT) | instid1(VALU_DEP_3)
	v_dual_cndmask_b32 v3, v3, v11 :: v_dual_add_nc_u32 v0, 0x100, v0
	v_cndmask_b32_e32 v2, v2, v10, vcc_lo
	global_store_b64 v1, v[2:3], s[4:5] scale_offset
	s_wait_xcnt 0x0
	s_or_b32 exec_lo, exec_lo, s0
	s_delay_alu instid0(SALU_CYCLE_1)
	s_mov_b32 s0, exec_lo
	v_cmpx_gt_i32_e64 s3, v0
	s_cbranch_execnz .LBB2_14
	s_branch .LBB2_15
	.section	.rodata,"a",@progbits
	.p2align	6, 0x0
	.amdhsa_kernel _ZN2at6native29vectorized_elementwise_kernelILi4EZZZNS0_12prelu_kernelERNS_14TensorIteratorEENKUlvE_clEvENKUlvE_clEvEUlddE_St5arrayIPcLm3EEEEviT0_T1_
		.amdhsa_group_segment_fixed_size 0
		.amdhsa_private_segment_fixed_size 0
		.amdhsa_kernarg_size 32
		.amdhsa_user_sgpr_count 2
		.amdhsa_user_sgpr_dispatch_ptr 0
		.amdhsa_user_sgpr_queue_ptr 0
		.amdhsa_user_sgpr_kernarg_segment_ptr 1
		.amdhsa_user_sgpr_dispatch_id 0
		.amdhsa_user_sgpr_kernarg_preload_length 0
		.amdhsa_user_sgpr_kernarg_preload_offset 0
		.amdhsa_user_sgpr_private_segment_size 0
		.amdhsa_wavefront_size32 1
		.amdhsa_uses_dynamic_stack 0
		.amdhsa_enable_private_segment 0
		.amdhsa_system_sgpr_workgroup_id_x 1
		.amdhsa_system_sgpr_workgroup_id_y 0
		.amdhsa_system_sgpr_workgroup_id_z 0
		.amdhsa_system_sgpr_workgroup_info 0
		.amdhsa_system_vgpr_workitem_id 0
		.amdhsa_next_free_vgpr 20
		.amdhsa_next_free_sgpr 16
		.amdhsa_named_barrier_count 0
		.amdhsa_reserve_vcc 1
		.amdhsa_float_round_mode_32 0
		.amdhsa_float_round_mode_16_64 0
		.amdhsa_float_denorm_mode_32 3
		.amdhsa_float_denorm_mode_16_64 3
		.amdhsa_fp16_overflow 0
		.amdhsa_memory_ordered 1
		.amdhsa_forward_progress 1
		.amdhsa_inst_pref_size 8
		.amdhsa_round_robin_scheduling 0
		.amdhsa_exception_fp_ieee_invalid_op 0
		.amdhsa_exception_fp_denorm_src 0
		.amdhsa_exception_fp_ieee_div_zero 0
		.amdhsa_exception_fp_ieee_overflow 0
		.amdhsa_exception_fp_ieee_underflow 0
		.amdhsa_exception_fp_ieee_inexact 0
		.amdhsa_exception_int_div_zero 0
	.end_amdhsa_kernel
	.section	.text._ZN2at6native29vectorized_elementwise_kernelILi4EZZZNS0_12prelu_kernelERNS_14TensorIteratorEENKUlvE_clEvENKUlvE_clEvEUlddE_St5arrayIPcLm3EEEEviT0_T1_,"axG",@progbits,_ZN2at6native29vectorized_elementwise_kernelILi4EZZZNS0_12prelu_kernelERNS_14TensorIteratorEENKUlvE_clEvENKUlvE_clEvEUlddE_St5arrayIPcLm3EEEEviT0_T1_,comdat
.Lfunc_end2:
	.size	_ZN2at6native29vectorized_elementwise_kernelILi4EZZZNS0_12prelu_kernelERNS_14TensorIteratorEENKUlvE_clEvENKUlvE_clEvEUlddE_St5arrayIPcLm3EEEEviT0_T1_, .Lfunc_end2-_ZN2at6native29vectorized_elementwise_kernelILi4EZZZNS0_12prelu_kernelERNS_14TensorIteratorEENKUlvE_clEvENKUlvE_clEvEUlddE_St5arrayIPcLm3EEEEviT0_T1_
                                        ; -- End function
	.set _ZN2at6native29vectorized_elementwise_kernelILi4EZZZNS0_12prelu_kernelERNS_14TensorIteratorEENKUlvE_clEvENKUlvE_clEvEUlddE_St5arrayIPcLm3EEEEviT0_T1_.num_vgpr, 20
	.set _ZN2at6native29vectorized_elementwise_kernelILi4EZZZNS0_12prelu_kernelERNS_14TensorIteratorEENKUlvE_clEvENKUlvE_clEvEUlddE_St5arrayIPcLm3EEEEviT0_T1_.num_agpr, 0
	.set _ZN2at6native29vectorized_elementwise_kernelILi4EZZZNS0_12prelu_kernelERNS_14TensorIteratorEENKUlvE_clEvENKUlvE_clEvEUlddE_St5arrayIPcLm3EEEEviT0_T1_.numbered_sgpr, 16
	.set _ZN2at6native29vectorized_elementwise_kernelILi4EZZZNS0_12prelu_kernelERNS_14TensorIteratorEENKUlvE_clEvENKUlvE_clEvEUlddE_St5arrayIPcLm3EEEEviT0_T1_.num_named_barrier, 0
	.set _ZN2at6native29vectorized_elementwise_kernelILi4EZZZNS0_12prelu_kernelERNS_14TensorIteratorEENKUlvE_clEvENKUlvE_clEvEUlddE_St5arrayIPcLm3EEEEviT0_T1_.private_seg_size, 0
	.set _ZN2at6native29vectorized_elementwise_kernelILi4EZZZNS0_12prelu_kernelERNS_14TensorIteratorEENKUlvE_clEvENKUlvE_clEvEUlddE_St5arrayIPcLm3EEEEviT0_T1_.uses_vcc, 1
	.set _ZN2at6native29vectorized_elementwise_kernelILi4EZZZNS0_12prelu_kernelERNS_14TensorIteratorEENKUlvE_clEvENKUlvE_clEvEUlddE_St5arrayIPcLm3EEEEviT0_T1_.uses_flat_scratch, 0
	.set _ZN2at6native29vectorized_elementwise_kernelILi4EZZZNS0_12prelu_kernelERNS_14TensorIteratorEENKUlvE_clEvENKUlvE_clEvEUlddE_St5arrayIPcLm3EEEEviT0_T1_.has_dyn_sized_stack, 0
	.set _ZN2at6native29vectorized_elementwise_kernelILi4EZZZNS0_12prelu_kernelERNS_14TensorIteratorEENKUlvE_clEvENKUlvE_clEvEUlddE_St5arrayIPcLm3EEEEviT0_T1_.has_recursion, 0
	.set _ZN2at6native29vectorized_elementwise_kernelILi4EZZZNS0_12prelu_kernelERNS_14TensorIteratorEENKUlvE_clEvENKUlvE_clEvEUlddE_St5arrayIPcLm3EEEEviT0_T1_.has_indirect_call, 0
	.section	.AMDGPU.csdata,"",@progbits
; Kernel info:
; codeLenInByte = 1008
; TotalNumSgprs: 18
; NumVgprs: 20
; ScratchSize: 0
; MemoryBound: 0
; FloatMode: 240
; IeeeMode: 1
; LDSByteSize: 0 bytes/workgroup (compile time only)
; SGPRBlocks: 0
; VGPRBlocks: 1
; NumSGPRsForWavesPerEU: 18
; NumVGPRsForWavesPerEU: 20
; NamedBarCnt: 0
; Occupancy: 16
; WaveLimiterHint : 0
; COMPUTE_PGM_RSRC2:SCRATCH_EN: 0
; COMPUTE_PGM_RSRC2:USER_SGPR: 2
; COMPUTE_PGM_RSRC2:TRAP_HANDLER: 0
; COMPUTE_PGM_RSRC2:TGID_X_EN: 1
; COMPUTE_PGM_RSRC2:TGID_Y_EN: 0
; COMPUTE_PGM_RSRC2:TGID_Z_EN: 0
; COMPUTE_PGM_RSRC2:TIDIG_COMP_CNT: 0
	.section	.text._ZN2at6native29vectorized_elementwise_kernelILi2EZZZNS0_12prelu_kernelERNS_14TensorIteratorEENKUlvE_clEvENKUlvE_clEvEUlddE_St5arrayIPcLm3EEEEviT0_T1_,"axG",@progbits,_ZN2at6native29vectorized_elementwise_kernelILi2EZZZNS0_12prelu_kernelERNS_14TensorIteratorEENKUlvE_clEvENKUlvE_clEvEUlddE_St5arrayIPcLm3EEEEviT0_T1_,comdat
	.globl	_ZN2at6native29vectorized_elementwise_kernelILi2EZZZNS0_12prelu_kernelERNS_14TensorIteratorEENKUlvE_clEvENKUlvE_clEvEUlddE_St5arrayIPcLm3EEEEviT0_T1_ ; -- Begin function _ZN2at6native29vectorized_elementwise_kernelILi2EZZZNS0_12prelu_kernelERNS_14TensorIteratorEENKUlvE_clEvENKUlvE_clEvEUlddE_St5arrayIPcLm3EEEEviT0_T1_
	.p2align	8
	.type	_ZN2at6native29vectorized_elementwise_kernelILi2EZZZNS0_12prelu_kernelERNS_14TensorIteratorEENKUlvE_clEvENKUlvE_clEvEUlddE_St5arrayIPcLm3EEEEviT0_T1_,@function
_ZN2at6native29vectorized_elementwise_kernelILi2EZZZNS0_12prelu_kernelERNS_14TensorIteratorEENKUlvE_clEvENKUlvE_clEvEUlddE_St5arrayIPcLm3EEEEviT0_T1_: ; @_ZN2at6native29vectorized_elementwise_kernelILi2EZZZNS0_12prelu_kernelERNS_14TensorIteratorEENKUlvE_clEvENKUlvE_clEvEUlddE_St5arrayIPcLm3EEEEviT0_T1_
; %bb.0:
	s_clause 0x2
	s_load_b32 s2, s[0:1], 0x0
	s_load_b128 s[4:7], s[0:1], 0x8
	s_load_b64 s[10:11], s[0:1], 0x18
	s_wait_xcnt 0x0
	s_bfe_u32 s0, ttmp6, 0x4000c
	s_and_b32 s1, ttmp6, 15
	s_add_co_i32 s0, s0, 1
	s_getreg_b32 s3, hwreg(HW_REG_IB_STS2, 6, 4)
	s_mul_i32 s0, ttmp9, s0
	s_delay_alu instid0(SALU_CYCLE_1) | instskip(SKIP_2) | instid1(SALU_CYCLE_1)
	s_add_co_i32 s1, s1, s0
	s_cmp_eq_u32 s3, 0
	s_cselect_b32 s0, ttmp9, s1
	s_lshl_b32 s8, s0, 10
	s_mov_b32 s0, -1
	s_wait_kmcnt 0x0
	s_sub_co_i32 s3, s2, s8
	s_delay_alu instid0(SALU_CYCLE_1)
	s_cmp_gt_i32 s3, 0x3ff
	s_cbranch_scc0 .LBB3_2
; %bb.1:
	s_ashr_i32 s9, s8, 31
	s_delay_alu instid0(SALU_CYCLE_1) | instskip(NEXT) | instid1(SALU_CYCLE_1)
	s_lshl_b64 s[12:13], s[8:9], 3
	s_add_nc_u64 s[0:1], s[10:11], s[12:13]
	s_add_nc_u64 s[14:15], s[6:7], s[12:13]
	s_clause 0x3
	global_load_b128 v[2:5], v0, s[0:1] scale_offset
	global_load_b128 v[6:9], v0, s[14:15] scale_offset
	global_load_b128 v[10:13], v0, s[14:15] offset:4096 scale_offset
	global_load_b128 v[14:17], v0, s[0:1] offset:4096 scale_offset
	s_add_nc_u64 s[12:13], s[4:5], s[12:13]
	s_wait_loadcnt 0x2
	v_cmp_lt_f64_e32 vcc_lo, 0, v[6:7]
	v_mul_f64_e32 v[4:5], v[8:9], v[4:5]
	s_wait_xcnt 0x0
	v_cmp_lt_f64_e64 s0, 0, v[8:9]
	v_mul_f64_e32 v[2:3], v[6:7], v[2:3]
	s_wait_loadcnt 0x1
	v_cmp_lt_f64_e64 s1, 0, v[10:11]
	v_cmp_lt_f64_e64 s2, 0, v[12:13]
	s_delay_alu instid0(VALU_DEP_4) | instskip(SKIP_1) | instid1(VALU_DEP_4)
	v_cndmask_b32_e64 v5, v5, v9, s0
	s_wait_loadcnt 0x0
	v_dual_mul_f64 v[16:17], v[12:13], v[16:17] :: v_dual_cndmask_b32 v2, v2, v6, vcc_lo
	v_cndmask_b32_e32 v3, v3, v7, vcc_lo
	v_dual_mul_f64 v[14:15], v[10:11], v[14:15] :: v_dual_cndmask_b32 v4, v4, v8, s0
	s_mov_b32 s0, 0
	s_delay_alu instid0(VALU_DEP_3) | instskip(NEXT) | instid1(VALU_DEP_2)
	v_dual_cndmask_b32 v9, v17, v13, s2 :: v_dual_cndmask_b32 v8, v16, v12, s2
	v_dual_cndmask_b32 v7, v15, v11, s1 :: v_dual_cndmask_b32 v6, v14, v10, s1
	s_clause 0x1
	global_store_b128 v0, v[2:5], s[12:13] scale_offset
	global_store_b128 v0, v[6:9], s[12:13] offset:4096 scale_offset
.LBB3_2:
	s_and_not1_b32 vcc_lo, exec_lo, s0
	s_cbranch_vccnz .LBB3_15
; %bb.3:
	s_wait_xcnt 0x1
	v_mov_b64_e32 v[2:3], 0
	s_wait_xcnt 0x0
	v_mov_b64_e32 v[6:7], 0
	v_mov_b64_e32 v[8:9], 0
	v_cmp_gt_i32_e32 vcc_lo, s3, v0
	v_dual_mov_b32 v19, v0 :: v_dual_bitop2_b32 v1, s8, v0 bitop3:0x54
	v_or_b32_e32 v18, 0x100, v0
	s_and_saveexec_b32 s0, vcc_lo
	s_cbranch_execz .LBB3_5
; %bb.4:
	s_clause 0x1
	global_load_b64 v[6:7], v1, s[6:7] scale_offset
	global_load_b64 v[8:9], v1, s[10:11] scale_offset
	v_or_b32_e32 v19, 0x100, v0
.LBB3_5:
	s_wait_xcnt 0x0
	s_or_b32 exec_lo, exec_lo, s0
	v_mov_b64_e32 v[12:13], 0
	s_mov_b32 s1, exec_lo
	v_cmpx_gt_i32_e64 s3, v19
	s_cbranch_execz .LBB3_7
; %bb.6:
	v_add_nc_u32_e32 v4, s8, v19
	v_add_nc_u32_e32 v19, 0x100, v19
	s_clause 0x1
	global_load_b64 v[2:3], v4, s[6:7] scale_offset
	global_load_b64 v[12:13], v4, s[10:11] scale_offset
.LBB3_7:
	s_wait_xcnt 0x0
	s_or_b32 exec_lo, exec_lo, s1
	v_mov_b64_e32 v[4:5], 0
	v_mov_b64_e32 v[10:11], 0
	;; [unrolled: 1-line block ×3, first 2 shown]
	s_mov_b32 s1, exec_lo
	v_cmpx_gt_i32_e64 s3, v19
	s_cbranch_execz .LBB3_9
; %bb.8:
	v_add_nc_u32_e32 v16, s8, v19
	v_add_nc_u32_e32 v19, 0x100, v19
	s_clause 0x1
	global_load_b64 v[10:11], v16, s[6:7] scale_offset
	global_load_b64 v[14:15], v16, s[10:11] scale_offset
.LBB3_9:
	s_wait_xcnt 0x0
	s_or_b32 exec_lo, exec_lo, s1
	v_mov_b64_e32 v[16:17], 0
	s_mov_b32 s1, exec_lo
	v_cmpx_gt_i32_e64 s3, v19
	s_cbranch_execnz .LBB3_16
; %bb.10:
	s_or_b32 exec_lo, exec_lo, s1
	s_and_saveexec_b32 s0, vcc_lo
	s_cbranch_execnz .LBB3_17
.LBB3_11:
	s_or_b32 exec_lo, exec_lo, s0
	s_delay_alu instid0(SALU_CYCLE_1)
	s_mov_b32 s0, exec_lo
	v_cmpx_gt_i32_e64 s3, v0
	s_cbranch_execnz .LBB3_18
.LBB3_12:
	s_or_b32 exec_lo, exec_lo, s0
	s_delay_alu instid0(SALU_CYCLE_1)
	s_mov_b32 s0, exec_lo
	v_cmpx_gt_i32_e64 s3, v0
	s_cbranch_execnz .LBB3_19
.LBB3_13:
	s_or_b32 exec_lo, exec_lo, s0
	s_delay_alu instid0(SALU_CYCLE_1)
	s_mov_b32 s0, exec_lo
	v_cmpx_gt_i32_e64 s3, v0
	s_cbranch_execz .LBB3_15
.LBB3_14:
	s_wait_loadcnt 0x0
	v_mul_f64_e32 v[2:3], v[4:5], v[16:17]
	v_cmp_lt_f64_e32 vcc_lo, 0, v[4:5]
	s_delay_alu instid0(VALU_DEP_2) | instskip(NEXT) | instid1(VALU_DEP_3)
	v_dual_cndmask_b32 v3, v3, v5 :: v_dual_add_nc_u32 v0, s8, v0
	v_cndmask_b32_e32 v2, v2, v4, vcc_lo
	global_store_b64 v0, v[2:3], s[4:5] scale_offset
.LBB3_15:
	s_endpgm
.LBB3_16:
	v_add_nc_u32_e32 v19, s8, v19
	s_clause 0x1
	global_load_b64 v[4:5], v19, s[6:7] scale_offset
	global_load_b64 v[16:17], v19, s[10:11] scale_offset
	s_wait_xcnt 0x0
	s_or_b32 exec_lo, exec_lo, s1
	s_and_saveexec_b32 s0, vcc_lo
	s_cbranch_execz .LBB3_11
.LBB3_17:
	s_wait_loadcnt 0x0
	v_mul_f64_e32 v[8:9], v[6:7], v[8:9]
	v_cmp_lt_f64_e32 vcc_lo, 0, v[6:7]
	s_delay_alu instid0(VALU_DEP_2) | instskip(NEXT) | instid1(VALU_DEP_3)
	v_dual_mov_b32 v0, v18 :: v_dual_cndmask_b32 v7, v9, v7
	v_cndmask_b32_e32 v6, v8, v6, vcc_lo
	global_store_b64 v1, v[6:7], s[4:5] scale_offset
	s_wait_xcnt 0x0
	s_or_b32 exec_lo, exec_lo, s0
	s_delay_alu instid0(SALU_CYCLE_1)
	s_mov_b32 s0, exec_lo
	v_cmpx_gt_i32_e64 s3, v0
	s_cbranch_execz .LBB3_12
.LBB3_18:
	s_wait_loadcnt 0x0
	v_mul_f64_e32 v[6:7], v[2:3], v[12:13]
	v_cmp_lt_f64_e32 vcc_lo, 0, v[2:3]
	v_add_nc_u32_e32 v1, s8, v0
	s_delay_alu instid0(VALU_DEP_3) | instskip(NEXT) | instid1(VALU_DEP_4)
	v_dual_cndmask_b32 v3, v7, v3 :: v_dual_add_nc_u32 v0, 0x100, v0
	v_cndmask_b32_e32 v2, v6, v2, vcc_lo
	global_store_b64 v1, v[2:3], s[4:5] scale_offset
	s_wait_xcnt 0x0
	s_or_b32 exec_lo, exec_lo, s0
	s_delay_alu instid0(SALU_CYCLE_1)
	s_mov_b32 s0, exec_lo
	v_cmpx_gt_i32_e64 s3, v0
	s_cbranch_execz .LBB3_13
.LBB3_19:
	s_wait_loadcnt 0x0
	v_dual_mul_f64 v[2:3], v[10:11], v[14:15] :: v_dual_add_nc_u32 v1, s8, v0
	v_cmp_lt_f64_e32 vcc_lo, 0, v[10:11]
	s_delay_alu instid0(VALU_DEP_2) | instskip(NEXT) | instid1(VALU_DEP_3)
	v_dual_cndmask_b32 v3, v3, v11 :: v_dual_add_nc_u32 v0, 0x100, v0
	v_cndmask_b32_e32 v2, v2, v10, vcc_lo
	global_store_b64 v1, v[2:3], s[4:5] scale_offset
	s_wait_xcnt 0x0
	s_or_b32 exec_lo, exec_lo, s0
	s_delay_alu instid0(SALU_CYCLE_1)
	s_mov_b32 s0, exec_lo
	v_cmpx_gt_i32_e64 s3, v0
	s_cbranch_execnz .LBB3_14
	s_branch .LBB3_15
	.section	.rodata,"a",@progbits
	.p2align	6, 0x0
	.amdhsa_kernel _ZN2at6native29vectorized_elementwise_kernelILi2EZZZNS0_12prelu_kernelERNS_14TensorIteratorEENKUlvE_clEvENKUlvE_clEvEUlddE_St5arrayIPcLm3EEEEviT0_T1_
		.amdhsa_group_segment_fixed_size 0
		.amdhsa_private_segment_fixed_size 0
		.amdhsa_kernarg_size 32
		.amdhsa_user_sgpr_count 2
		.amdhsa_user_sgpr_dispatch_ptr 0
		.amdhsa_user_sgpr_queue_ptr 0
		.amdhsa_user_sgpr_kernarg_segment_ptr 1
		.amdhsa_user_sgpr_dispatch_id 0
		.amdhsa_user_sgpr_kernarg_preload_length 0
		.amdhsa_user_sgpr_kernarg_preload_offset 0
		.amdhsa_user_sgpr_private_segment_size 0
		.amdhsa_wavefront_size32 1
		.amdhsa_uses_dynamic_stack 0
		.amdhsa_enable_private_segment 0
		.amdhsa_system_sgpr_workgroup_id_x 1
		.amdhsa_system_sgpr_workgroup_id_y 0
		.amdhsa_system_sgpr_workgroup_id_z 0
		.amdhsa_system_sgpr_workgroup_info 0
		.amdhsa_system_vgpr_workitem_id 0
		.amdhsa_next_free_vgpr 20
		.amdhsa_next_free_sgpr 16
		.amdhsa_named_barrier_count 0
		.amdhsa_reserve_vcc 1
		.amdhsa_float_round_mode_32 0
		.amdhsa_float_round_mode_16_64 0
		.amdhsa_float_denorm_mode_32 3
		.amdhsa_float_denorm_mode_16_64 3
		.amdhsa_fp16_overflow 0
		.amdhsa_memory_ordered 1
		.amdhsa_forward_progress 1
		.amdhsa_inst_pref_size 8
		.amdhsa_round_robin_scheduling 0
		.amdhsa_exception_fp_ieee_invalid_op 0
		.amdhsa_exception_fp_denorm_src 0
		.amdhsa_exception_fp_ieee_div_zero 0
		.amdhsa_exception_fp_ieee_overflow 0
		.amdhsa_exception_fp_ieee_underflow 0
		.amdhsa_exception_fp_ieee_inexact 0
		.amdhsa_exception_int_div_zero 0
	.end_amdhsa_kernel
	.section	.text._ZN2at6native29vectorized_elementwise_kernelILi2EZZZNS0_12prelu_kernelERNS_14TensorIteratorEENKUlvE_clEvENKUlvE_clEvEUlddE_St5arrayIPcLm3EEEEviT0_T1_,"axG",@progbits,_ZN2at6native29vectorized_elementwise_kernelILi2EZZZNS0_12prelu_kernelERNS_14TensorIteratorEENKUlvE_clEvENKUlvE_clEvEUlddE_St5arrayIPcLm3EEEEviT0_T1_,comdat
.Lfunc_end3:
	.size	_ZN2at6native29vectorized_elementwise_kernelILi2EZZZNS0_12prelu_kernelERNS_14TensorIteratorEENKUlvE_clEvENKUlvE_clEvEUlddE_St5arrayIPcLm3EEEEviT0_T1_, .Lfunc_end3-_ZN2at6native29vectorized_elementwise_kernelILi2EZZZNS0_12prelu_kernelERNS_14TensorIteratorEENKUlvE_clEvENKUlvE_clEvEUlddE_St5arrayIPcLm3EEEEviT0_T1_
                                        ; -- End function
	.set _ZN2at6native29vectorized_elementwise_kernelILi2EZZZNS0_12prelu_kernelERNS_14TensorIteratorEENKUlvE_clEvENKUlvE_clEvEUlddE_St5arrayIPcLm3EEEEviT0_T1_.num_vgpr, 20
	.set _ZN2at6native29vectorized_elementwise_kernelILi2EZZZNS0_12prelu_kernelERNS_14TensorIteratorEENKUlvE_clEvENKUlvE_clEvEUlddE_St5arrayIPcLm3EEEEviT0_T1_.num_agpr, 0
	.set _ZN2at6native29vectorized_elementwise_kernelILi2EZZZNS0_12prelu_kernelERNS_14TensorIteratorEENKUlvE_clEvENKUlvE_clEvEUlddE_St5arrayIPcLm3EEEEviT0_T1_.numbered_sgpr, 16
	.set _ZN2at6native29vectorized_elementwise_kernelILi2EZZZNS0_12prelu_kernelERNS_14TensorIteratorEENKUlvE_clEvENKUlvE_clEvEUlddE_St5arrayIPcLm3EEEEviT0_T1_.num_named_barrier, 0
	.set _ZN2at6native29vectorized_elementwise_kernelILi2EZZZNS0_12prelu_kernelERNS_14TensorIteratorEENKUlvE_clEvENKUlvE_clEvEUlddE_St5arrayIPcLm3EEEEviT0_T1_.private_seg_size, 0
	.set _ZN2at6native29vectorized_elementwise_kernelILi2EZZZNS0_12prelu_kernelERNS_14TensorIteratorEENKUlvE_clEvENKUlvE_clEvEUlddE_St5arrayIPcLm3EEEEviT0_T1_.uses_vcc, 1
	.set _ZN2at6native29vectorized_elementwise_kernelILi2EZZZNS0_12prelu_kernelERNS_14TensorIteratorEENKUlvE_clEvENKUlvE_clEvEUlddE_St5arrayIPcLm3EEEEviT0_T1_.uses_flat_scratch, 0
	.set _ZN2at6native29vectorized_elementwise_kernelILi2EZZZNS0_12prelu_kernelERNS_14TensorIteratorEENKUlvE_clEvENKUlvE_clEvEUlddE_St5arrayIPcLm3EEEEviT0_T1_.has_dyn_sized_stack, 0
	.set _ZN2at6native29vectorized_elementwise_kernelILi2EZZZNS0_12prelu_kernelERNS_14TensorIteratorEENKUlvE_clEvENKUlvE_clEvEUlddE_St5arrayIPcLm3EEEEviT0_T1_.has_recursion, 0
	.set _ZN2at6native29vectorized_elementwise_kernelILi2EZZZNS0_12prelu_kernelERNS_14TensorIteratorEENKUlvE_clEvENKUlvE_clEvEUlddE_St5arrayIPcLm3EEEEviT0_T1_.has_indirect_call, 0
	.section	.AMDGPU.csdata,"",@progbits
; Kernel info:
; codeLenInByte = 1004
; TotalNumSgprs: 18
; NumVgprs: 20
; ScratchSize: 0
; MemoryBound: 0
; FloatMode: 240
; IeeeMode: 1
; LDSByteSize: 0 bytes/workgroup (compile time only)
; SGPRBlocks: 0
; VGPRBlocks: 1
; NumSGPRsForWavesPerEU: 18
; NumVGPRsForWavesPerEU: 20
; NamedBarCnt: 0
; Occupancy: 16
; WaveLimiterHint : 1
; COMPUTE_PGM_RSRC2:SCRATCH_EN: 0
; COMPUTE_PGM_RSRC2:USER_SGPR: 2
; COMPUTE_PGM_RSRC2:TRAP_HANDLER: 0
; COMPUTE_PGM_RSRC2:TGID_X_EN: 1
; COMPUTE_PGM_RSRC2:TGID_Y_EN: 0
; COMPUTE_PGM_RSRC2:TGID_Z_EN: 0
; COMPUTE_PGM_RSRC2:TIDIG_COMP_CNT: 0
	.section	.text._ZN2at6native27unrolled_elementwise_kernelIZZZNS0_12prelu_kernelERNS_14TensorIteratorEENKUlvE_clEvENKUlvE_clEvEUlddE_St5arrayIPcLm3EELi4E23TrivialOffsetCalculatorILi2EjESA_ILi1EjENS0_6memory15LoadWithoutCastENSD_16StoreWithoutCastEEEviT_T0_T2_T3_T4_T5_,"axG",@progbits,_ZN2at6native27unrolled_elementwise_kernelIZZZNS0_12prelu_kernelERNS_14TensorIteratorEENKUlvE_clEvENKUlvE_clEvEUlddE_St5arrayIPcLm3EELi4E23TrivialOffsetCalculatorILi2EjESA_ILi1EjENS0_6memory15LoadWithoutCastENSD_16StoreWithoutCastEEEviT_T0_T2_T3_T4_T5_,comdat
	.globl	_ZN2at6native27unrolled_elementwise_kernelIZZZNS0_12prelu_kernelERNS_14TensorIteratorEENKUlvE_clEvENKUlvE_clEvEUlddE_St5arrayIPcLm3EELi4E23TrivialOffsetCalculatorILi2EjESA_ILi1EjENS0_6memory15LoadWithoutCastENSD_16StoreWithoutCastEEEviT_T0_T2_T3_T4_T5_ ; -- Begin function _ZN2at6native27unrolled_elementwise_kernelIZZZNS0_12prelu_kernelERNS_14TensorIteratorEENKUlvE_clEvENKUlvE_clEvEUlddE_St5arrayIPcLm3EELi4E23TrivialOffsetCalculatorILi2EjESA_ILi1EjENS0_6memory15LoadWithoutCastENSD_16StoreWithoutCastEEEviT_T0_T2_T3_T4_T5_
	.p2align	8
	.type	_ZN2at6native27unrolled_elementwise_kernelIZZZNS0_12prelu_kernelERNS_14TensorIteratorEENKUlvE_clEvENKUlvE_clEvEUlddE_St5arrayIPcLm3EELi4E23TrivialOffsetCalculatorILi2EjESA_ILi1EjENS0_6memory15LoadWithoutCastENSD_16StoreWithoutCastEEEviT_T0_T2_T3_T4_T5_,@function
_ZN2at6native27unrolled_elementwise_kernelIZZZNS0_12prelu_kernelERNS_14TensorIteratorEENKUlvE_clEvENKUlvE_clEvEUlddE_St5arrayIPcLm3EELi4E23TrivialOffsetCalculatorILi2EjESA_ILi1EjENS0_6memory15LoadWithoutCastENSD_16StoreWithoutCastEEEviT_T0_T2_T3_T4_T5_: ; @_ZN2at6native27unrolled_elementwise_kernelIZZZNS0_12prelu_kernelERNS_14TensorIteratorEENKUlvE_clEvENKUlvE_clEvEUlddE_St5arrayIPcLm3EELi4E23TrivialOffsetCalculatorILi2EjESA_ILi1EjENS0_6memory15LoadWithoutCastENSD_16StoreWithoutCastEEEviT_T0_T2_T3_T4_T5_
; %bb.0:
	s_load_b32 s8, s[0:1], 0x0
	s_bfe_u32 s10, ttmp6, 0x4000c
	s_clause 0x1
	s_load_b128 s[4:7], s[0:1], 0x8
	s_load_b64 s[2:3], s[0:1], 0x18
	s_add_co_i32 s10, s10, 1
	s_and_b32 s9, ttmp6, 15
	s_wait_xcnt 0x0
	s_mul_i32 s1, ttmp9, s10
	s_getreg_b32 s0, hwreg(HW_REG_IB_STS2, 6, 4)
	s_add_co_i32 s9, s9, s1
	s_cmp_eq_u32 s0, 0
	v_mov_b64_e32 v[2:3], 0
	s_cselect_b32 s0, ttmp9, s9
	v_mov_b64_e32 v[6:7], 0
	s_lshl_b32 s1, s0, 10
	v_mov_b64_e32 v[10:11], 0
	v_or_b32_e32 v1, 0x100, v0
	v_dual_mov_b32 v19, v0 :: v_dual_bitop2_b32 v18, s1, v0 bitop3:0x54
	s_wait_kmcnt 0x0
	s_sub_co_i32 s8, s8, s1
	s_delay_alu instid0(SALU_CYCLE_1)
	v_cmp_gt_i32_e32 vcc_lo, s8, v0
	s_and_saveexec_b32 s0, vcc_lo
	s_cbranch_execz .LBB4_2
; %bb.1:
	s_clause 0x1
	global_load_b64 v[6:7], v18, s[6:7] scale_offset
	global_load_b64 v[10:11], v18, s[2:3] scale_offset
	v_or_b32_e32 v19, 0x100, v0
.LBB4_2:
	s_wait_xcnt 0x0
	s_or_b32 exec_lo, exec_lo, s0
	v_mov_b64_e32 v[12:13], 0
	s_mov_b32 s9, exec_lo
	v_cmpx_gt_i32_e64 s8, v19
	s_cbranch_execz .LBB4_4
; %bb.3:
	v_add_nc_u32_e32 v4, s1, v19
	v_add_nc_u32_e32 v19, 0x100, v19
	s_clause 0x1
	global_load_b64 v[2:3], v4, s[6:7] scale_offset
	global_load_b64 v[12:13], v4, s[2:3] scale_offset
.LBB4_4:
	s_wait_xcnt 0x0
	s_or_b32 exec_lo, exec_lo, s9
	v_mov_b64_e32 v[4:5], 0
	v_mov_b64_e32 v[8:9], 0
	;; [unrolled: 1-line block ×3, first 2 shown]
	s_mov_b32 s9, exec_lo
	v_cmpx_gt_i32_e64 s8, v19
	s_cbranch_execz .LBB4_6
; %bb.5:
	v_add_nc_u32_e32 v16, s1, v19
	v_add_nc_u32_e32 v19, 0x100, v19
	s_clause 0x1
	global_load_b64 v[8:9], v16, s[6:7] scale_offset
	global_load_b64 v[14:15], v16, s[2:3] scale_offset
.LBB4_6:
	s_wait_xcnt 0x0
	s_or_b32 exec_lo, exec_lo, s9
	v_mov_b64_e32 v[16:17], 0
	s_mov_b32 s9, exec_lo
	v_cmpx_gt_i32_e64 s8, v19
	s_cbranch_execnz .LBB4_12
; %bb.7:
	s_or_b32 exec_lo, exec_lo, s9
	s_and_saveexec_b32 s0, vcc_lo
	s_cbranch_execnz .LBB4_13
.LBB4_8:
	s_or_b32 exec_lo, exec_lo, s0
	s_delay_alu instid0(SALU_CYCLE_1)
	s_mov_b32 s0, exec_lo
	v_cmpx_gt_i32_e64 s8, v0
	s_cbranch_execnz .LBB4_14
.LBB4_9:
	s_or_b32 exec_lo, exec_lo, s0
	s_delay_alu instid0(SALU_CYCLE_1)
	s_mov_b32 s0, exec_lo
	v_cmpx_gt_i32_e64 s8, v0
	s_cbranch_execnz .LBB4_15
.LBB4_10:
	s_or_b32 exec_lo, exec_lo, s0
	s_delay_alu instid0(SALU_CYCLE_1)
	s_mov_b32 s0, exec_lo
	v_cmpx_gt_i32_e64 s8, v0
	s_cbranch_execnz .LBB4_16
.LBB4_11:
	s_endpgm
.LBB4_12:
	v_add_nc_u32_e32 v19, s1, v19
	s_clause 0x1
	global_load_b64 v[4:5], v19, s[6:7] scale_offset
	global_load_b64 v[16:17], v19, s[2:3] scale_offset
	s_wait_xcnt 0x0
	s_or_b32 exec_lo, exec_lo, s9
	s_and_saveexec_b32 s0, vcc_lo
	s_cbranch_execz .LBB4_8
.LBB4_13:
	s_wait_loadcnt 0x0
	v_dual_mul_f64 v[10:11], v[6:7], v[10:11] :: v_dual_mov_b32 v0, v1
	v_cmp_lt_f64_e32 vcc_lo, 0, v[6:7]
	s_delay_alu instid0(VALU_DEP_2) | instskip(SKIP_3) | instid1(SALU_CYCLE_1)
	v_dual_cndmask_b32 v7, v11, v7 :: v_dual_cndmask_b32 v6, v10, v6
	global_store_b64 v18, v[6:7], s[4:5] scale_offset
	s_wait_xcnt 0x0
	s_or_b32 exec_lo, exec_lo, s0
	s_mov_b32 s0, exec_lo
	v_cmpx_gt_i32_e64 s8, v0
	s_cbranch_execz .LBB4_9
.LBB4_14:
	s_wait_loadcnt 0x1
	v_cmp_lt_f64_e32 vcc_lo, 0, v[2:3]
	v_add_nc_u32_e32 v1, 0x100, v0
	s_wait_loadcnt 0x0
	v_mul_f64_e32 v[6:7], v[2:3], v[12:13]
	s_delay_alu instid0(VALU_DEP_1) | instskip(NEXT) | instid1(VALU_DEP_2)
	v_dual_cndmask_b32 v2, v6, v2, vcc_lo :: v_dual_add_nc_u32 v6, s1, v0
	v_dual_mov_b32 v0, v1 :: v_dual_cndmask_b32 v3, v7, v3
	global_store_b64 v6, v[2:3], s[4:5] scale_offset
	s_wait_xcnt 0x0
	s_or_b32 exec_lo, exec_lo, s0
	s_delay_alu instid0(SALU_CYCLE_1)
	s_mov_b32 s0, exec_lo
	v_cmpx_gt_i32_e64 s8, v0
	s_cbranch_execz .LBB4_10
.LBB4_15:
	s_wait_loadcnt 0x0
	v_dual_mul_f64 v[2:3], v[8:9], v[14:15] :: v_dual_add_nc_u32 v6, s1, v0
	v_cmp_lt_f64_e32 vcc_lo, 0, v[8:9]
	v_add_nc_u32_e32 v1, 0x100, v0
	s_delay_alu instid0(VALU_DEP_1) | instskip(NEXT) | instid1(VALU_DEP_4)
	v_dual_mov_b32 v0, v1 :: v_dual_cndmask_b32 v3, v3, v9
	v_cndmask_b32_e32 v2, v2, v8, vcc_lo
	global_store_b64 v6, v[2:3], s[4:5] scale_offset
	s_wait_xcnt 0x0
	s_or_b32 exec_lo, exec_lo, s0
	s_delay_alu instid0(SALU_CYCLE_1)
	s_mov_b32 s0, exec_lo
	v_cmpx_gt_i32_e64 s8, v0
	s_cbranch_execz .LBB4_11
.LBB4_16:
	s_wait_loadcnt 0x0
	v_mul_f64_e32 v[2:3], v[4:5], v[16:17]
	v_cmp_lt_f64_e32 vcc_lo, 0, v[4:5]
	s_delay_alu instid0(VALU_DEP_2) | instskip(NEXT) | instid1(VALU_DEP_3)
	v_dual_cndmask_b32 v3, v3, v5 :: v_dual_add_nc_u32 v0, s1, v0
	v_cndmask_b32_e32 v2, v2, v4, vcc_lo
	global_store_b64 v0, v[2:3], s[4:5] scale_offset
	s_endpgm
	.section	.rodata,"a",@progbits
	.p2align	6, 0x0
	.amdhsa_kernel _ZN2at6native27unrolled_elementwise_kernelIZZZNS0_12prelu_kernelERNS_14TensorIteratorEENKUlvE_clEvENKUlvE_clEvEUlddE_St5arrayIPcLm3EELi4E23TrivialOffsetCalculatorILi2EjESA_ILi1EjENS0_6memory15LoadWithoutCastENSD_16StoreWithoutCastEEEviT_T0_T2_T3_T4_T5_
		.amdhsa_group_segment_fixed_size 0
		.amdhsa_private_segment_fixed_size 0
		.amdhsa_kernarg_size 36
		.amdhsa_user_sgpr_count 2
		.amdhsa_user_sgpr_dispatch_ptr 0
		.amdhsa_user_sgpr_queue_ptr 0
		.amdhsa_user_sgpr_kernarg_segment_ptr 1
		.amdhsa_user_sgpr_dispatch_id 0
		.amdhsa_user_sgpr_kernarg_preload_length 0
		.amdhsa_user_sgpr_kernarg_preload_offset 0
		.amdhsa_user_sgpr_private_segment_size 0
		.amdhsa_wavefront_size32 1
		.amdhsa_uses_dynamic_stack 0
		.amdhsa_enable_private_segment 0
		.amdhsa_system_sgpr_workgroup_id_x 1
		.amdhsa_system_sgpr_workgroup_id_y 0
		.amdhsa_system_sgpr_workgroup_id_z 0
		.amdhsa_system_sgpr_workgroup_info 0
		.amdhsa_system_vgpr_workitem_id 0
		.amdhsa_next_free_vgpr 20
		.amdhsa_next_free_sgpr 11
		.amdhsa_named_barrier_count 0
		.amdhsa_reserve_vcc 1
		.amdhsa_float_round_mode_32 0
		.amdhsa_float_round_mode_16_64 0
		.amdhsa_float_denorm_mode_32 3
		.amdhsa_float_denorm_mode_16_64 3
		.amdhsa_fp16_overflow 0
		.amdhsa_memory_ordered 1
		.amdhsa_forward_progress 1
		.amdhsa_inst_pref_size 6
		.amdhsa_round_robin_scheduling 0
		.amdhsa_exception_fp_ieee_invalid_op 0
		.amdhsa_exception_fp_denorm_src 0
		.amdhsa_exception_fp_ieee_div_zero 0
		.amdhsa_exception_fp_ieee_overflow 0
		.amdhsa_exception_fp_ieee_underflow 0
		.amdhsa_exception_fp_ieee_inexact 0
		.amdhsa_exception_int_div_zero 0
	.end_amdhsa_kernel
	.section	.text._ZN2at6native27unrolled_elementwise_kernelIZZZNS0_12prelu_kernelERNS_14TensorIteratorEENKUlvE_clEvENKUlvE_clEvEUlddE_St5arrayIPcLm3EELi4E23TrivialOffsetCalculatorILi2EjESA_ILi1EjENS0_6memory15LoadWithoutCastENSD_16StoreWithoutCastEEEviT_T0_T2_T3_T4_T5_,"axG",@progbits,_ZN2at6native27unrolled_elementwise_kernelIZZZNS0_12prelu_kernelERNS_14TensorIteratorEENKUlvE_clEvENKUlvE_clEvEUlddE_St5arrayIPcLm3EELi4E23TrivialOffsetCalculatorILi2EjESA_ILi1EjENS0_6memory15LoadWithoutCastENSD_16StoreWithoutCastEEEviT_T0_T2_T3_T4_T5_,comdat
.Lfunc_end4:
	.size	_ZN2at6native27unrolled_elementwise_kernelIZZZNS0_12prelu_kernelERNS_14TensorIteratorEENKUlvE_clEvENKUlvE_clEvEUlddE_St5arrayIPcLm3EELi4E23TrivialOffsetCalculatorILi2EjESA_ILi1EjENS0_6memory15LoadWithoutCastENSD_16StoreWithoutCastEEEviT_T0_T2_T3_T4_T5_, .Lfunc_end4-_ZN2at6native27unrolled_elementwise_kernelIZZZNS0_12prelu_kernelERNS_14TensorIteratorEENKUlvE_clEvENKUlvE_clEvEUlddE_St5arrayIPcLm3EELi4E23TrivialOffsetCalculatorILi2EjESA_ILi1EjENS0_6memory15LoadWithoutCastENSD_16StoreWithoutCastEEEviT_T0_T2_T3_T4_T5_
                                        ; -- End function
	.set _ZN2at6native27unrolled_elementwise_kernelIZZZNS0_12prelu_kernelERNS_14TensorIteratorEENKUlvE_clEvENKUlvE_clEvEUlddE_St5arrayIPcLm3EELi4E23TrivialOffsetCalculatorILi2EjESA_ILi1EjENS0_6memory15LoadWithoutCastENSD_16StoreWithoutCastEEEviT_T0_T2_T3_T4_T5_.num_vgpr, 20
	.set _ZN2at6native27unrolled_elementwise_kernelIZZZNS0_12prelu_kernelERNS_14TensorIteratorEENKUlvE_clEvENKUlvE_clEvEUlddE_St5arrayIPcLm3EELi4E23TrivialOffsetCalculatorILi2EjESA_ILi1EjENS0_6memory15LoadWithoutCastENSD_16StoreWithoutCastEEEviT_T0_T2_T3_T4_T5_.num_agpr, 0
	.set _ZN2at6native27unrolled_elementwise_kernelIZZZNS0_12prelu_kernelERNS_14TensorIteratorEENKUlvE_clEvENKUlvE_clEvEUlddE_St5arrayIPcLm3EELi4E23TrivialOffsetCalculatorILi2EjESA_ILi1EjENS0_6memory15LoadWithoutCastENSD_16StoreWithoutCastEEEviT_T0_T2_T3_T4_T5_.numbered_sgpr, 11
	.set _ZN2at6native27unrolled_elementwise_kernelIZZZNS0_12prelu_kernelERNS_14TensorIteratorEENKUlvE_clEvENKUlvE_clEvEUlddE_St5arrayIPcLm3EELi4E23TrivialOffsetCalculatorILi2EjESA_ILi1EjENS0_6memory15LoadWithoutCastENSD_16StoreWithoutCastEEEviT_T0_T2_T3_T4_T5_.num_named_barrier, 0
	.set _ZN2at6native27unrolled_elementwise_kernelIZZZNS0_12prelu_kernelERNS_14TensorIteratorEENKUlvE_clEvENKUlvE_clEvEUlddE_St5arrayIPcLm3EELi4E23TrivialOffsetCalculatorILi2EjESA_ILi1EjENS0_6memory15LoadWithoutCastENSD_16StoreWithoutCastEEEviT_T0_T2_T3_T4_T5_.private_seg_size, 0
	.set _ZN2at6native27unrolled_elementwise_kernelIZZZNS0_12prelu_kernelERNS_14TensorIteratorEENKUlvE_clEvENKUlvE_clEvEUlddE_St5arrayIPcLm3EELi4E23TrivialOffsetCalculatorILi2EjESA_ILi1EjENS0_6memory15LoadWithoutCastENSD_16StoreWithoutCastEEEviT_T0_T2_T3_T4_T5_.uses_vcc, 1
	.set _ZN2at6native27unrolled_elementwise_kernelIZZZNS0_12prelu_kernelERNS_14TensorIteratorEENKUlvE_clEvENKUlvE_clEvEUlddE_St5arrayIPcLm3EELi4E23TrivialOffsetCalculatorILi2EjESA_ILi1EjENS0_6memory15LoadWithoutCastENSD_16StoreWithoutCastEEEviT_T0_T2_T3_T4_T5_.uses_flat_scratch, 0
	.set _ZN2at6native27unrolled_elementwise_kernelIZZZNS0_12prelu_kernelERNS_14TensorIteratorEENKUlvE_clEvENKUlvE_clEvEUlddE_St5arrayIPcLm3EELi4E23TrivialOffsetCalculatorILi2EjESA_ILi1EjENS0_6memory15LoadWithoutCastENSD_16StoreWithoutCastEEEviT_T0_T2_T3_T4_T5_.has_dyn_sized_stack, 0
	.set _ZN2at6native27unrolled_elementwise_kernelIZZZNS0_12prelu_kernelERNS_14TensorIteratorEENKUlvE_clEvENKUlvE_clEvEUlddE_St5arrayIPcLm3EELi4E23TrivialOffsetCalculatorILi2EjESA_ILi1EjENS0_6memory15LoadWithoutCastENSD_16StoreWithoutCastEEEviT_T0_T2_T3_T4_T5_.has_recursion, 0
	.set _ZN2at6native27unrolled_elementwise_kernelIZZZNS0_12prelu_kernelERNS_14TensorIteratorEENKUlvE_clEvENKUlvE_clEvEUlddE_St5arrayIPcLm3EELi4E23TrivialOffsetCalculatorILi2EjESA_ILi1EjENS0_6memory15LoadWithoutCastENSD_16StoreWithoutCastEEEviT_T0_T2_T3_T4_T5_.has_indirect_call, 0
	.section	.AMDGPU.csdata,"",@progbits
; Kernel info:
; codeLenInByte = 756
; TotalNumSgprs: 13
; NumVgprs: 20
; ScratchSize: 0
; MemoryBound: 0
; FloatMode: 240
; IeeeMode: 1
; LDSByteSize: 0 bytes/workgroup (compile time only)
; SGPRBlocks: 0
; VGPRBlocks: 1
; NumSGPRsForWavesPerEU: 13
; NumVGPRsForWavesPerEU: 20
; NamedBarCnt: 0
; Occupancy: 16
; WaveLimiterHint : 0
; COMPUTE_PGM_RSRC2:SCRATCH_EN: 0
; COMPUTE_PGM_RSRC2:USER_SGPR: 2
; COMPUTE_PGM_RSRC2:TRAP_HANDLER: 0
; COMPUTE_PGM_RSRC2:TGID_X_EN: 1
; COMPUTE_PGM_RSRC2:TGID_Y_EN: 0
; COMPUTE_PGM_RSRC2:TGID_Z_EN: 0
; COMPUTE_PGM_RSRC2:TIDIG_COMP_CNT: 0
	.section	.text._ZN2at6native32elementwise_kernel_manual_unrollILi128ELi4EZNS0_22gpu_kernel_impl_nocastIZZZNS0_12prelu_kernelERNS_14TensorIteratorEENKUlvE_clEvENKUlvE_clEvEUlddE_EEvRNS_18TensorIteratorBaseERKT_EUlibE_EEviT1_,"axG",@progbits,_ZN2at6native32elementwise_kernel_manual_unrollILi128ELi4EZNS0_22gpu_kernel_impl_nocastIZZZNS0_12prelu_kernelERNS_14TensorIteratorEENKUlvE_clEvENKUlvE_clEvEUlddE_EEvRNS_18TensorIteratorBaseERKT_EUlibE_EEviT1_,comdat
	.globl	_ZN2at6native32elementwise_kernel_manual_unrollILi128ELi4EZNS0_22gpu_kernel_impl_nocastIZZZNS0_12prelu_kernelERNS_14TensorIteratorEENKUlvE_clEvENKUlvE_clEvEUlddE_EEvRNS_18TensorIteratorBaseERKT_EUlibE_EEviT1_ ; -- Begin function _ZN2at6native32elementwise_kernel_manual_unrollILi128ELi4EZNS0_22gpu_kernel_impl_nocastIZZZNS0_12prelu_kernelERNS_14TensorIteratorEENKUlvE_clEvENKUlvE_clEvEUlddE_EEvRNS_18TensorIteratorBaseERKT_EUlibE_EEviT1_
	.p2align	8
	.type	_ZN2at6native32elementwise_kernel_manual_unrollILi128ELi4EZNS0_22gpu_kernel_impl_nocastIZZZNS0_12prelu_kernelERNS_14TensorIteratorEENKUlvE_clEvENKUlvE_clEvEUlddE_EEvRNS_18TensorIteratorBaseERKT_EUlibE_EEviT1_,@function
_ZN2at6native32elementwise_kernel_manual_unrollILi128ELi4EZNS0_22gpu_kernel_impl_nocastIZZZNS0_12prelu_kernelERNS_14TensorIteratorEENKUlvE_clEvENKUlvE_clEvEUlddE_EEvRNS_18TensorIteratorBaseERKT_EUlibE_EEviT1_: ; @_ZN2at6native32elementwise_kernel_manual_unrollILi128ELi4EZNS0_22gpu_kernel_impl_nocastIZZZNS0_12prelu_kernelERNS_14TensorIteratorEENKUlvE_clEvENKUlvE_clEvEUlddE_EEvRNS_18TensorIteratorBaseERKT_EUlibE_EEviT1_
; %bb.0:
	s_clause 0x1
	s_load_b32 s26, s[0:1], 0x8
	s_load_b32 s33, s[0:1], 0x0
	s_bfe_u32 s2, ttmp6, 0x4000c
	s_and_b32 s3, ttmp6, 15
	s_add_co_i32 s2, s2, 1
	s_getreg_b32 s4, hwreg(HW_REG_IB_STS2, 6, 4)
	s_mul_i32 s2, ttmp9, s2
	s_add_nc_u64 s[12:13], s[0:1], 8
	s_add_co_i32 s3, s3, s2
	s_cmp_eq_u32 s4, 0
	s_mov_b32 s21, 0
	s_cselect_b32 s2, ttmp9, s3
	s_wait_xcnt 0x0
	s_mov_b32 s0, exec_lo
	v_lshl_or_b32 v0, s2, 9, v0
	s_delay_alu instid0(VALU_DEP_1) | instskip(SKIP_2) | instid1(SALU_CYCLE_1)
	v_or_b32_e32 v4, 0x180, v0
	s_wait_kmcnt 0x0
	s_add_co_i32 s27, s26, -1
	s_cmp_gt_u32 s27, 1
	s_cselect_b32 s28, -1, 0
	v_cmpx_le_i32_e64 s33, v4
	s_xor_b32 s29, exec_lo, s0
	s_cbranch_execz .LBB5_54
; %bb.1:
	s_clause 0x5
	s_load_b128 s[4:7], s[12:13], 0x4
	s_load_b64 s[16:17], s[12:13], 0x14
	s_load_b128 s[8:11], s[12:13], 0xc4
	s_load_b64 s[18:19], s[12:13], 0xd4
	s_load_b64 s[14:15], s[12:13], 0x198
	s_load_b128 s[0:3], s[12:13], 0x188
	s_cmp_lg_u32 s26, 0
	s_mov_b32 s23, s21
	s_cselect_b32 s34, -1, 0
	s_min_u32 s31, s27, 15
	s_cmp_gt_u32 s26, 1
	s_cselect_b32 s30, -1, 0
	s_wait_kmcnt 0x0
	s_mov_b32 s20, s5
	s_mov_b32 s22, s16
	s_mov_b32 s5, exec_lo
	v_cmpx_gt_i32_e64 s33, v0
	s_cbranch_execnz .LBB5_5
; %bb.2:
	s_or_b32 exec_lo, exec_lo, s5
	s_delay_alu instid0(SALU_CYCLE_1)
	s_mov_b32 s5, exec_lo
	v_cmpx_gt_i32_e64 s33, v0
	s_cbranch_execnz .LBB5_17
.LBB5_3:
	s_or_b32 exec_lo, exec_lo, s5
	s_delay_alu instid0(SALU_CYCLE_1)
	s_mov_b32 s5, exec_lo
	v_cmpx_gt_i32_e64 s33, v0
	s_cbranch_execnz .LBB5_29
.LBB5_4:
	s_or_b32 exec_lo, exec_lo, s5
	s_delay_alu instid0(SALU_CYCLE_1)
	s_mov_b32 s5, exec_lo
	v_cmpx_gt_i32_e64 s33, v0
	s_cbranch_execnz .LBB5_41
	s_branch .LBB5_53
.LBB5_5:
	s_and_not1_b32 vcc_lo, exec_lo, s28
	s_cbranch_vccnz .LBB5_11
; %bb.6:
	s_and_not1_b32 vcc_lo, exec_lo, s34
	s_cbranch_vccnz .LBB5_12
; %bb.7:
	v_dual_mov_b32 v4, 0 :: v_dual_mov_b32 v1, v0
	v_dual_mov_b32 v6, 0 :: v_dual_mov_b32 v5, 0
	s_add_co_i32 s16, s31, 1
	s_mov_b64 s[24:25], 0xffffffffffffffe8
	s_and_b32 s16, s16, 30
	s_add_nc_u64 s[24:25], s[12:13], s[24:25]
.LBB5_8:                                ; =>This Inner Loop Header: Depth=1
	s_clause 0x1
	s_load_b128 s[36:39], s[24:25], 0x1c
	s_load_b64 s[44:45], s[24:25], 0x2c
	s_add_co_i32 s16, s16, -2
	s_delay_alu instid0(SALU_CYCLE_1) | instskip(SKIP_2) | instid1(VALU_DEP_1)
	s_cmp_lg_u32 s16, 0
	s_wait_kmcnt 0x0
	v_mul_hi_u32 v2, s37, v1
	v_add_nc_u32_e32 v2, v1, v2
	s_delay_alu instid0(VALU_DEP_1) | instskip(NEXT) | instid1(VALU_DEP_1)
	v_lshrrev_b32_e32 v2, s38, v2
	v_mul_hi_u32 v3, s44, v2
	v_mul_lo_u32 v7, v2, s36
	s_clause 0x1
	s_load_b128 s[40:43], s[24:25], 0xdc
	s_load_b64 s[36:37], s[24:25], 0xec
	s_wait_xcnt 0x0
	s_add_nc_u64 s[24:25], s[24:25], 24
	s_delay_alu instid0(VALU_DEP_2) | instskip(NEXT) | instid1(VALU_DEP_2)
	v_add_nc_u32_e32 v3, v2, v3
	v_sub_nc_u32_e32 v7, v1, v7
	s_delay_alu instid0(VALU_DEP_2) | instskip(SKIP_1) | instid1(VALU_DEP_2)
	v_lshrrev_b32_e32 v1, s45, v3
	s_wait_kmcnt 0x0
	v_mad_u32 v4, v7, s40, v4
	s_delay_alu instid0(VALU_DEP_2) | instskip(SKIP_2) | instid1(VALU_DEP_3)
	v_mul_lo_u32 v3, v1, s39
	v_mad_u32 v5, v7, s42, v5
	v_mad_u32 v6, v7, s41, v6
	v_sub_nc_u32_e32 v2, v2, v3
	s_delay_alu instid0(VALU_DEP_1) | instskip(NEXT) | instid1(VALU_DEP_4)
	v_mad_u32 v4, v2, s43, v4
	v_mad_u32 v5, v2, s37, v5
	s_delay_alu instid0(VALU_DEP_4)
	v_mad_u32 v6, v2, s36, v6
	s_cbranch_scc1 .LBB5_8
; %bb.9:
	s_bitcmp1_b32 s31, 0
	s_cselect_b32 s16, -1, 0
	s_delay_alu instid0(SALU_CYCLE_1)
	s_and_b32 vcc_lo, exec_lo, s16
	s_cbranch_vccnz .LBB5_13
; %bb.10:
	s_clause 0x1
	s_load_b96 s[36:38], s[24:25], 0x1c
	s_load_b96 s[40:42], s[24:25], 0xdc
	s_wait_kmcnt 0x0
	v_mul_hi_u32 v2, s37, v1
	s_delay_alu instid0(VALU_DEP_1) | instskip(NEXT) | instid1(VALU_DEP_1)
	v_add_nc_u32_e32 v2, v1, v2
	v_lshrrev_b32_e32 v2, s38, v2
	s_delay_alu instid0(VALU_DEP_1) | instskip(NEXT) | instid1(VALU_DEP_1)
	v_mul_lo_u32 v2, v2, s36
	v_sub_nc_u32_e32 v1, v1, v2
	s_delay_alu instid0(VALU_DEP_1)
	v_mad_u32 v4, v1, s40, v4
	v_mad_u32 v6, v1, s41, v6
	;; [unrolled: 1-line block ×3, first 2 shown]
	s_cbranch_execz .LBB5_14
	s_branch .LBB5_16
.LBB5_11:
                                        ; implicit-def: $vgpr5
                                        ; implicit-def: $vgpr6
                                        ; implicit-def: $vgpr4
	s_branch .LBB5_14
.LBB5_12:
	v_dual_mov_b32 v5, 0 :: v_dual_mov_b32 v6, 0
	v_mov_b32_e32 v4, 0
.LBB5_13:
	s_cbranch_execnz .LBB5_16
.LBB5_14:
	v_mov_b32_e32 v1, 0
	s_and_not1_b32 vcc_lo, exec_lo, s30
	s_delay_alu instid0(VALU_DEP_1) | instskip(NEXT) | instid1(VALU_DEP_1)
	v_mul_u64_e32 v[2:3], s[20:21], v[0:1]
	v_add_nc_u32_e32 v2, v0, v3
	s_delay_alu instid0(VALU_DEP_1) | instskip(NEXT) | instid1(VALU_DEP_1)
	v_lshrrev_b32_e32 v2, s6, v2
	v_mul_lo_u32 v3, v2, s4
	s_delay_alu instid0(VALU_DEP_1) | instskip(NEXT) | instid1(VALU_DEP_1)
	v_sub_nc_u32_e32 v3, v0, v3
	v_mul_lo_u32 v4, v3, s8
	v_mul_lo_u32 v5, v3, s10
	;; [unrolled: 1-line block ×3, first 2 shown]
	s_cbranch_vccnz .LBB5_16
; %bb.15:
	v_mov_b32_e32 v3, v1
	s_delay_alu instid0(VALU_DEP_1) | instskip(NEXT) | instid1(VALU_DEP_1)
	v_mul_u64_e32 v[8:9], s[22:23], v[2:3]
	v_add_nc_u32_e32 v1, v2, v9
	s_delay_alu instid0(VALU_DEP_1) | instskip(NEXT) | instid1(VALU_DEP_1)
	v_lshrrev_b32_e32 v1, s17, v1
	v_mul_lo_u32 v1, v1, s7
	s_delay_alu instid0(VALU_DEP_1) | instskip(NEXT) | instid1(VALU_DEP_1)
	v_sub_nc_u32_e32 v1, v2, v1
	v_mad_u32 v4, v1, s11, v4
	v_mad_u32 v6, v1, s18, v6
	v_mad_u32 v5, v1, s19, v5
.LBB5_16:
	global_load_b64 v[2:3], v6, s[2:3]
	global_load_b64 v[8:9], v5, s[14:15]
	v_add_nc_u32_e32 v0, 0x80, v0
	s_wait_loadcnt 0x1
	v_cmp_lt_f64_e32 vcc_lo, 0, v[2:3]
	s_wait_loadcnt 0x0
	v_mul_f64_e32 v[6:7], v[2:3], v[8:9]
	s_delay_alu instid0(VALU_DEP_1) | instskip(SKIP_3) | instid1(SALU_CYCLE_1)
	v_dual_cndmask_b32 v3, v7, v3 :: v_dual_cndmask_b32 v2, v6, v2
	global_store_b64 v4, v[2:3], s[0:1]
	s_wait_xcnt 0x0
	s_or_b32 exec_lo, exec_lo, s5
	s_mov_b32 s5, exec_lo
	v_cmpx_gt_i32_e64 s33, v0
	s_cbranch_execz .LBB5_3
.LBB5_17:
	s_and_not1_b32 vcc_lo, exec_lo, s28
	s_cbranch_vccnz .LBB5_23
; %bb.18:
	s_and_not1_b32 vcc_lo, exec_lo, s34
	s_cbranch_vccnz .LBB5_24
; %bb.19:
	v_dual_mov_b32 v4, 0 :: v_dual_mov_b32 v1, v0
	v_dual_mov_b32 v6, 0 :: v_dual_mov_b32 v5, 0
	s_add_co_i32 s16, s31, 1
	s_mov_b64 s[24:25], 0xffffffffffffffe8
	s_and_b32 s16, s16, 30
	s_add_nc_u64 s[24:25], s[12:13], s[24:25]
.LBB5_20:                               ; =>This Inner Loop Header: Depth=1
	s_clause 0x1
	s_load_b128 s[36:39], s[24:25], 0x1c
	s_load_b64 s[44:45], s[24:25], 0x2c
	s_add_co_i32 s16, s16, -2
	s_delay_alu instid0(SALU_CYCLE_1) | instskip(SKIP_2) | instid1(VALU_DEP_1)
	s_cmp_eq_u32 s16, 0
	s_wait_kmcnt 0x0
	v_mul_hi_u32 v2, s37, v1
	v_add_nc_u32_e32 v2, v1, v2
	s_delay_alu instid0(VALU_DEP_1) | instskip(NEXT) | instid1(VALU_DEP_1)
	v_lshrrev_b32_e32 v2, s38, v2
	v_mul_hi_u32 v3, s44, v2
	v_mul_lo_u32 v7, v2, s36
	s_clause 0x1
	s_load_b128 s[40:43], s[24:25], 0xdc
	s_load_b64 s[36:37], s[24:25], 0xec
	s_wait_xcnt 0x0
	s_add_nc_u64 s[24:25], s[24:25], 24
	s_delay_alu instid0(VALU_DEP_2) | instskip(NEXT) | instid1(VALU_DEP_2)
	v_add_nc_u32_e32 v3, v2, v3
	v_sub_nc_u32_e32 v7, v1, v7
	s_delay_alu instid0(VALU_DEP_2) | instskip(SKIP_1) | instid1(VALU_DEP_2)
	v_lshrrev_b32_e32 v1, s45, v3
	s_wait_kmcnt 0x0
	v_mad_u32 v4, v7, s40, v4
	s_delay_alu instid0(VALU_DEP_2) | instskip(SKIP_2) | instid1(VALU_DEP_3)
	v_mul_lo_u32 v3, v1, s39
	v_mad_u32 v5, v7, s42, v5
	v_mad_u32 v6, v7, s41, v6
	v_sub_nc_u32_e32 v2, v2, v3
	s_delay_alu instid0(VALU_DEP_1) | instskip(NEXT) | instid1(VALU_DEP_4)
	v_mad_u32 v4, v2, s43, v4
	v_mad_u32 v5, v2, s37, v5
	s_delay_alu instid0(VALU_DEP_4)
	v_mad_u32 v6, v2, s36, v6
	s_cbranch_scc0 .LBB5_20
; %bb.21:
	s_bitcmp1_b32 s31, 0
	s_cselect_b32 s16, -1, 0
	s_delay_alu instid0(SALU_CYCLE_1)
	s_and_b32 vcc_lo, exec_lo, s16
	s_cbranch_vccnz .LBB5_25
; %bb.22:
	s_clause 0x1
	s_load_b96 s[36:38], s[24:25], 0x1c
	s_load_b96 s[40:42], s[24:25], 0xdc
	s_wait_kmcnt 0x0
	v_mul_hi_u32 v2, s37, v1
	s_delay_alu instid0(VALU_DEP_1) | instskip(NEXT) | instid1(VALU_DEP_1)
	v_add_nc_u32_e32 v2, v1, v2
	v_lshrrev_b32_e32 v2, s38, v2
	s_delay_alu instid0(VALU_DEP_1) | instskip(NEXT) | instid1(VALU_DEP_1)
	v_mul_lo_u32 v2, v2, s36
	v_sub_nc_u32_e32 v1, v1, v2
	s_delay_alu instid0(VALU_DEP_1)
	v_mad_u32 v4, v1, s40, v4
	v_mad_u32 v6, v1, s41, v6
	;; [unrolled: 1-line block ×3, first 2 shown]
	s_branch .LBB5_25
.LBB5_23:
                                        ; implicit-def: $vgpr5
                                        ; implicit-def: $vgpr6
                                        ; implicit-def: $vgpr4
	s_branch .LBB5_26
.LBB5_24:
	v_dual_mov_b32 v5, 0 :: v_dual_mov_b32 v6, 0
	v_mov_b32_e32 v4, 0
.LBB5_25:
	s_cbranch_execnz .LBB5_28
.LBB5_26:
	v_mov_b32_e32 v1, 0
	s_and_not1_b32 vcc_lo, exec_lo, s30
	s_delay_alu instid0(VALU_DEP_1) | instskip(NEXT) | instid1(VALU_DEP_1)
	v_mul_u64_e32 v[2:3], s[20:21], v[0:1]
	v_add_nc_u32_e32 v2, v0, v3
	s_delay_alu instid0(VALU_DEP_1) | instskip(NEXT) | instid1(VALU_DEP_1)
	v_lshrrev_b32_e32 v2, s6, v2
	v_mul_lo_u32 v3, v2, s4
	s_delay_alu instid0(VALU_DEP_1) | instskip(NEXT) | instid1(VALU_DEP_1)
	v_sub_nc_u32_e32 v3, v0, v3
	v_mul_lo_u32 v4, v3, s8
	v_mul_lo_u32 v5, v3, s10
	;; [unrolled: 1-line block ×3, first 2 shown]
	s_cbranch_vccnz .LBB5_28
; %bb.27:
	v_mov_b32_e32 v3, v1
	s_delay_alu instid0(VALU_DEP_1) | instskip(NEXT) | instid1(VALU_DEP_1)
	v_mul_u64_e32 v[8:9], s[22:23], v[2:3]
	v_add_nc_u32_e32 v1, v2, v9
	s_delay_alu instid0(VALU_DEP_1) | instskip(NEXT) | instid1(VALU_DEP_1)
	v_lshrrev_b32_e32 v1, s17, v1
	v_mul_lo_u32 v1, v1, s7
	s_delay_alu instid0(VALU_DEP_1) | instskip(NEXT) | instid1(VALU_DEP_1)
	v_sub_nc_u32_e32 v1, v2, v1
	v_mad_u32 v4, v1, s11, v4
	v_mad_u32 v6, v1, s18, v6
	;; [unrolled: 1-line block ×3, first 2 shown]
.LBB5_28:
	global_load_b64 v[2:3], v6, s[2:3]
	global_load_b64 v[8:9], v5, s[14:15]
	v_add_nc_u32_e32 v0, 0x80, v0
	s_wait_loadcnt 0x1
	v_cmp_lt_f64_e32 vcc_lo, 0, v[2:3]
	s_wait_loadcnt 0x0
	s_wait_xcnt 0x1
	v_mul_f64_e32 v[6:7], v[2:3], v[8:9]
	s_delay_alu instid0(VALU_DEP_1) | instskip(SKIP_3) | instid1(SALU_CYCLE_1)
	v_dual_cndmask_b32 v3, v7, v3 :: v_dual_cndmask_b32 v2, v6, v2
	global_store_b64 v4, v[2:3], s[0:1]
	s_wait_xcnt 0x0
	s_or_b32 exec_lo, exec_lo, s5
	s_mov_b32 s5, exec_lo
	v_cmpx_gt_i32_e64 s33, v0
	s_cbranch_execz .LBB5_4
.LBB5_29:
	s_and_not1_b32 vcc_lo, exec_lo, s28
	s_cbranch_vccnz .LBB5_35
; %bb.30:
	s_and_not1_b32 vcc_lo, exec_lo, s34
	s_cbranch_vccnz .LBB5_36
; %bb.31:
	v_dual_mov_b32 v4, 0 :: v_dual_mov_b32 v1, v0
	v_dual_mov_b32 v6, 0 :: v_dual_mov_b32 v5, 0
	s_add_co_i32 s16, s31, 1
	s_mov_b64 s[24:25], 0xffffffffffffffe8
	s_and_b32 s16, s16, 30
	s_add_nc_u64 s[24:25], s[12:13], s[24:25]
.LBB5_32:                               ; =>This Inner Loop Header: Depth=1
	s_clause 0x1
	s_load_b128 s[36:39], s[24:25], 0x1c
	s_load_b64 s[44:45], s[24:25], 0x2c
	s_add_co_i32 s16, s16, -2
	s_delay_alu instid0(SALU_CYCLE_1) | instskip(SKIP_2) | instid1(VALU_DEP_1)
	s_cmp_eq_u32 s16, 0
	s_wait_kmcnt 0x0
	v_mul_hi_u32 v2, s37, v1
	v_add_nc_u32_e32 v2, v1, v2
	s_delay_alu instid0(VALU_DEP_1) | instskip(NEXT) | instid1(VALU_DEP_1)
	v_lshrrev_b32_e32 v2, s38, v2
	v_mul_hi_u32 v3, s44, v2
	v_mul_lo_u32 v7, v2, s36
	s_clause 0x1
	s_load_b128 s[40:43], s[24:25], 0xdc
	s_load_b64 s[36:37], s[24:25], 0xec
	s_wait_xcnt 0x0
	s_add_nc_u64 s[24:25], s[24:25], 24
	s_delay_alu instid0(VALU_DEP_2) | instskip(NEXT) | instid1(VALU_DEP_2)
	v_add_nc_u32_e32 v3, v2, v3
	v_sub_nc_u32_e32 v7, v1, v7
	s_delay_alu instid0(VALU_DEP_2) | instskip(SKIP_1) | instid1(VALU_DEP_2)
	v_lshrrev_b32_e32 v1, s45, v3
	s_wait_kmcnt 0x0
	v_mad_u32 v4, v7, s40, v4
	s_delay_alu instid0(VALU_DEP_2) | instskip(SKIP_2) | instid1(VALU_DEP_3)
	v_mul_lo_u32 v3, v1, s39
	v_mad_u32 v5, v7, s42, v5
	v_mad_u32 v6, v7, s41, v6
	v_sub_nc_u32_e32 v2, v2, v3
	s_delay_alu instid0(VALU_DEP_1) | instskip(NEXT) | instid1(VALU_DEP_4)
	v_mad_u32 v4, v2, s43, v4
	v_mad_u32 v5, v2, s37, v5
	s_delay_alu instid0(VALU_DEP_4)
	v_mad_u32 v6, v2, s36, v6
	s_cbranch_scc0 .LBB5_32
; %bb.33:
	s_bitcmp1_b32 s31, 0
	s_cselect_b32 s16, -1, 0
	s_delay_alu instid0(SALU_CYCLE_1)
	s_and_b32 vcc_lo, exec_lo, s16
	s_cbranch_vccnz .LBB5_37
; %bb.34:
	s_clause 0x1
	s_load_b96 s[36:38], s[24:25], 0x1c
	s_load_b96 s[40:42], s[24:25], 0xdc
	s_wait_kmcnt 0x0
	v_mul_hi_u32 v2, s37, v1
	s_delay_alu instid0(VALU_DEP_1) | instskip(NEXT) | instid1(VALU_DEP_1)
	v_add_nc_u32_e32 v2, v1, v2
	v_lshrrev_b32_e32 v2, s38, v2
	s_delay_alu instid0(VALU_DEP_1) | instskip(NEXT) | instid1(VALU_DEP_1)
	v_mul_lo_u32 v2, v2, s36
	v_sub_nc_u32_e32 v1, v1, v2
	s_delay_alu instid0(VALU_DEP_1)
	v_mad_u32 v4, v1, s40, v4
	v_mad_u32 v6, v1, s41, v6
	;; [unrolled: 1-line block ×3, first 2 shown]
	s_branch .LBB5_37
.LBB5_35:
                                        ; implicit-def: $vgpr5
                                        ; implicit-def: $vgpr6
                                        ; implicit-def: $vgpr4
	s_branch .LBB5_38
.LBB5_36:
	v_dual_mov_b32 v5, 0 :: v_dual_mov_b32 v6, 0
	v_mov_b32_e32 v4, 0
.LBB5_37:
	s_cbranch_execnz .LBB5_40
.LBB5_38:
	v_mov_b32_e32 v1, 0
	s_and_not1_b32 vcc_lo, exec_lo, s30
	s_delay_alu instid0(VALU_DEP_1) | instskip(NEXT) | instid1(VALU_DEP_1)
	v_mul_u64_e32 v[2:3], s[20:21], v[0:1]
	v_add_nc_u32_e32 v2, v0, v3
	s_delay_alu instid0(VALU_DEP_1) | instskip(NEXT) | instid1(VALU_DEP_1)
	v_lshrrev_b32_e32 v2, s6, v2
	v_mul_lo_u32 v3, v2, s4
	s_delay_alu instid0(VALU_DEP_1) | instskip(NEXT) | instid1(VALU_DEP_1)
	v_sub_nc_u32_e32 v3, v0, v3
	v_mul_lo_u32 v4, v3, s8
	v_mul_lo_u32 v5, v3, s10
	;; [unrolled: 1-line block ×3, first 2 shown]
	s_cbranch_vccnz .LBB5_40
; %bb.39:
	v_mov_b32_e32 v3, v1
	s_delay_alu instid0(VALU_DEP_1) | instskip(NEXT) | instid1(VALU_DEP_1)
	v_mul_u64_e32 v[8:9], s[22:23], v[2:3]
	v_add_nc_u32_e32 v1, v2, v9
	s_delay_alu instid0(VALU_DEP_1) | instskip(NEXT) | instid1(VALU_DEP_1)
	v_lshrrev_b32_e32 v1, s17, v1
	v_mul_lo_u32 v1, v1, s7
	s_delay_alu instid0(VALU_DEP_1) | instskip(NEXT) | instid1(VALU_DEP_1)
	v_sub_nc_u32_e32 v1, v2, v1
	v_mad_u32 v4, v1, s11, v4
	v_mad_u32 v6, v1, s18, v6
	;; [unrolled: 1-line block ×3, first 2 shown]
.LBB5_40:
	global_load_b64 v[2:3], v6, s[2:3]
	global_load_b64 v[8:9], v5, s[14:15]
	v_add_nc_u32_e32 v0, 0x80, v0
	s_wait_loadcnt 0x1
	v_cmp_lt_f64_e32 vcc_lo, 0, v[2:3]
	s_wait_loadcnt 0x0
	s_wait_xcnt 0x1
	v_mul_f64_e32 v[6:7], v[2:3], v[8:9]
	s_delay_alu instid0(VALU_DEP_1) | instskip(SKIP_3) | instid1(SALU_CYCLE_1)
	v_dual_cndmask_b32 v3, v7, v3 :: v_dual_cndmask_b32 v2, v6, v2
	global_store_b64 v4, v[2:3], s[0:1]
	s_wait_xcnt 0x0
	s_or_b32 exec_lo, exec_lo, s5
	s_mov_b32 s5, exec_lo
	v_cmpx_gt_i32_e64 s33, v0
	s_cbranch_execz .LBB5_53
.LBB5_41:
	s_and_not1_b32 vcc_lo, exec_lo, s28
	s_cbranch_vccnz .LBB5_47
; %bb.42:
	s_and_not1_b32 vcc_lo, exec_lo, s34
	s_cbranch_vccnz .LBB5_48
; %bb.43:
	v_dual_mov_b32 v4, 0 :: v_dual_mov_b32 v1, v0
	v_dual_mov_b32 v6, 0 :: v_dual_mov_b32 v5, 0
	s_add_co_i32 s16, s31, 1
	s_mov_b64 s[24:25], 0xffffffffffffffe8
	s_and_b32 s16, s16, 30
	s_add_nc_u64 s[24:25], s[12:13], s[24:25]
.LBB5_44:                               ; =>This Inner Loop Header: Depth=1
	s_clause 0x1
	s_load_b128 s[36:39], s[24:25], 0x1c
	s_load_b64 s[34:35], s[24:25], 0x2c
	s_add_co_i32 s16, s16, -2
	s_delay_alu instid0(SALU_CYCLE_1) | instskip(SKIP_2) | instid1(VALU_DEP_1)
	s_cmp_eq_u32 s16, 0
	s_wait_kmcnt 0x0
	v_mul_hi_u32 v2, s37, v1
	v_add_nc_u32_e32 v2, v1, v2
	s_delay_alu instid0(VALU_DEP_1) | instskip(NEXT) | instid1(VALU_DEP_1)
	v_lshrrev_b32_e32 v2, s38, v2
	v_mul_hi_u32 v3, s34, v2
	v_mul_lo_u32 v7, v2, s36
	s_clause 0x1
	s_load_b128 s[40:43], s[24:25], 0xdc
	s_load_b64 s[36:37], s[24:25], 0xec
	s_wait_xcnt 0x0
	s_add_nc_u64 s[24:25], s[24:25], 24
	s_delay_alu instid0(VALU_DEP_2) | instskip(NEXT) | instid1(VALU_DEP_2)
	v_add_nc_u32_e32 v3, v2, v3
	v_sub_nc_u32_e32 v7, v1, v7
	s_delay_alu instid0(VALU_DEP_2) | instskip(SKIP_1) | instid1(VALU_DEP_2)
	v_lshrrev_b32_e32 v1, s35, v3
	s_wait_kmcnt 0x0
	v_mad_u32 v4, v7, s40, v4
	s_delay_alu instid0(VALU_DEP_2) | instskip(SKIP_2) | instid1(VALU_DEP_3)
	v_mul_lo_u32 v3, v1, s39
	v_mad_u32 v5, v7, s42, v5
	v_mad_u32 v6, v7, s41, v6
	v_sub_nc_u32_e32 v2, v2, v3
	s_delay_alu instid0(VALU_DEP_1) | instskip(NEXT) | instid1(VALU_DEP_4)
	v_mad_u32 v4, v2, s43, v4
	v_mad_u32 v5, v2, s37, v5
	s_delay_alu instid0(VALU_DEP_4)
	v_mad_u32 v6, v2, s36, v6
	s_cbranch_scc0 .LBB5_44
; %bb.45:
	s_bitcmp1_b32 s31, 0
	s_cselect_b32 s16, -1, 0
	s_delay_alu instid0(SALU_CYCLE_1)
	s_and_b32 vcc_lo, exec_lo, s16
	s_cbranch_vccnz .LBB5_49
; %bb.46:
	s_clause 0x1
	s_load_b96 s[36:38], s[24:25], 0x1c
	s_load_b96 s[40:42], s[24:25], 0xdc
	s_wait_kmcnt 0x0
	v_mul_hi_u32 v2, s37, v1
	s_delay_alu instid0(VALU_DEP_1) | instskip(NEXT) | instid1(VALU_DEP_1)
	v_add_nc_u32_e32 v2, v1, v2
	v_lshrrev_b32_e32 v2, s38, v2
	s_delay_alu instid0(VALU_DEP_1) | instskip(NEXT) | instid1(VALU_DEP_1)
	v_mul_lo_u32 v2, v2, s36
	v_sub_nc_u32_e32 v1, v1, v2
	s_delay_alu instid0(VALU_DEP_1)
	v_mad_u32 v4, v1, s40, v4
	v_mad_u32 v6, v1, s41, v6
	;; [unrolled: 1-line block ×3, first 2 shown]
	s_branch .LBB5_49
.LBB5_47:
                                        ; implicit-def: $vgpr5
                                        ; implicit-def: $vgpr6
                                        ; implicit-def: $vgpr4
	s_branch .LBB5_50
.LBB5_48:
	v_dual_mov_b32 v5, 0 :: v_dual_mov_b32 v6, 0
	v_mov_b32_e32 v4, 0
.LBB5_49:
	s_cbranch_execnz .LBB5_52
.LBB5_50:
	v_mov_b32_e32 v1, 0
	s_and_not1_b32 vcc_lo, exec_lo, s30
	s_delay_alu instid0(VALU_DEP_1) | instskip(NEXT) | instid1(VALU_DEP_1)
	v_mul_u64_e32 v[2:3], s[20:21], v[0:1]
	v_add_nc_u32_e32 v2, v0, v3
	s_delay_alu instid0(VALU_DEP_1) | instskip(NEXT) | instid1(VALU_DEP_1)
	v_lshrrev_b32_e32 v2, s6, v2
	v_mul_lo_u32 v3, v2, s4
	s_delay_alu instid0(VALU_DEP_1) | instskip(NEXT) | instid1(VALU_DEP_1)
	v_sub_nc_u32_e32 v0, v0, v3
	v_mul_lo_u32 v4, v0, s8
	v_mul_lo_u32 v5, v0, s10
	;; [unrolled: 1-line block ×3, first 2 shown]
	s_cbranch_vccnz .LBB5_52
; %bb.51:
	v_mov_b32_e32 v3, v1
	s_delay_alu instid0(VALU_DEP_1) | instskip(NEXT) | instid1(VALU_DEP_1)
	v_mul_u64_e32 v[0:1], s[22:23], v[2:3]
	v_add_nc_u32_e32 v0, v2, v1
	s_delay_alu instid0(VALU_DEP_1) | instskip(NEXT) | instid1(VALU_DEP_1)
	v_lshrrev_b32_e32 v0, s17, v0
	v_mul_lo_u32 v0, v0, s7
	s_delay_alu instid0(VALU_DEP_1) | instskip(NEXT) | instid1(VALU_DEP_1)
	v_sub_nc_u32_e32 v0, v2, v0
	v_mad_u32 v4, v0, s11, v4
	v_mad_u32 v6, v0, s18, v6
	;; [unrolled: 1-line block ×3, first 2 shown]
.LBB5_52:
	global_load_b64 v[0:1], v6, s[2:3]
	global_load_b64 v[2:3], v5, s[14:15]
	s_wait_loadcnt 0x1
	v_cmp_lt_f64_e32 vcc_lo, 0, v[0:1]
	s_wait_loadcnt 0x0
	v_mul_f64_e32 v[2:3], v[0:1], v[2:3]
	s_delay_alu instid0(VALU_DEP_1)
	v_dual_cndmask_b32 v1, v3, v1 :: v_dual_cndmask_b32 v0, v2, v0
	global_store_b64 v4, v[0:1], s[0:1]
.LBB5_53:
	s_wait_xcnt 0x0
	s_or_b32 exec_lo, exec_lo, s5
                                        ; implicit-def: $vgpr4
                                        ; implicit-def: $vgpr0
.LBB5_54:
	s_and_not1_saveexec_b32 s0, s29
	s_cbranch_execz .LBB5_61
; %bb.55:
	v_cndmask_b32_e64 v6, 0, 1, s28
	s_and_not1_b32 vcc_lo, exec_lo, s28
	s_cbranch_vccnz .LBB5_62
; %bb.56:
	s_cmp_lg_u32 s26, 0
	s_mov_b32 s2, 0
	s_cbranch_scc0 .LBB5_66
; %bb.57:
	s_min_u32 s3, s27, 15
	v_dual_mov_b32 v1, 0 :: v_dual_mov_b32 v5, v0
	v_dual_mov_b32 v3, 0 :: v_dual_mov_b32 v2, 0
	s_add_co_i32 s4, s3, 1
	s_mov_b64 s[0:1], 0xffffffffffffffe8
	s_and_b32 s4, s4, 30
	s_add_nc_u64 s[0:1], s[12:13], s[0:1]
.LBB5_58:                               ; =>This Inner Loop Header: Depth=1
	s_clause 0x1
	s_load_b128 s[8:11], s[0:1], 0x1c
	s_load_b64 s[6:7], s[0:1], 0x2c
	s_add_co_i32 s4, s4, -2
	s_delay_alu instid0(SALU_CYCLE_1) | instskip(SKIP_2) | instid1(VALU_DEP_1)
	s_cmp_lg_u32 s4, 0
	s_wait_kmcnt 0x0
	v_mul_hi_u32 v7, s9, v5
	v_add_nc_u32_e32 v7, v5, v7
	s_delay_alu instid0(VALU_DEP_1) | instskip(NEXT) | instid1(VALU_DEP_1)
	v_lshrrev_b32_e32 v7, s10, v7
	v_mul_hi_u32 v8, s6, v7
	v_mul_lo_u32 v9, v7, s8
	s_clause 0x1
	s_load_b128 s[16:19], s[0:1], 0xdc
	s_load_b64 s[8:9], s[0:1], 0xec
	s_wait_xcnt 0x0
	s_add_nc_u64 s[0:1], s[0:1], 24
	s_delay_alu instid0(VALU_DEP_1) | instskip(NEXT) | instid1(VALU_DEP_1)
	v_dual_add_nc_u32 v8, v7, v8 :: v_dual_sub_nc_u32 v9, v5, v9
	v_lshrrev_b32_e32 v5, s7, v8
	s_wait_kmcnt 0x0
	s_delay_alu instid0(VALU_DEP_2) | instskip(NEXT) | instid1(VALU_DEP_2)
	v_mad_u32 v1, v9, s16, v1
	v_mul_lo_u32 v8, v5, s11
	v_mad_u32 v2, v9, s18, v2
	v_mad_u32 v3, v9, s17, v3
	s_delay_alu instid0(VALU_DEP_3) | instskip(NEXT) | instid1(VALU_DEP_1)
	v_sub_nc_u32_e32 v7, v7, v8
	v_mad_u32 v1, v7, s19, v1
	s_delay_alu instid0(VALU_DEP_4) | instskip(NEXT) | instid1(VALU_DEP_4)
	v_mad_u32 v2, v7, s9, v2
	v_mad_u32 v3, v7, s8, v3
	s_cbranch_scc1 .LBB5_58
; %bb.59:
	s_bitcmp1_b32 s3, 0
	s_cselect_b32 s3, -1, 0
	s_delay_alu instid0(SALU_CYCLE_1)
	s_and_b32 vcc_lo, exec_lo, s3
	s_cbranch_vccnz .LBB5_63
; %bb.60:
	s_clause 0x1
	s_load_b96 s[4:6], s[0:1], 0x1c
	s_load_b96 s[8:10], s[0:1], 0xdc
	s_wait_kmcnt 0x0
	v_mul_hi_u32 v7, s5, v5
	s_delay_alu instid0(VALU_DEP_1) | instskip(NEXT) | instid1(VALU_DEP_1)
	v_add_nc_u32_e32 v7, v5, v7
	v_lshrrev_b32_e32 v7, s6, v7
	s_delay_alu instid0(VALU_DEP_1) | instskip(NEXT) | instid1(VALU_DEP_1)
	v_mul_lo_u32 v7, v7, s4
	v_sub_nc_u32_e32 v5, v5, v7
	s_delay_alu instid0(VALU_DEP_1)
	v_mad_u32 v1, v5, s8, v1
	v_mad_u32 v3, v5, s9, v3
	;; [unrolled: 1-line block ×3, first 2 shown]
	s_and_not1_b32 vcc_lo, exec_lo, s2
	s_cbranch_vccz .LBB5_64
	s_branch .LBB5_67
.LBB5_61:
	s_endpgm
.LBB5_62:
	s_mov_b32 s2, -1
                                        ; implicit-def: $vgpr2
                                        ; implicit-def: $vgpr3
                                        ; implicit-def: $vgpr1
.LBB5_63:
	s_delay_alu instid0(SALU_CYCLE_1)
	s_and_not1_b32 vcc_lo, exec_lo, s2
	s_cbranch_vccnz .LBB5_67
.LBB5_64:
	s_clause 0x1
	s_load_b96 s[0:2], s[12:13], 0x4
	s_load_b96 s[4:6], s[12:13], 0xc4
	s_cmp_lt_u32 s26, 2
	s_wait_kmcnt 0x0
	v_mul_hi_u32 v1, s1, v0
	s_delay_alu instid0(VALU_DEP_1) | instskip(NEXT) | instid1(VALU_DEP_1)
	v_add_nc_u32_e32 v1, v0, v1
	v_lshrrev_b32_e32 v5, s2, v1
	s_delay_alu instid0(VALU_DEP_1) | instskip(NEXT) | instid1(VALU_DEP_1)
	v_mul_lo_u32 v1, v5, s0
	v_sub_nc_u32_e32 v3, v0, v1
	s_delay_alu instid0(VALU_DEP_1)
	v_mul_lo_u32 v1, v3, s4
	v_mul_lo_u32 v2, v3, s6
	;; [unrolled: 1-line block ×3, first 2 shown]
	s_cbranch_scc1 .LBB5_67
; %bb.65:
	s_clause 0x1
	s_load_b96 s[0:2], s[12:13], 0x10
	s_load_b96 s[4:6], s[12:13], 0xd0
	s_wait_kmcnt 0x0
	v_mul_hi_u32 v7, s1, v5
	s_delay_alu instid0(VALU_DEP_1) | instskip(NEXT) | instid1(VALU_DEP_1)
	v_add_nc_u32_e32 v7, v5, v7
	v_lshrrev_b32_e32 v7, s2, v7
	s_delay_alu instid0(VALU_DEP_1) | instskip(NEXT) | instid1(VALU_DEP_1)
	v_mul_lo_u32 v7, v7, s0
	v_sub_nc_u32_e32 v5, v5, v7
	s_delay_alu instid0(VALU_DEP_1)
	v_mad_u32 v1, v5, s4, v1
	v_mad_u32 v3, v5, s5, v3
	;; [unrolled: 1-line block ×3, first 2 shown]
	s_branch .LBB5_67
.LBB5_66:
	v_dual_mov_b32 v2, 0 :: v_dual_mov_b32 v3, 0
	v_mov_b32_e32 v1, 0
	s_and_not1_b32 vcc_lo, exec_lo, s2
	s_cbranch_vccz .LBB5_64
.LBB5_67:
	v_cmp_ne_u32_e32 vcc_lo, 1, v6
	v_add_nc_u32_e32 v9, 0x80, v0
	s_cbranch_vccnz .LBB5_73
; %bb.68:
	s_cmp_lg_u32 s26, 0
	s_mov_b32 s2, 0
	s_cbranch_scc0 .LBB5_77
; %bb.69:
	s_min_u32 s3, s27, 15
	v_dual_mov_b32 v5, 0 :: v_dual_mov_b32 v10, v9
	v_dual_mov_b32 v7, 0 :: v_dual_mov_b32 v8, 0
	s_add_co_i32 s4, s3, 1
	s_mov_b64 s[0:1], 0xffffffffffffffe8
	s_and_b32 s4, s4, 30
	s_add_nc_u64 s[0:1], s[12:13], s[0:1]
.LBB5_70:                               ; =>This Inner Loop Header: Depth=1
	s_clause 0x1
	s_load_b128 s[8:11], s[0:1], 0x1c
	s_load_b64 s[6:7], s[0:1], 0x2c
	s_add_co_i32 s4, s4, -2
	s_delay_alu instid0(SALU_CYCLE_1) | instskip(SKIP_2) | instid1(VALU_DEP_1)
	s_cmp_lg_u32 s4, 0
	s_wait_kmcnt 0x0
	v_mul_hi_u32 v11, s9, v10
	v_add_nc_u32_e32 v11, v10, v11
	s_delay_alu instid0(VALU_DEP_1) | instskip(NEXT) | instid1(VALU_DEP_1)
	v_lshrrev_b32_e32 v11, s10, v11
	v_mul_hi_u32 v12, s6, v11
	v_mul_lo_u32 v13, v11, s8
	s_clause 0x1
	s_load_b128 s[16:19], s[0:1], 0xdc
	s_load_b64 s[8:9], s[0:1], 0xec
	s_wait_xcnt 0x0
	s_add_nc_u64 s[0:1], s[0:1], 24
	s_delay_alu instid0(VALU_DEP_1) | instskip(NEXT) | instid1(VALU_DEP_1)
	v_dual_add_nc_u32 v12, v11, v12 :: v_dual_sub_nc_u32 v13, v10, v13
	v_lshrrev_b32_e32 v10, s7, v12
	s_wait_kmcnt 0x0
	s_delay_alu instid0(VALU_DEP_2) | instskip(NEXT) | instid1(VALU_DEP_2)
	v_mad_u32 v5, v13, s16, v5
	v_mul_lo_u32 v12, v10, s11
	v_mad_u32 v8, v13, s18, v8
	v_mad_u32 v7, v13, s17, v7
	s_delay_alu instid0(VALU_DEP_3) | instskip(NEXT) | instid1(VALU_DEP_1)
	v_sub_nc_u32_e32 v11, v11, v12
	v_mad_u32 v5, v11, s19, v5
	s_delay_alu instid0(VALU_DEP_4) | instskip(NEXT) | instid1(VALU_DEP_4)
	v_mad_u32 v8, v11, s9, v8
	v_mad_u32 v7, v11, s8, v7
	s_cbranch_scc1 .LBB5_70
; %bb.71:
	s_bitcmp1_b32 s3, 0
	s_cselect_b32 s3, -1, 0
	s_delay_alu instid0(SALU_CYCLE_1)
	s_and_b32 vcc_lo, exec_lo, s3
	s_cbranch_vccnz .LBB5_74
; %bb.72:
	s_clause 0x1
	s_load_b96 s[4:6], s[0:1], 0x1c
	s_load_b96 s[8:10], s[0:1], 0xdc
	s_wait_kmcnt 0x0
	v_mul_hi_u32 v11, s5, v10
	s_delay_alu instid0(VALU_DEP_1) | instskip(NEXT) | instid1(VALU_DEP_1)
	v_add_nc_u32_e32 v11, v10, v11
	v_lshrrev_b32_e32 v11, s6, v11
	s_delay_alu instid0(VALU_DEP_1) | instskip(NEXT) | instid1(VALU_DEP_1)
	v_mul_lo_u32 v11, v11, s4
	v_sub_nc_u32_e32 v10, v10, v11
	s_delay_alu instid0(VALU_DEP_1)
	v_mad_u32 v5, v10, s8, v5
	v_mad_u32 v7, v10, s9, v7
	v_mad_u32 v8, v10, s10, v8
	s_and_not1_b32 vcc_lo, exec_lo, s2
	s_cbranch_vccz .LBB5_75
	s_branch .LBB5_78
.LBB5_73:
	s_mov_b32 s2, -1
                                        ; implicit-def: $vgpr8
                                        ; implicit-def: $vgpr7
                                        ; implicit-def: $vgpr5
.LBB5_74:
	s_delay_alu instid0(SALU_CYCLE_1)
	s_and_not1_b32 vcc_lo, exec_lo, s2
	s_cbranch_vccnz .LBB5_78
.LBB5_75:
	s_clause 0x1
	s_load_b96 s[0:2], s[12:13], 0x4
	s_load_b96 s[4:6], s[12:13], 0xc4
	s_cmp_lt_u32 s26, 2
	s_wait_kmcnt 0x0
	v_mul_hi_u32 v5, s1, v9
	s_delay_alu instid0(VALU_DEP_1) | instskip(NEXT) | instid1(VALU_DEP_1)
	v_add_nc_u32_e32 v5, v9, v5
	v_lshrrev_b32_e32 v10, s2, v5
	s_delay_alu instid0(VALU_DEP_1) | instskip(NEXT) | instid1(VALU_DEP_1)
	v_mul_lo_u32 v5, v10, s0
	v_sub_nc_u32_e32 v7, v9, v5
	s_delay_alu instid0(VALU_DEP_1)
	v_mul_lo_u32 v5, v7, s4
	v_mul_lo_u32 v8, v7, s6
	;; [unrolled: 1-line block ×3, first 2 shown]
	s_cbranch_scc1 .LBB5_78
; %bb.76:
	s_clause 0x1
	s_load_b96 s[0:2], s[12:13], 0x10
	s_load_b96 s[4:6], s[12:13], 0xd0
	s_wait_kmcnt 0x0
	v_mul_hi_u32 v9, s1, v10
	s_delay_alu instid0(VALU_DEP_1) | instskip(NEXT) | instid1(VALU_DEP_1)
	v_add_nc_u32_e32 v9, v10, v9
	v_lshrrev_b32_e32 v9, s2, v9
	s_delay_alu instid0(VALU_DEP_1) | instskip(NEXT) | instid1(VALU_DEP_1)
	v_mul_lo_u32 v9, v9, s0
	v_sub_nc_u32_e32 v9, v10, v9
	s_delay_alu instid0(VALU_DEP_1)
	v_mad_u32 v5, v9, s4, v5
	v_mad_u32 v7, v9, s5, v7
	;; [unrolled: 1-line block ×3, first 2 shown]
	s_branch .LBB5_78
.LBB5_77:
	v_dual_mov_b32 v8, 0 :: v_dual_mov_b32 v7, 0
	v_mov_b32_e32 v5, 0
	s_and_not1_b32 vcc_lo, exec_lo, s2
	s_cbranch_vccz .LBB5_75
.LBB5_78:
	v_cmp_ne_u32_e32 vcc_lo, 1, v6
	v_add_nc_u32_e32 v11, 0x100, v0
	s_cbranch_vccnz .LBB5_84
; %bb.79:
	s_cmp_lg_u32 s26, 0
	s_mov_b32 s2, 0
	s_cbranch_scc0 .LBB5_88
; %bb.80:
	s_min_u32 s3, s27, 15
	v_dual_mov_b32 v0, 0 :: v_dual_mov_b32 v12, v11
	v_dual_mov_b32 v9, 0 :: v_dual_mov_b32 v10, 0
	s_add_co_i32 s4, s3, 1
	s_mov_b64 s[0:1], 0xffffffffffffffe8
	s_and_b32 s4, s4, 30
	s_add_nc_u64 s[0:1], s[12:13], s[0:1]
.LBB5_81:                               ; =>This Inner Loop Header: Depth=1
	s_clause 0x1
	s_load_b128 s[8:11], s[0:1], 0x1c
	s_load_b64 s[6:7], s[0:1], 0x2c
	s_add_co_i32 s4, s4, -2
	s_delay_alu instid0(SALU_CYCLE_1) | instskip(SKIP_2) | instid1(VALU_DEP_1)
	s_cmp_lg_u32 s4, 0
	s_wait_kmcnt 0x0
	v_mul_hi_u32 v13, s9, v12
	v_add_nc_u32_e32 v13, v12, v13
	s_delay_alu instid0(VALU_DEP_1) | instskip(NEXT) | instid1(VALU_DEP_1)
	v_lshrrev_b32_e32 v13, s10, v13
	v_mul_hi_u32 v14, s6, v13
	v_mul_lo_u32 v15, v13, s8
	s_clause 0x1
	s_load_b128 s[16:19], s[0:1], 0xdc
	s_load_b64 s[8:9], s[0:1], 0xec
	s_wait_xcnt 0x0
	s_add_nc_u64 s[0:1], s[0:1], 24
	s_delay_alu instid0(VALU_DEP_1) | instskip(NEXT) | instid1(VALU_DEP_1)
	v_dual_add_nc_u32 v14, v13, v14 :: v_dual_sub_nc_u32 v15, v12, v15
	v_lshrrev_b32_e32 v12, s7, v14
	s_wait_kmcnt 0x0
	s_delay_alu instid0(VALU_DEP_2) | instskip(NEXT) | instid1(VALU_DEP_2)
	v_mad_u32 v0, v15, s16, v0
	v_mul_lo_u32 v14, v12, s11
	v_mad_u32 v10, v15, s18, v10
	v_mad_u32 v9, v15, s17, v9
	s_delay_alu instid0(VALU_DEP_3) | instskip(NEXT) | instid1(VALU_DEP_1)
	v_sub_nc_u32_e32 v13, v13, v14
	v_mad_u32 v0, v13, s19, v0
	s_delay_alu instid0(VALU_DEP_4) | instskip(NEXT) | instid1(VALU_DEP_4)
	v_mad_u32 v10, v13, s9, v10
	v_mad_u32 v9, v13, s8, v9
	s_cbranch_scc1 .LBB5_81
; %bb.82:
	s_bitcmp1_b32 s3, 0
	s_cselect_b32 s3, -1, 0
	s_delay_alu instid0(SALU_CYCLE_1)
	s_and_b32 vcc_lo, exec_lo, s3
	s_cbranch_vccnz .LBB5_85
; %bb.83:
	s_clause 0x1
	s_load_b96 s[4:6], s[0:1], 0x1c
	s_load_b96 s[8:10], s[0:1], 0xdc
	s_wait_kmcnt 0x0
	v_mul_hi_u32 v13, s5, v12
	s_delay_alu instid0(VALU_DEP_1) | instskip(NEXT) | instid1(VALU_DEP_1)
	v_add_nc_u32_e32 v13, v12, v13
	v_lshrrev_b32_e32 v13, s6, v13
	s_delay_alu instid0(VALU_DEP_1) | instskip(NEXT) | instid1(VALU_DEP_1)
	v_mul_lo_u32 v13, v13, s4
	v_sub_nc_u32_e32 v12, v12, v13
	s_delay_alu instid0(VALU_DEP_1)
	v_mad_u32 v0, v12, s8, v0
	v_mad_u32 v9, v12, s9, v9
	;; [unrolled: 1-line block ×3, first 2 shown]
	s_and_not1_b32 vcc_lo, exec_lo, s2
	s_cbranch_vccz .LBB5_86
	s_branch .LBB5_89
.LBB5_84:
	s_mov_b32 s2, -1
                                        ; implicit-def: $vgpr10
                                        ; implicit-def: $vgpr9
                                        ; implicit-def: $vgpr0
.LBB5_85:
	s_delay_alu instid0(SALU_CYCLE_1)
	s_and_not1_b32 vcc_lo, exec_lo, s2
	s_cbranch_vccnz .LBB5_89
.LBB5_86:
	s_clause 0x1
	s_load_b96 s[0:2], s[12:13], 0x4
	s_load_b96 s[4:6], s[12:13], 0xc4
	s_cmp_lt_u32 s26, 2
	s_wait_kmcnt 0x0
	v_mul_hi_u32 v0, s1, v11
	s_delay_alu instid0(VALU_DEP_1) | instskip(NEXT) | instid1(VALU_DEP_1)
	v_add_nc_u32_e32 v0, v11, v0
	v_lshrrev_b32_e32 v12, s2, v0
	s_delay_alu instid0(VALU_DEP_1) | instskip(NEXT) | instid1(VALU_DEP_1)
	v_mul_lo_u32 v0, v12, s0
	v_sub_nc_u32_e32 v9, v11, v0
	s_delay_alu instid0(VALU_DEP_1)
	v_mul_lo_u32 v0, v9, s4
	v_mul_lo_u32 v10, v9, s6
	;; [unrolled: 1-line block ×3, first 2 shown]
	s_cbranch_scc1 .LBB5_89
; %bb.87:
	s_clause 0x1
	s_load_b96 s[0:2], s[12:13], 0x10
	s_load_b96 s[4:6], s[12:13], 0xd0
	s_wait_kmcnt 0x0
	v_mul_hi_u32 v11, s1, v12
	s_delay_alu instid0(VALU_DEP_1) | instskip(NEXT) | instid1(VALU_DEP_1)
	v_add_nc_u32_e32 v11, v12, v11
	v_lshrrev_b32_e32 v11, s2, v11
	s_delay_alu instid0(VALU_DEP_1) | instskip(NEXT) | instid1(VALU_DEP_1)
	v_mul_lo_u32 v11, v11, s0
	v_sub_nc_u32_e32 v11, v12, v11
	s_delay_alu instid0(VALU_DEP_1)
	v_mad_u32 v0, v11, s4, v0
	v_mad_u32 v9, v11, s5, v9
	v_mad_u32 v10, v11, s6, v10
	s_branch .LBB5_89
.LBB5_88:
	v_dual_mov_b32 v10, 0 :: v_dual_mov_b32 v9, 0
	v_mov_b32_e32 v0, 0
	s_and_not1_b32 vcc_lo, exec_lo, s2
	s_cbranch_vccz .LBB5_86
.LBB5_89:
	v_cmp_ne_u32_e32 vcc_lo, 1, v6
	s_cbranch_vccnz .LBB5_95
; %bb.90:
	s_cmp_lg_u32 s26, 0
	s_mov_b32 s2, 0
	s_cbranch_scc0 .LBB5_99
; %bb.91:
	s_min_u32 s3, s27, 15
	v_dual_mov_b32 v6, 0 :: v_dual_mov_b32 v13, v4
	v_dual_mov_b32 v12, 0 :: v_dual_mov_b32 v11, 0
	s_add_co_i32 s4, s3, 1
	s_mov_b64 s[0:1], 0xffffffffffffffe8
	s_and_b32 s4, s4, 30
	s_add_nc_u64 s[0:1], s[12:13], s[0:1]
.LBB5_92:                               ; =>This Inner Loop Header: Depth=1
	s_clause 0x1
	s_load_b128 s[8:11], s[0:1], 0x1c
	s_load_b64 s[6:7], s[0:1], 0x2c
	s_add_co_i32 s4, s4, -2
	s_delay_alu instid0(SALU_CYCLE_1) | instskip(SKIP_2) | instid1(VALU_DEP_1)
	s_cmp_lg_u32 s4, 0
	s_wait_kmcnt 0x0
	v_mul_hi_u32 v14, s9, v13
	v_add_nc_u32_e32 v14, v13, v14
	s_delay_alu instid0(VALU_DEP_1) | instskip(NEXT) | instid1(VALU_DEP_1)
	v_lshrrev_b32_e32 v14, s10, v14
	v_mul_hi_u32 v15, s6, v14
	v_mul_lo_u32 v16, v14, s8
	s_clause 0x1
	s_load_b128 s[16:19], s[0:1], 0xdc
	s_load_b64 s[8:9], s[0:1], 0xec
	s_wait_xcnt 0x0
	s_add_nc_u64 s[0:1], s[0:1], 24
	s_delay_alu instid0(VALU_DEP_1) | instskip(NEXT) | instid1(VALU_DEP_1)
	v_dual_add_nc_u32 v15, v14, v15 :: v_dual_sub_nc_u32 v16, v13, v16
	v_lshrrev_b32_e32 v13, s7, v15
	s_wait_kmcnt 0x0
	s_delay_alu instid0(VALU_DEP_2) | instskip(NEXT) | instid1(VALU_DEP_2)
	v_mad_u32 v6, v16, s16, v6
	v_mul_lo_u32 v15, v13, s11
	v_mad_u32 v11, v16, s18, v11
	v_mad_u32 v12, v16, s17, v12
	s_delay_alu instid0(VALU_DEP_3) | instskip(NEXT) | instid1(VALU_DEP_1)
	v_sub_nc_u32_e32 v14, v14, v15
	v_mad_u32 v6, v14, s19, v6
	s_delay_alu instid0(VALU_DEP_4) | instskip(NEXT) | instid1(VALU_DEP_4)
	v_mad_u32 v11, v14, s9, v11
	v_mad_u32 v12, v14, s8, v12
	s_cbranch_scc1 .LBB5_92
; %bb.93:
	s_bitcmp1_b32 s3, 0
	s_cselect_b32 s3, -1, 0
	s_delay_alu instid0(SALU_CYCLE_1)
	s_and_b32 vcc_lo, exec_lo, s3
	s_cbranch_vccnz .LBB5_96
; %bb.94:
	s_clause 0x1
	s_load_b96 s[4:6], s[0:1], 0x1c
	s_load_b96 s[8:10], s[0:1], 0xdc
	s_wait_kmcnt 0x0
	v_mul_hi_u32 v14, s5, v13
	s_delay_alu instid0(VALU_DEP_1) | instskip(NEXT) | instid1(VALU_DEP_1)
	v_add_nc_u32_e32 v14, v13, v14
	v_lshrrev_b32_e32 v14, s6, v14
	s_delay_alu instid0(VALU_DEP_1) | instskip(NEXT) | instid1(VALU_DEP_1)
	v_mul_lo_u32 v14, v14, s4
	v_sub_nc_u32_e32 v13, v13, v14
	s_delay_alu instid0(VALU_DEP_1)
	v_mad_u32 v6, v13, s8, v6
	v_mad_u32 v12, v13, s9, v12
	;; [unrolled: 1-line block ×3, first 2 shown]
	s_and_not1_b32 vcc_lo, exec_lo, s2
	s_cbranch_vccz .LBB5_97
	s_branch .LBB5_100
.LBB5_95:
	s_mov_b32 s2, -1
                                        ; implicit-def: $vgpr11
                                        ; implicit-def: $vgpr12
                                        ; implicit-def: $vgpr6
.LBB5_96:
	s_delay_alu instid0(SALU_CYCLE_1)
	s_and_not1_b32 vcc_lo, exec_lo, s2
	s_cbranch_vccnz .LBB5_100
.LBB5_97:
	s_clause 0x1
	s_load_b96 s[0:2], s[12:13], 0x4
	s_load_b96 s[4:6], s[12:13], 0xc4
	s_cmp_lt_u32 s26, 2
	s_wait_kmcnt 0x0
	v_mul_hi_u32 v6, s1, v4
	s_delay_alu instid0(VALU_DEP_1) | instskip(NEXT) | instid1(VALU_DEP_1)
	v_add_nc_u32_e32 v6, v4, v6
	v_lshrrev_b32_e32 v13, s2, v6
	s_delay_alu instid0(VALU_DEP_1) | instskip(NEXT) | instid1(VALU_DEP_1)
	v_mul_lo_u32 v6, v13, s0
	v_sub_nc_u32_e32 v4, v4, v6
	s_delay_alu instid0(VALU_DEP_1)
	v_mul_lo_u32 v6, v4, s4
	v_mul_lo_u32 v11, v4, s6
	;; [unrolled: 1-line block ×3, first 2 shown]
	s_cbranch_scc1 .LBB5_100
; %bb.98:
	s_clause 0x1
	s_load_b96 s[0:2], s[12:13], 0x10
	s_load_b96 s[4:6], s[12:13], 0xd0
	s_wait_kmcnt 0x0
	v_mul_hi_u32 v4, s1, v13
	s_delay_alu instid0(VALU_DEP_1) | instskip(NEXT) | instid1(VALU_DEP_1)
	v_add_nc_u32_e32 v4, v13, v4
	v_lshrrev_b32_e32 v4, s2, v4
	s_delay_alu instid0(VALU_DEP_1) | instskip(NEXT) | instid1(VALU_DEP_1)
	v_mul_lo_u32 v4, v4, s0
	v_sub_nc_u32_e32 v4, v13, v4
	s_delay_alu instid0(VALU_DEP_1)
	v_mad_u32 v6, v4, s4, v6
	v_mad_u32 v12, v4, s5, v12
	;; [unrolled: 1-line block ×3, first 2 shown]
	s_branch .LBB5_100
.LBB5_99:
	v_dual_mov_b32 v11, 0 :: v_dual_mov_b32 v12, 0
	v_mov_b32_e32 v6, 0
	s_and_not1_b32 vcc_lo, exec_lo, s2
	s_cbranch_vccz .LBB5_97
.LBB5_100:
	s_clause 0x1
	s_load_b128 s[4:7], s[12:13], 0x188
	s_load_b64 s[0:1], s[12:13], 0x198
	s_wait_kmcnt 0x0
	global_load_b64 v[14:15], v3, s[6:7]
	global_load_b64 v[16:17], v2, s[0:1]
	;; [unrolled: 1-line block ×8, first 2 shown]
	s_wait_loadcnt 0x7
	v_cmp_lt_f64_e32 vcc_lo, 0, v[14:15]
	s_wait_loadcnt 0x5
	s_wait_xcnt 0x0
	v_cmp_lt_f64_e64 s0, 0, v[18:19]
	s_wait_loadcnt 0x3
	v_cmp_lt_f64_e64 s1, 0, v[22:23]
	s_wait_loadcnt 0x1
	;; [unrolled: 2-line block ×3, first 2 shown]
	v_mul_f64_e32 v[12:13], v[26:27], v[28:29]
	s_delay_alu instid0(VALU_DEP_1) | instskip(NEXT) | instid1(VALU_DEP_1)
	v_dual_mul_f64 v[8:9], v[18:19], v[20:21] :: v_dual_cndmask_b32 v13, v13, v27, s2
	v_dual_mul_f64 v[2:3], v[14:15], v[16:17] :: v_dual_cndmask_b32 v9, v9, v19, s0
	s_delay_alu instid0(VALU_DEP_2) | instskip(NEXT) | instid1(VALU_DEP_2)
	v_dual_mul_f64 v[10:11], v[22:23], v[24:25] :: v_dual_cndmask_b32 v8, v8, v18, s0
	v_dual_cndmask_b32 v12, v12, v26, s2 :: v_dual_cndmask_b32 v3, v3, v15, vcc_lo
	s_delay_alu instid0(VALU_DEP_2) | instskip(NEXT) | instid1(VALU_DEP_3)
	v_dual_cndmask_b32 v2, v2, v14, vcc_lo :: v_dual_cndmask_b32 v11, v11, v23, s1
	v_cndmask_b32_e64 v10, v10, v22, s1
	s_clause 0x3
	global_store_b64 v1, v[2:3], s[4:5]
	global_store_b64 v5, v[8:9], s[4:5]
	;; [unrolled: 1-line block ×4, first 2 shown]
	s_endpgm
	.section	.rodata,"a",@progbits
	.p2align	6, 0x0
	.amdhsa_kernel _ZN2at6native32elementwise_kernel_manual_unrollILi128ELi4EZNS0_22gpu_kernel_impl_nocastIZZZNS0_12prelu_kernelERNS_14TensorIteratorEENKUlvE_clEvENKUlvE_clEvEUlddE_EEvRNS_18TensorIteratorBaseERKT_EUlibE_EEviT1_
		.amdhsa_group_segment_fixed_size 0
		.amdhsa_private_segment_fixed_size 0
		.amdhsa_kernarg_size 432
		.amdhsa_user_sgpr_count 2
		.amdhsa_user_sgpr_dispatch_ptr 0
		.amdhsa_user_sgpr_queue_ptr 0
		.amdhsa_user_sgpr_kernarg_segment_ptr 1
		.amdhsa_user_sgpr_dispatch_id 0
		.amdhsa_user_sgpr_kernarg_preload_length 0
		.amdhsa_user_sgpr_kernarg_preload_offset 0
		.amdhsa_user_sgpr_private_segment_size 0
		.amdhsa_wavefront_size32 1
		.amdhsa_uses_dynamic_stack 0
		.amdhsa_enable_private_segment 0
		.amdhsa_system_sgpr_workgroup_id_x 1
		.amdhsa_system_sgpr_workgroup_id_y 0
		.amdhsa_system_sgpr_workgroup_id_z 0
		.amdhsa_system_sgpr_workgroup_info 0
		.amdhsa_system_vgpr_workitem_id 0
		.amdhsa_next_free_vgpr 30
		.amdhsa_next_free_sgpr 46
		.amdhsa_named_barrier_count 0
		.amdhsa_reserve_vcc 1
		.amdhsa_float_round_mode_32 0
		.amdhsa_float_round_mode_16_64 0
		.amdhsa_float_denorm_mode_32 3
		.amdhsa_float_denorm_mode_16_64 3
		.amdhsa_fp16_overflow 0
		.amdhsa_memory_ordered 1
		.amdhsa_forward_progress 1
		.amdhsa_inst_pref_size 44
		.amdhsa_round_robin_scheduling 0
		.amdhsa_exception_fp_ieee_invalid_op 0
		.amdhsa_exception_fp_denorm_src 0
		.amdhsa_exception_fp_ieee_div_zero 0
		.amdhsa_exception_fp_ieee_overflow 0
		.amdhsa_exception_fp_ieee_underflow 0
		.amdhsa_exception_fp_ieee_inexact 0
		.amdhsa_exception_int_div_zero 0
	.end_amdhsa_kernel
	.section	.text._ZN2at6native32elementwise_kernel_manual_unrollILi128ELi4EZNS0_22gpu_kernel_impl_nocastIZZZNS0_12prelu_kernelERNS_14TensorIteratorEENKUlvE_clEvENKUlvE_clEvEUlddE_EEvRNS_18TensorIteratorBaseERKT_EUlibE_EEviT1_,"axG",@progbits,_ZN2at6native32elementwise_kernel_manual_unrollILi128ELi4EZNS0_22gpu_kernel_impl_nocastIZZZNS0_12prelu_kernelERNS_14TensorIteratorEENKUlvE_clEvENKUlvE_clEvEUlddE_EEvRNS_18TensorIteratorBaseERKT_EUlibE_EEviT1_,comdat
.Lfunc_end5:
	.size	_ZN2at6native32elementwise_kernel_manual_unrollILi128ELi4EZNS0_22gpu_kernel_impl_nocastIZZZNS0_12prelu_kernelERNS_14TensorIteratorEENKUlvE_clEvENKUlvE_clEvEUlddE_EEvRNS_18TensorIteratorBaseERKT_EUlibE_EEviT1_, .Lfunc_end5-_ZN2at6native32elementwise_kernel_manual_unrollILi128ELi4EZNS0_22gpu_kernel_impl_nocastIZZZNS0_12prelu_kernelERNS_14TensorIteratorEENKUlvE_clEvENKUlvE_clEvEUlddE_EEvRNS_18TensorIteratorBaseERKT_EUlibE_EEviT1_
                                        ; -- End function
	.set _ZN2at6native32elementwise_kernel_manual_unrollILi128ELi4EZNS0_22gpu_kernel_impl_nocastIZZZNS0_12prelu_kernelERNS_14TensorIteratorEENKUlvE_clEvENKUlvE_clEvEUlddE_EEvRNS_18TensorIteratorBaseERKT_EUlibE_EEviT1_.num_vgpr, 30
	.set _ZN2at6native32elementwise_kernel_manual_unrollILi128ELi4EZNS0_22gpu_kernel_impl_nocastIZZZNS0_12prelu_kernelERNS_14TensorIteratorEENKUlvE_clEvENKUlvE_clEvEUlddE_EEvRNS_18TensorIteratorBaseERKT_EUlibE_EEviT1_.num_agpr, 0
	.set _ZN2at6native32elementwise_kernel_manual_unrollILi128ELi4EZNS0_22gpu_kernel_impl_nocastIZZZNS0_12prelu_kernelERNS_14TensorIteratorEENKUlvE_clEvENKUlvE_clEvEUlddE_EEvRNS_18TensorIteratorBaseERKT_EUlibE_EEviT1_.numbered_sgpr, 46
	.set _ZN2at6native32elementwise_kernel_manual_unrollILi128ELi4EZNS0_22gpu_kernel_impl_nocastIZZZNS0_12prelu_kernelERNS_14TensorIteratorEENKUlvE_clEvENKUlvE_clEvEUlddE_EEvRNS_18TensorIteratorBaseERKT_EUlibE_EEviT1_.num_named_barrier, 0
	.set _ZN2at6native32elementwise_kernel_manual_unrollILi128ELi4EZNS0_22gpu_kernel_impl_nocastIZZZNS0_12prelu_kernelERNS_14TensorIteratorEENKUlvE_clEvENKUlvE_clEvEUlddE_EEvRNS_18TensorIteratorBaseERKT_EUlibE_EEviT1_.private_seg_size, 0
	.set _ZN2at6native32elementwise_kernel_manual_unrollILi128ELi4EZNS0_22gpu_kernel_impl_nocastIZZZNS0_12prelu_kernelERNS_14TensorIteratorEENKUlvE_clEvENKUlvE_clEvEUlddE_EEvRNS_18TensorIteratorBaseERKT_EUlibE_EEviT1_.uses_vcc, 1
	.set _ZN2at6native32elementwise_kernel_manual_unrollILi128ELi4EZNS0_22gpu_kernel_impl_nocastIZZZNS0_12prelu_kernelERNS_14TensorIteratorEENKUlvE_clEvENKUlvE_clEvEUlddE_EEvRNS_18TensorIteratorBaseERKT_EUlibE_EEviT1_.uses_flat_scratch, 0
	.set _ZN2at6native32elementwise_kernel_manual_unrollILi128ELi4EZNS0_22gpu_kernel_impl_nocastIZZZNS0_12prelu_kernelERNS_14TensorIteratorEENKUlvE_clEvENKUlvE_clEvEUlddE_EEvRNS_18TensorIteratorBaseERKT_EUlibE_EEviT1_.has_dyn_sized_stack, 0
	.set _ZN2at6native32elementwise_kernel_manual_unrollILi128ELi4EZNS0_22gpu_kernel_impl_nocastIZZZNS0_12prelu_kernelERNS_14TensorIteratorEENKUlvE_clEvENKUlvE_clEvEUlddE_EEvRNS_18TensorIteratorBaseERKT_EUlibE_EEviT1_.has_recursion, 0
	.set _ZN2at6native32elementwise_kernel_manual_unrollILi128ELi4EZNS0_22gpu_kernel_impl_nocastIZZZNS0_12prelu_kernelERNS_14TensorIteratorEENKUlvE_clEvENKUlvE_clEvEUlddE_EEvRNS_18TensorIteratorBaseERKT_EUlibE_EEviT1_.has_indirect_call, 0
	.section	.AMDGPU.csdata,"",@progbits
; Kernel info:
; codeLenInByte = 5528
; TotalNumSgprs: 48
; NumVgprs: 30
; ScratchSize: 0
; MemoryBound: 0
; FloatMode: 240
; IeeeMode: 1
; LDSByteSize: 0 bytes/workgroup (compile time only)
; SGPRBlocks: 0
; VGPRBlocks: 1
; NumSGPRsForWavesPerEU: 48
; NumVGPRsForWavesPerEU: 30
; NamedBarCnt: 0
; Occupancy: 16
; WaveLimiterHint : 1
; COMPUTE_PGM_RSRC2:SCRATCH_EN: 0
; COMPUTE_PGM_RSRC2:USER_SGPR: 2
; COMPUTE_PGM_RSRC2:TRAP_HANDLER: 0
; COMPUTE_PGM_RSRC2:TGID_X_EN: 1
; COMPUTE_PGM_RSRC2:TGID_Y_EN: 0
; COMPUTE_PGM_RSRC2:TGID_Z_EN: 0
; COMPUTE_PGM_RSRC2:TIDIG_COMP_CNT: 0
	.section	.text._ZN2at6native32elementwise_kernel_manual_unrollILi128ELi4EZNS0_15gpu_kernel_implIZZZNS0_12prelu_kernelERNS_14TensorIteratorEENKUlvE_clEvENKUlvE_clEvEUlddE_EEvRNS_18TensorIteratorBaseERKT_EUlibE_EEviT1_,"axG",@progbits,_ZN2at6native32elementwise_kernel_manual_unrollILi128ELi4EZNS0_15gpu_kernel_implIZZZNS0_12prelu_kernelERNS_14TensorIteratorEENKUlvE_clEvENKUlvE_clEvEUlddE_EEvRNS_18TensorIteratorBaseERKT_EUlibE_EEviT1_,comdat
	.globl	_ZN2at6native32elementwise_kernel_manual_unrollILi128ELi4EZNS0_15gpu_kernel_implIZZZNS0_12prelu_kernelERNS_14TensorIteratorEENKUlvE_clEvENKUlvE_clEvEUlddE_EEvRNS_18TensorIteratorBaseERKT_EUlibE_EEviT1_ ; -- Begin function _ZN2at6native32elementwise_kernel_manual_unrollILi128ELi4EZNS0_15gpu_kernel_implIZZZNS0_12prelu_kernelERNS_14TensorIteratorEENKUlvE_clEvENKUlvE_clEvEUlddE_EEvRNS_18TensorIteratorBaseERKT_EUlibE_EEviT1_
	.p2align	8
	.type	_ZN2at6native32elementwise_kernel_manual_unrollILi128ELi4EZNS0_15gpu_kernel_implIZZZNS0_12prelu_kernelERNS_14TensorIteratorEENKUlvE_clEvENKUlvE_clEvEUlddE_EEvRNS_18TensorIteratorBaseERKT_EUlibE_EEviT1_,@function
_ZN2at6native32elementwise_kernel_manual_unrollILi128ELi4EZNS0_15gpu_kernel_implIZZZNS0_12prelu_kernelERNS_14TensorIteratorEENKUlvE_clEvENKUlvE_clEvEUlddE_EEvRNS_18TensorIteratorBaseERKT_EUlibE_EEviT1_: ; @_ZN2at6native32elementwise_kernel_manual_unrollILi128ELi4EZNS0_15gpu_kernel_implIZZZNS0_12prelu_kernelERNS_14TensorIteratorEENKUlvE_clEvENKUlvE_clEvEUlddE_EEvRNS_18TensorIteratorBaseERKT_EUlibE_EEviT1_
; %bb.0:
	v_mov_b32_e32 v1, 0
	s_bfe_u32 s4, ttmp6, 0x4000c
	s_load_b32 s16, s[0:1], 0x0
	s_add_co_i32 s13, s4, 1
	s_load_b128 s[4:7], s[0:1], 0x8
	s_clause 0x1
	global_load_u16 v2, v1, s[0:1] offset:45
	global_load_i8 v3, v1, s[0:1] offset:47
	s_clause 0x1
	s_load_b64 s[2:3], s[0:1], 0x18
	s_load_b96 s[8:10], s[0:1], 0x20
	s_and_b32 s12, ttmp6, 15
	s_wait_xcnt 0x0
	s_mul_i32 s0, ttmp9, s13
	s_getreg_b32 s14, hwreg(HW_REG_IB_STS2, 6, 4)
	s_add_co_i32 s12, s12, s0
	s_mov_b32 s15, 0
	s_wait_loadcnt 0x1
	v_readfirstlane_b32 s11, v2
	s_wait_loadcnt 0x0
	v_readfirstlane_b32 s1, v3
	s_lshr_b32 s13, s11, 8
	s_cmp_eq_u32 s14, 0
	s_cselect_b32 s0, ttmp9, s12
	s_mov_b32 s12, 0
	v_lshl_or_b32 v18, s0, 9, v0
	s_mov_b32 s0, exec_lo
	s_delay_alu instid0(VALU_DEP_1) | instskip(SKIP_1) | instid1(VALU_DEP_1)
	v_or_b32_e32 v0, 0x180, v18
	s_wait_kmcnt 0x0
	v_cmpx_le_i32_e64 s16, v0
	s_xor_b32 s14, exec_lo, s0
	s_cbranch_execz .LBB6_1547
; %bb.1:
	s_mov_b32 s23, -1
	s_mov_b32 s20, 0
	s_mov_b32 s18, 0
	;; [unrolled: 1-line block ×3, first 2 shown]
	s_mov_b32 s19, exec_lo
	v_cmpx_gt_i32_e64 s16, v18
	s_cbranch_execz .LBB6_382
; %bb.2:
	v_mul_lo_u32 v0, v18, s9
	s_and_b32 s0, s13, 0xff
	s_delay_alu instid0(SALU_CYCLE_1) | instskip(NEXT) | instid1(VALU_DEP_1)
	s_cmp_lt_i32 s0, 11
	v_ashrrev_i32_e32 v1, 31, v0
	s_delay_alu instid0(VALU_DEP_1)
	v_add_nc_u64_e32 v[2:3], s[6:7], v[0:1]
	s_cbranch_scc1 .LBB6_9
; %bb.3:
	s_and_b32 s15, 0xffff, s0
	s_delay_alu instid0(SALU_CYCLE_1)
	s_cmp_gt_i32 s15, 25
	s_cbranch_scc0 .LBB6_18
; %bb.4:
	s_cmp_gt_i32 s15, 28
	s_cbranch_scc0 .LBB6_28
; %bb.5:
	s_cmp_gt_i32 s15, 43
	s_cbranch_scc0 .LBB6_31
; %bb.6:
	s_cmp_gt_i32 s15, 45
	s_cbranch_scc0 .LBB6_34
; %bb.7:
	s_cmp_eq_u32 s15, 46
	s_mov_b32 s21, 0
	s_cbranch_scc0 .LBB6_37
; %bb.8:
	global_load_b32 v0, v[2:3], off
	s_mov_b32 s17, -1
	s_wait_loadcnt 0x0
	v_lshlrev_b32_e32 v0, 16, v0
	s_delay_alu instid0(VALU_DEP_1)
	v_cvt_f64_f32_e32 v[0:1], v0
	s_branch .LBB6_39
.LBB6_9:
                                        ; implicit-def: $vgpr0_vgpr1
	s_cbranch_execnz .LBB6_105
.LBB6_10:
	s_and_not1_b32 vcc_lo, exec_lo, s17
	s_cbranch_vccnz .LBB6_152
.LBB6_11:
	s_wait_xcnt 0x0
	v_mul_lo_u32 v2, v18, s10
	s_and_b32 s0, s1, 0xff
	s_delay_alu instid0(SALU_CYCLE_1) | instskip(NEXT) | instid1(VALU_DEP_1)
	s_cmp_lt_i32 s0, 11
	v_ashrrev_i32_e32 v3, 31, v2
	s_delay_alu instid0(VALU_DEP_1)
	v_add_nc_u64_e32 v[2:3], s[2:3], v[2:3]
	s_cbranch_scc1 .LBB6_19
; %bb.12:
	s_and_b32 s15, 0xffff, s0
	s_delay_alu instid0(SALU_CYCLE_1)
	s_cmp_gt_i32 s15, 25
	s_cbranch_scc0 .LBB6_29
; %bb.13:
	s_cmp_gt_i32 s15, 28
	s_cbranch_scc0 .LBB6_32
; %bb.14:
	;; [unrolled: 3-line block ×4, first 2 shown]
	s_cmp_eq_u32 s15, 46
	s_mov_b32 s22, 0
	s_cbranch_scc0 .LBB6_153
; %bb.17:
	global_load_b32 v4, v[2:3], off
	s_mov_b32 s21, -1
	s_mov_b32 s17, 0
	s_wait_loadcnt 0x0
	v_lshlrev_b32_e32 v4, 16, v4
	s_delay_alu instid0(VALU_DEP_1)
	v_cvt_f64_f32_e32 v[4:5], v4
	s_branch .LBB6_155
.LBB6_18:
                                        ; implicit-def: $vgpr0_vgpr1
	s_cbranch_execnz .LBB6_70
	s_branch .LBB6_104
.LBB6_19:
	s_mov_b32 s17, 0
	s_mov_b32 s21, 0
                                        ; implicit-def: $vgpr4_vgpr5
	s_cbranch_execnz .LBB6_331
.LBB6_20:
	s_and_not1_b32 vcc_lo, exec_lo, s21
	s_cbranch_vccnz .LBB6_379
.LBB6_21:
	s_wait_loadcnt 0x0
	s_delay_alu instid0(VALU_DEP_1) | instskip(SKIP_3) | instid1(SALU_CYCLE_1)
	v_mul_f64_e32 v[2:3], v[0:1], v[4:5]
	v_cmp_lt_f64_e32 vcc_lo, 0, v[0:1]
	v_mul_lo_u32 v4, v18, s8
	s_and_b32 s15, s11, 0xff
	s_cmp_lt_i32 s15, 11
	s_delay_alu instid0(VALU_DEP_1) | instskip(NEXT) | instid1(VALU_DEP_1)
	v_dual_ashrrev_i32 v5, 31, v4 :: v_dual_cndmask_b32 v1, v3, v1, vcc_lo
	v_add_nc_u64_e32 v[4:5], s[4:5], v[4:5]
	v_cndmask_b32_e32 v0, v2, v0, vcc_lo
	s_cbranch_scc1 .LBB6_30
; %bb.22:
	s_and_b32 s21, 0xffff, s15
	s_delay_alu instid0(SALU_CYCLE_1)
	s_cmp_gt_i32 s21, 25
	s_cbranch_scc0 .LBB6_33
; %bb.23:
	s_cmp_gt_i32 s21, 28
	s_cbranch_scc0 .LBB6_36
; %bb.24:
	;; [unrolled: 3-line block ×4, first 2 shown]
	s_mov_b32 s23, 0
	s_mov_b32 s0, -1
	s_cmp_eq_u32 s21, 46
	s_mov_b32 s22, 0
	s_cbranch_scc0 .LBB6_159
; %bb.27:
	v_cvt_f32_f64_e32 v2, v[0:1]
	s_mov_b32 s22, -1
	s_mov_b32 s0, 0
	s_delay_alu instid0(VALU_DEP_1) | instskip(SKIP_1) | instid1(VALU_DEP_2)
	v_bfe_u32 v3, v2, 16, 1
	v_cmp_o_f32_e32 vcc_lo, v2, v2
	v_add3_u32 v3, v2, v3, 0x7fff
	s_delay_alu instid0(VALU_DEP_1) | instskip(NEXT) | instid1(VALU_DEP_1)
	v_lshrrev_b32_e32 v3, 16, v3
	v_cndmask_b32_e32 v2, 0x7fc0, v3, vcc_lo
	global_store_b32 v[4:5], v2, off
	s_branch .LBB6_159
.LBB6_28:
	s_mov_b32 s21, -1
                                        ; implicit-def: $vgpr0_vgpr1
	s_branch .LBB6_51
.LBB6_29:
	s_mov_b32 s22, -1
	s_mov_b32 s17, 0
	s_mov_b32 s21, 0
                                        ; implicit-def: $vgpr4_vgpr5
	s_branch .LBB6_295
.LBB6_30:
	s_mov_b32 s21, -1
	s_mov_b32 s0, 0
	s_mov_b32 s22, 0
	s_branch .LBB6_228
.LBB6_31:
	s_mov_b32 s21, -1
                                        ; implicit-def: $vgpr0_vgpr1
	s_branch .LBB6_46
.LBB6_32:
	s_mov_b32 s22, -1
	s_mov_b32 s17, 0
	s_mov_b32 s21, 0
                                        ; implicit-def: $vgpr4_vgpr5
	s_branch .LBB6_276
.LBB6_33:
	s_mov_b32 s23, -1
	s_mov_b32 s0, 0
	s_mov_b32 s22, 0
	s_branch .LBB6_186
.LBB6_34:
	s_mov_b32 s21, -1
	s_branch .LBB6_38
.LBB6_35:
	s_mov_b32 s22, -1
	s_mov_b32 s17, 0
	s_mov_b32 s21, 0
                                        ; implicit-def: $vgpr4_vgpr5
	s_branch .LBB6_271
.LBB6_36:
	s_mov_b32 s23, -1
	s_mov_b32 s0, 0
	s_mov_b32 s22, 0
	s_branch .LBB6_169
.LBB6_37:
	s_mov_b32 s18, -1
.LBB6_38:
                                        ; implicit-def: $vgpr0_vgpr1
.LBB6_39:
	s_and_b32 vcc_lo, exec_lo, s21
	s_cbranch_vccz .LBB6_45
; %bb.40:
	s_cmp_eq_u32 s15, 44
	s_cbranch_scc0 .LBB6_44
; %bb.41:
	global_load_u8 v4, v[2:3], off
	s_mov_b32 s18, 0
	s_mov_b32 s17, -1
	s_wait_loadcnt 0x0
	v_cmp_ne_u32_e32 vcc_lo, 0xff, v4
	v_lshlrev_b32_e32 v0, 23, v4
	s_delay_alu instid0(VALU_DEP_1) | instskip(NEXT) | instid1(VALU_DEP_1)
	v_cvt_f64_f32_e32 v[0:1], v0
	v_cndmask_b32_e32 v0, 0x20000000, v0, vcc_lo
	s_delay_alu instid0(VALU_DEP_2) | instskip(SKIP_1) | instid1(VALU_DEP_2)
	v_cndmask_b32_e32 v1, 0x7ff80000, v1, vcc_lo
	v_cmp_ne_u32_e32 vcc_lo, 0, v4
	v_cndmask_b32_e32 v1, 0x38000000, v1, vcc_lo
	s_delay_alu instid0(VALU_DEP_4)
	v_cndmask_b32_e32 v0, 0, v0, vcc_lo
	s_branch .LBB6_45
.LBB6_42:
	s_mov_b32 s22, -1
	s_mov_b32 s17, 0
	s_branch .LBB6_154
.LBB6_43:
	s_mov_b32 s23, -1
	s_mov_b32 s0, 0
	s_mov_b32 s22, 0
	s_branch .LBB6_165
.LBB6_44:
	s_mov_b32 s18, -1
                                        ; implicit-def: $vgpr0_vgpr1
.LBB6_45:
	s_mov_b32 s21, 0
.LBB6_46:
	s_delay_alu instid0(SALU_CYCLE_1)
	s_and_b32 vcc_lo, exec_lo, s21
	s_cbranch_vccz .LBB6_50
; %bb.47:
	s_cmp_eq_u32 s15, 29
	s_cbranch_scc0 .LBB6_49
; %bb.48:
	global_load_b64 v[0:1], v[2:3], off
	s_mov_b32 s17, -1
	s_mov_b32 s18, 0
	s_mov_b32 s21, 0
	s_wait_loadcnt 0x0
	v_cvt_f64_u32_e32 v[4:5], v1
	v_cvt_f64_u32_e32 v[0:1], v0
	s_delay_alu instid0(VALU_DEP_2) | instskip(NEXT) | instid1(VALU_DEP_1)
	v_ldexp_f64 v[4:5], v[4:5], 32
	v_add_f64_e32 v[0:1], v[4:5], v[0:1]
	s_branch .LBB6_51
.LBB6_49:
	s_mov_b32 s18, -1
                                        ; implicit-def: $vgpr0_vgpr1
.LBB6_50:
	s_mov_b32 s21, 0
.LBB6_51:
	s_delay_alu instid0(SALU_CYCLE_1)
	s_and_b32 vcc_lo, exec_lo, s21
	s_cbranch_vccz .LBB6_69
; %bb.52:
	s_cmp_lt_i32 s15, 27
	s_cbranch_scc1 .LBB6_55
; %bb.53:
	s_cmp_gt_i32 s15, 27
	s_cbranch_scc0 .LBB6_56
; %bb.54:
	global_load_b32 v0, v[2:3], off
	s_mov_b32 s17, 0
	s_wait_loadcnt 0x0
	v_cvt_f64_u32_e32 v[0:1], v0
	s_branch .LBB6_57
.LBB6_55:
	s_mov_b32 s17, -1
                                        ; implicit-def: $vgpr0_vgpr1
	s_branch .LBB6_60
.LBB6_56:
	s_mov_b32 s17, -1
                                        ; implicit-def: $vgpr0_vgpr1
.LBB6_57:
	s_delay_alu instid0(SALU_CYCLE_1)
	s_and_not1_b32 vcc_lo, exec_lo, s17
	s_cbranch_vccnz .LBB6_59
; %bb.58:
	global_load_u16 v0, v[2:3], off
	s_wait_loadcnt 0x0
	v_cvt_f64_u32_e32 v[0:1], v0
.LBB6_59:
	s_mov_b32 s17, 0
.LBB6_60:
	s_delay_alu instid0(SALU_CYCLE_1)
	s_and_not1_b32 vcc_lo, exec_lo, s17
	s_cbranch_vccnz .LBB6_68
; %bb.61:
	global_load_u8 v4, v[2:3], off
	s_mov_b32 s17, 0
	s_mov_b32 s21, exec_lo
	s_wait_loadcnt 0x0
	v_cmpx_lt_i16_e32 0x7f, v4
	s_xor_b32 s21, exec_lo, s21
	s_cbranch_execz .LBB6_81
; %bb.62:
	s_mov_b32 s17, -1
	s_mov_b32 s22, exec_lo
	v_cmpx_eq_u16_e32 0x80, v4
; %bb.63:
	s_xor_b32 s17, exec_lo, -1
; %bb.64:
	s_or_b32 exec_lo, exec_lo, s22
	s_delay_alu instid0(SALU_CYCLE_1)
	s_and_b32 s17, s17, exec_lo
	s_or_saveexec_b32 s21, s21
	v_mov_b64_e32 v[0:1], 0x7ff8000020000000
	s_xor_b32 exec_lo, exec_lo, s21
	s_cbranch_execnz .LBB6_82
.LBB6_65:
	s_or_b32 exec_lo, exec_lo, s21
	s_and_saveexec_b32 s21, s17
	s_cbranch_execz .LBB6_67
.LBB6_66:
	v_and_b32_e32 v0, 0xffff, v4
	s_delay_alu instid0(VALU_DEP_1) | instskip(SKIP_1) | instid1(VALU_DEP_2)
	v_and_b32_e32 v1, 7, v0
	v_bfe_u32 v7, v0, 3, 4
	v_clz_i32_u32_e32 v5, v1
	s_delay_alu instid0(VALU_DEP_2) | instskip(NEXT) | instid1(VALU_DEP_2)
	v_cmp_eq_u32_e32 vcc_lo, 0, v7
	v_min_u32_e32 v5, 32, v5
	s_delay_alu instid0(VALU_DEP_1) | instskip(NEXT) | instid1(VALU_DEP_1)
	v_subrev_nc_u32_e32 v6, 28, v5
	v_dual_lshlrev_b32 v0, v6, v0 :: v_dual_sub_nc_u32 v5, 29, v5
	s_delay_alu instid0(VALU_DEP_1) | instskip(NEXT) | instid1(VALU_DEP_2)
	v_and_b32_e32 v0, 7, v0
	v_dual_cndmask_b32 v5, v7, v5 :: v_dual_lshlrev_b32 v4, 24, v4
	s_delay_alu instid0(VALU_DEP_2) | instskip(NEXT) | instid1(VALU_DEP_2)
	v_cndmask_b32_e32 v0, v1, v0, vcc_lo
	v_and_b32_e32 v1, 0x80000000, v4
	s_delay_alu instid0(VALU_DEP_3) | instskip(NEXT) | instid1(VALU_DEP_3)
	v_lshl_add_u32 v4, v5, 23, 0x3b800000
	v_lshlrev_b32_e32 v0, 20, v0
	s_delay_alu instid0(VALU_DEP_1) | instskip(NEXT) | instid1(VALU_DEP_1)
	v_or3_b32 v0, v1, v4, v0
	v_cvt_f64_f32_e32 v[0:1], v0
.LBB6_67:
	s_or_b32 exec_lo, exec_lo, s21
.LBB6_68:
	s_mov_b32 s17, -1
.LBB6_69:
	s_branch .LBB6_104
.LBB6_70:
	s_cmp_gt_i32 s15, 22
	s_cbranch_scc0 .LBB6_80
; %bb.71:
	s_cmp_lt_i32 s15, 24
	s_cbranch_scc1 .LBB6_83
; %bb.72:
	s_cmp_gt_i32 s15, 24
	s_cbranch_scc0 .LBB6_84
; %bb.73:
	global_load_u8 v4, v[2:3], off
	s_mov_b32 s17, 0
	s_mov_b32 s21, exec_lo
	s_wait_loadcnt 0x0
	v_cmpx_lt_i16_e32 0x7f, v4
	s_xor_b32 s21, exec_lo, s21
	s_cbranch_execz .LBB6_96
; %bb.74:
	s_mov_b32 s17, -1
	s_mov_b32 s22, exec_lo
	v_cmpx_eq_u16_e32 0x80, v4
; %bb.75:
	s_xor_b32 s17, exec_lo, -1
; %bb.76:
	s_or_b32 exec_lo, exec_lo, s22
	s_delay_alu instid0(SALU_CYCLE_1)
	s_and_b32 s17, s17, exec_lo
	s_or_saveexec_b32 s21, s21
	v_mov_b64_e32 v[0:1], 0x7ff8000020000000
	s_xor_b32 exec_lo, exec_lo, s21
	s_cbranch_execnz .LBB6_97
.LBB6_77:
	s_or_b32 exec_lo, exec_lo, s21
	s_and_saveexec_b32 s21, s17
	s_cbranch_execz .LBB6_79
.LBB6_78:
	v_and_b32_e32 v0, 0xffff, v4
	s_delay_alu instid0(VALU_DEP_1) | instskip(SKIP_1) | instid1(VALU_DEP_2)
	v_and_b32_e32 v1, 3, v0
	v_bfe_u32 v7, v0, 2, 5
	v_clz_i32_u32_e32 v5, v1
	s_delay_alu instid0(VALU_DEP_2) | instskip(NEXT) | instid1(VALU_DEP_2)
	v_cmp_eq_u32_e32 vcc_lo, 0, v7
	v_min_u32_e32 v5, 32, v5
	s_delay_alu instid0(VALU_DEP_1) | instskip(NEXT) | instid1(VALU_DEP_1)
	v_subrev_nc_u32_e32 v6, 29, v5
	v_dual_lshlrev_b32 v0, v6, v0 :: v_dual_sub_nc_u32 v5, 30, v5
	s_delay_alu instid0(VALU_DEP_1) | instskip(NEXT) | instid1(VALU_DEP_2)
	v_and_b32_e32 v0, 3, v0
	v_dual_cndmask_b32 v5, v7, v5 :: v_dual_lshlrev_b32 v4, 24, v4
	s_delay_alu instid0(VALU_DEP_2) | instskip(NEXT) | instid1(VALU_DEP_2)
	v_cndmask_b32_e32 v0, v1, v0, vcc_lo
	v_and_b32_e32 v1, 0x80000000, v4
	s_delay_alu instid0(VALU_DEP_3) | instskip(NEXT) | instid1(VALU_DEP_3)
	v_lshl_add_u32 v4, v5, 23, 0x37800000
	v_lshlrev_b32_e32 v0, 21, v0
	s_delay_alu instid0(VALU_DEP_1) | instskip(NEXT) | instid1(VALU_DEP_1)
	v_or3_b32 v0, v1, v4, v0
	v_cvt_f64_f32_e32 v[0:1], v0
.LBB6_79:
	s_or_b32 exec_lo, exec_lo, s21
	s_mov_b32 s17, 0
	s_branch .LBB6_85
.LBB6_80:
	s_mov_b32 s21, -1
                                        ; implicit-def: $vgpr0_vgpr1
	s_branch .LBB6_91
.LBB6_81:
	s_or_saveexec_b32 s21, s21
	v_mov_b64_e32 v[0:1], 0x7ff8000020000000
	s_xor_b32 exec_lo, exec_lo, s21
	s_cbranch_execz .LBB6_65
.LBB6_82:
	v_cmp_ne_u16_e32 vcc_lo, 0, v4
	v_mov_b64_e32 v[0:1], 0
	s_and_not1_b32 s17, s17, exec_lo
	s_and_b32 s22, vcc_lo, exec_lo
	s_delay_alu instid0(SALU_CYCLE_1)
	s_or_b32 s17, s17, s22
	s_or_b32 exec_lo, exec_lo, s21
	s_and_saveexec_b32 s21, s17
	s_cbranch_execnz .LBB6_66
	s_branch .LBB6_67
.LBB6_83:
	s_mov_b32 s17, -1
                                        ; implicit-def: $vgpr0_vgpr1
	s_branch .LBB6_88
.LBB6_84:
	s_mov_b32 s17, -1
                                        ; implicit-def: $vgpr0_vgpr1
.LBB6_85:
	s_delay_alu instid0(SALU_CYCLE_1)
	s_and_b32 vcc_lo, exec_lo, s17
	s_cbranch_vccz .LBB6_87
; %bb.86:
	global_load_u8 v0, v[2:3], off
	s_wait_loadcnt 0x0
	v_lshlrev_b32_e32 v0, 24, v0
	s_delay_alu instid0(VALU_DEP_1) | instskip(NEXT) | instid1(VALU_DEP_1)
	v_and_b32_e32 v1, 0x7f000000, v0
	v_clz_i32_u32_e32 v4, v1
	v_cmp_ne_u32_e32 vcc_lo, 0, v1
	v_add_nc_u32_e32 v6, 0x1000000, v1
	s_delay_alu instid0(VALU_DEP_3) | instskip(NEXT) | instid1(VALU_DEP_1)
	v_min_u32_e32 v4, 32, v4
	v_sub_nc_u32_e64 v4, v4, 4 clamp
	s_delay_alu instid0(VALU_DEP_1) | instskip(NEXT) | instid1(VALU_DEP_1)
	v_dual_lshlrev_b32 v5, v4, v1 :: v_dual_lshlrev_b32 v4, 23, v4
	v_lshrrev_b32_e32 v5, 4, v5
	s_delay_alu instid0(VALU_DEP_1) | instskip(NEXT) | instid1(VALU_DEP_1)
	v_dual_sub_nc_u32 v4, v5, v4 :: v_dual_ashrrev_i32 v5, 8, v6
	v_add_nc_u32_e32 v4, 0x3c000000, v4
	s_delay_alu instid0(VALU_DEP_1) | instskip(NEXT) | instid1(VALU_DEP_1)
	v_and_or_b32 v4, 0x7f800000, v5, v4
	v_cndmask_b32_e32 v1, 0, v4, vcc_lo
	s_delay_alu instid0(VALU_DEP_1) | instskip(NEXT) | instid1(VALU_DEP_1)
	v_and_or_b32 v0, 0x80000000, v0, v1
	v_cvt_f64_f32_e32 v[0:1], v0
.LBB6_87:
	s_mov_b32 s17, 0
.LBB6_88:
	s_delay_alu instid0(SALU_CYCLE_1)
	s_and_not1_b32 vcc_lo, exec_lo, s17
	s_cbranch_vccnz .LBB6_90
; %bb.89:
	global_load_u8 v0, v[2:3], off
	s_wait_loadcnt 0x0
	v_lshlrev_b32_e32 v1, 25, v0
	v_lshlrev_b16 v0, 8, v0
	s_delay_alu instid0(VALU_DEP_1) | instskip(SKIP_1) | instid1(VALU_DEP_2)
	v_and_or_b32 v5, 0x7f00, v0, 0.5
	v_bfe_i32 v0, v0, 0, 16
	v_add_f32_e32 v5, -0.5, v5
	v_lshrrev_b32_e32 v4, 4, v1
	v_cmp_gt_u32_e32 vcc_lo, 0x8000000, v1
	s_delay_alu instid0(VALU_DEP_2) | instskip(NEXT) | instid1(VALU_DEP_1)
	v_or_b32_e32 v4, 0x70000000, v4
	v_mul_f32_e32 v4, 0x7800000, v4
	s_delay_alu instid0(VALU_DEP_1) | instskip(NEXT) | instid1(VALU_DEP_1)
	v_cndmask_b32_e32 v1, v4, v5, vcc_lo
	v_and_or_b32 v0, 0x80000000, v0, v1
	s_delay_alu instid0(VALU_DEP_1)
	v_cvt_f64_f32_e32 v[0:1], v0
.LBB6_90:
	s_mov_b32 s21, 0
	s_mov_b32 s17, -1
.LBB6_91:
	s_and_not1_b32 vcc_lo, exec_lo, s21
	s_cbranch_vccnz .LBB6_104
; %bb.92:
	s_cmp_gt_i32 s15, 14
	s_cbranch_scc0 .LBB6_95
; %bb.93:
	s_cmp_eq_u32 s15, 15
	s_cbranch_scc0 .LBB6_98
; %bb.94:
	global_load_u16 v0, v[2:3], off
	s_mov_b32 s17, -1
	s_mov_b32 s18, 0
	s_wait_loadcnt 0x0
	v_lshlrev_b32_e32 v0, 16, v0
	s_delay_alu instid0(VALU_DEP_1)
	v_cvt_f64_f32_e32 v[0:1], v0
	s_branch .LBB6_99
.LBB6_95:
	s_mov_b32 s21, -1
                                        ; implicit-def: $vgpr0_vgpr1
	s_branch .LBB6_100
.LBB6_96:
	s_or_saveexec_b32 s21, s21
	v_mov_b64_e32 v[0:1], 0x7ff8000020000000
	s_xor_b32 exec_lo, exec_lo, s21
	s_cbranch_execz .LBB6_77
.LBB6_97:
	v_cmp_ne_u16_e32 vcc_lo, 0, v4
	v_mov_b64_e32 v[0:1], 0
	s_and_not1_b32 s17, s17, exec_lo
	s_and_b32 s22, vcc_lo, exec_lo
	s_delay_alu instid0(SALU_CYCLE_1)
	s_or_b32 s17, s17, s22
	s_or_b32 exec_lo, exec_lo, s21
	s_and_saveexec_b32 s21, s17
	s_cbranch_execnz .LBB6_78
	s_branch .LBB6_79
.LBB6_98:
	s_mov_b32 s18, -1
                                        ; implicit-def: $vgpr0_vgpr1
.LBB6_99:
	s_mov_b32 s21, 0
.LBB6_100:
	s_delay_alu instid0(SALU_CYCLE_1)
	s_and_b32 vcc_lo, exec_lo, s21
	s_cbranch_vccz .LBB6_104
; %bb.101:
	s_cmp_eq_u32 s15, 11
	s_cbranch_scc0 .LBB6_103
; %bb.102:
	global_load_u8 v0, v[2:3], off
	s_mov_b32 s18, 0
	s_mov_b32 s17, -1
	s_wait_loadcnt 0x0
	v_cmp_ne_u16_e32 vcc_lo, 0, v0
	v_mov_b32_e32 v0, 0
	v_cndmask_b32_e64 v1, 0, 0x3ff00000, vcc_lo
	s_branch .LBB6_104
.LBB6_103:
	s_mov_b32 s18, -1
                                        ; implicit-def: $vgpr0_vgpr1
.LBB6_104:
	s_branch .LBB6_10
.LBB6_105:
	s_and_b32 s0, 0xffff, s0
	s_delay_alu instid0(SALU_CYCLE_1)
	s_cmp_lt_i32 s0, 5
	s_cbranch_scc1 .LBB6_110
; %bb.106:
	s_cmp_lt_i32 s0, 8
	s_cbranch_scc1 .LBB6_111
; %bb.107:
	;; [unrolled: 3-line block ×3, first 2 shown]
	s_cmp_gt_i32 s0, 9
	s_cbranch_scc0 .LBB6_113
; %bb.109:
	global_load_b64 v[0:1], v[2:3], off
	s_mov_b32 s15, 0
	s_branch .LBB6_114
.LBB6_110:
                                        ; implicit-def: $vgpr0_vgpr1
	s_branch .LBB6_132
.LBB6_111:
	s_mov_b32 s15, -1
                                        ; implicit-def: $vgpr0_vgpr1
	s_branch .LBB6_120
.LBB6_112:
	s_mov_b32 s15, -1
                                        ; implicit-def: $vgpr0_vgpr1
	s_branch .LBB6_117
.LBB6_113:
	s_mov_b32 s15, -1
                                        ; implicit-def: $vgpr0_vgpr1
.LBB6_114:
	s_delay_alu instid0(SALU_CYCLE_1)
	s_and_not1_b32 vcc_lo, exec_lo, s15
	s_cbranch_vccnz .LBB6_116
; %bb.115:
	s_wait_loadcnt 0x0
	global_load_b32 v0, v[2:3], off
	s_wait_loadcnt 0x0
	v_cvt_f64_f32_e32 v[0:1], v0
.LBB6_116:
	s_mov_b32 s15, 0
.LBB6_117:
	s_delay_alu instid0(SALU_CYCLE_1)
	s_and_not1_b32 vcc_lo, exec_lo, s15
	s_cbranch_vccnz .LBB6_119
; %bb.118:
	s_wait_loadcnt 0x0
	global_load_b32 v0, v[2:3], off
	s_wait_loadcnt 0x0
	v_cvt_f32_f16_e32 v0, v0
	s_delay_alu instid0(VALU_DEP_1)
	v_cvt_f64_f32_e32 v[0:1], v0
.LBB6_119:
	s_mov_b32 s15, 0
.LBB6_120:
	s_delay_alu instid0(SALU_CYCLE_1)
	s_and_not1_b32 vcc_lo, exec_lo, s15
	s_cbranch_vccnz .LBB6_131
; %bb.121:
	s_cmp_lt_i32 s0, 6
	s_cbranch_scc1 .LBB6_124
; %bb.122:
	s_cmp_gt_i32 s0, 6
	s_cbranch_scc0 .LBB6_125
; %bb.123:
	s_wait_loadcnt 0x0
	global_load_b64 v[0:1], v[2:3], off
	s_mov_b32 s15, 0
	s_branch .LBB6_126
.LBB6_124:
	s_mov_b32 s15, -1
                                        ; implicit-def: $vgpr0_vgpr1
	s_branch .LBB6_129
.LBB6_125:
	s_mov_b32 s15, -1
                                        ; implicit-def: $vgpr0_vgpr1
.LBB6_126:
	s_delay_alu instid0(SALU_CYCLE_1)
	s_and_not1_b32 vcc_lo, exec_lo, s15
	s_cbranch_vccnz .LBB6_128
; %bb.127:
	s_wait_loadcnt 0x0
	global_load_b32 v0, v[2:3], off
	s_wait_loadcnt 0x0
	v_cvt_f64_f32_e32 v[0:1], v0
.LBB6_128:
	s_mov_b32 s15, 0
.LBB6_129:
	s_delay_alu instid0(SALU_CYCLE_1)
	s_and_not1_b32 vcc_lo, exec_lo, s15
	s_cbranch_vccnz .LBB6_131
; %bb.130:
	s_wait_loadcnt 0x0
	global_load_u16 v0, v[2:3], off
	s_wait_loadcnt 0x0
	v_cvt_f32_f16_e32 v0, v0
	s_delay_alu instid0(VALU_DEP_1)
	v_cvt_f64_f32_e32 v[0:1], v0
.LBB6_131:
	s_cbranch_execnz .LBB6_151
.LBB6_132:
	s_cmp_lt_i32 s0, 2
	s_cbranch_scc1 .LBB6_136
; %bb.133:
	s_cmp_lt_i32 s0, 3
	s_cbranch_scc1 .LBB6_137
; %bb.134:
	s_cmp_gt_i32 s0, 3
	s_cbranch_scc0 .LBB6_138
; %bb.135:
	s_wait_loadcnt 0x0
	global_load_b64 v[0:1], v[2:3], off
	s_mov_b32 s15, 0
	s_wait_loadcnt 0x0
	v_cvt_f64_i32_e32 v[4:5], v1
	v_cvt_f64_u32_e32 v[0:1], v0
	s_delay_alu instid0(VALU_DEP_2) | instskip(NEXT) | instid1(VALU_DEP_1)
	v_ldexp_f64 v[4:5], v[4:5], 32
	v_add_f64_e32 v[0:1], v[4:5], v[0:1]
	s_branch .LBB6_139
.LBB6_136:
	s_mov_b32 s15, -1
                                        ; implicit-def: $vgpr0_vgpr1
	s_branch .LBB6_145
.LBB6_137:
	s_mov_b32 s15, -1
                                        ; implicit-def: $vgpr0_vgpr1
	s_branch .LBB6_142
.LBB6_138:
	s_mov_b32 s15, -1
                                        ; implicit-def: $vgpr0_vgpr1
.LBB6_139:
	s_delay_alu instid0(SALU_CYCLE_1)
	s_and_not1_b32 vcc_lo, exec_lo, s15
	s_cbranch_vccnz .LBB6_141
; %bb.140:
	s_wait_loadcnt 0x0
	global_load_b32 v0, v[2:3], off
	s_wait_loadcnt 0x0
	v_cvt_f64_i32_e32 v[0:1], v0
.LBB6_141:
	s_mov_b32 s15, 0
.LBB6_142:
	s_delay_alu instid0(SALU_CYCLE_1)
	s_and_not1_b32 vcc_lo, exec_lo, s15
	s_cbranch_vccnz .LBB6_144
; %bb.143:
	s_wait_loadcnt 0x0
	global_load_i16 v0, v[2:3], off
	s_wait_loadcnt 0x0
	v_cvt_f64_i32_e32 v[0:1], v0
.LBB6_144:
	s_mov_b32 s15, 0
.LBB6_145:
	s_delay_alu instid0(SALU_CYCLE_1)
	s_and_not1_b32 vcc_lo, exec_lo, s15
	s_cbranch_vccnz .LBB6_151
; %bb.146:
	s_cmp_gt_i32 s0, 0
	s_mov_b32 s0, 0
	s_cbranch_scc0 .LBB6_148
; %bb.147:
	s_wait_loadcnt 0x0
	global_load_i8 v0, v[2:3], off
	s_wait_loadcnt 0x0
	v_cvt_f64_i32_e32 v[0:1], v0
	s_branch .LBB6_149
.LBB6_148:
	s_mov_b32 s0, -1
                                        ; implicit-def: $vgpr0_vgpr1
.LBB6_149:
	s_delay_alu instid0(SALU_CYCLE_1)
	s_and_not1_b32 vcc_lo, exec_lo, s0
	s_cbranch_vccnz .LBB6_151
; %bb.150:
	s_wait_loadcnt 0x0
	global_load_u8 v0, v[2:3], off
	s_wait_loadcnt 0x0
	v_cvt_f64_u32_e32 v[0:1], v0
.LBB6_151:
	s_branch .LBB6_11
.LBB6_152:
	s_mov_b32 s0, 0
	s_mov_b32 s17, 0
	s_branch .LBB6_380
.LBB6_153:
	s_mov_b32 s17, -1
.LBB6_154:
	s_mov_b32 s21, 0
                                        ; implicit-def: $vgpr4_vgpr5
.LBB6_155:
	s_and_b32 vcc_lo, exec_lo, s22
	s_cbranch_vccz .LBB6_270
; %bb.156:
	s_cmp_eq_u32 s15, 44
	s_cbranch_scc0 .LBB6_269
; %bb.157:
	global_load_u8 v6, v[2:3], off
	s_mov_b32 s17, 0
	s_mov_b32 s21, -1
	s_wait_loadcnt 0x0
	v_cmp_ne_u32_e32 vcc_lo, 0xff, v6
	v_lshlrev_b32_e32 v4, 23, v6
	s_delay_alu instid0(VALU_DEP_1) | instskip(NEXT) | instid1(VALU_DEP_1)
	v_cvt_f64_f32_e32 v[4:5], v4
	v_cndmask_b32_e32 v4, 0x20000000, v4, vcc_lo
	s_delay_alu instid0(VALU_DEP_2) | instskip(SKIP_1) | instid1(VALU_DEP_2)
	v_cndmask_b32_e32 v5, 0x7ff80000, v5, vcc_lo
	v_cmp_ne_u32_e32 vcc_lo, 0, v6
	v_cndmask_b32_e32 v5, 0x38000000, v5, vcc_lo
	s_delay_alu instid0(VALU_DEP_4)
	v_cndmask_b32_e32 v4, 0, v4, vcc_lo
	s_branch .LBB6_270
.LBB6_158:
	s_mov_b32 s23, -1
	s_mov_b32 s0, 0
	s_mov_b32 s22, 0
.LBB6_159:
	s_and_b32 vcc_lo, exec_lo, s23
	s_cbranch_vccz .LBB6_164
; %bb.160:
	s_cmp_eq_u32 s21, 44
	s_mov_b32 s0, -1
	s_cbranch_scc0 .LBB6_164
; %bb.161:
	s_wait_xcnt 0x0
	v_cvt_f32_f64_e32 v2, v[0:1]
	v_mov_b32_e32 v3, 0xff
	s_mov_b32 s22, exec_lo
	s_delay_alu instid0(VALU_DEP_2) | instskip(NEXT) | instid1(VALU_DEP_1)
	v_bfe_u32 v6, v2, 23, 8
	v_cmpx_ne_u32_e32 0xff, v6
	s_cbranch_execz .LBB6_163
; %bb.162:
	v_and_b32_e32 v3, 0x400000, v2
	v_and_or_b32 v6, 0x3fffff, v2, v6
	v_lshrrev_b32_e32 v2, 23, v2
	s_delay_alu instid0(VALU_DEP_3) | instskip(NEXT) | instid1(VALU_DEP_3)
	v_cmp_ne_u32_e32 vcc_lo, 0, v3
	v_cmp_ne_u32_e64 s0, 0, v6
	s_and_b32 s0, vcc_lo, s0
	s_delay_alu instid0(SALU_CYCLE_1) | instskip(NEXT) | instid1(VALU_DEP_1)
	v_cndmask_b32_e64 v3, 0, 1, s0
	v_add_nc_u32_e32 v3, v2, v3
.LBB6_163:
	s_or_b32 exec_lo, exec_lo, s22
	s_mov_b32 s22, -1
	s_mov_b32 s0, 0
	global_store_b8 v[4:5], v3, off
.LBB6_164:
	s_mov_b32 s23, 0
.LBB6_165:
	s_delay_alu instid0(SALU_CYCLE_1)
	s_and_b32 vcc_lo, exec_lo, s23
	s_cbranch_vccz .LBB6_168
; %bb.166:
	s_cmp_eq_u32 s21, 29
	s_mov_b32 s0, -1
	s_cbranch_scc0 .LBB6_168
; %bb.167:
	s_wait_xcnt 0x0
	v_trunc_f64_e32 v[2:3], v[0:1]
	s_mov_b32 s22, -1
	s_mov_b32 s0, 0
	s_mov_b32 s23, 0
	s_delay_alu instid0(VALU_DEP_1) | instskip(NEXT) | instid1(VALU_DEP_1)
	v_ldexp_f64 v[6:7], v[2:3], 0xffffffe0
	v_floor_f64_e32 v[6:7], v[6:7]
	s_delay_alu instid0(VALU_DEP_1) | instskip(SKIP_1) | instid1(VALU_DEP_2)
	v_fmamk_f64 v[2:3], v[6:7], 0xc1f00000, v[2:3]
	v_cvt_u32_f64_e32 v7, v[6:7]
	v_cvt_u32_f64_e32 v6, v[2:3]
	global_store_b64 v[4:5], v[6:7], off
	s_branch .LBB6_169
.LBB6_168:
	s_mov_b32 s23, 0
.LBB6_169:
	s_delay_alu instid0(SALU_CYCLE_1)
	s_and_b32 vcc_lo, exec_lo, s23
	s_cbranch_vccz .LBB6_185
; %bb.170:
	s_cmp_lt_i32 s21, 27
	s_mov_b32 s22, -1
	s_cbranch_scc1 .LBB6_176
; %bb.171:
	s_wait_xcnt 0x0
	v_cvt_u32_f64_e32 v2, v[0:1]
	s_cmp_gt_i32 s21, 27
	s_cbranch_scc0 .LBB6_173
; %bb.172:
	s_mov_b32 s22, 0
	global_store_b32 v[4:5], v2, off
.LBB6_173:
	s_and_not1_b32 vcc_lo, exec_lo, s22
	s_cbranch_vccnz .LBB6_175
; %bb.174:
	global_store_b16 v[4:5], v2, off
.LBB6_175:
	s_mov_b32 s22, 0
.LBB6_176:
	s_delay_alu instid0(SALU_CYCLE_1)
	s_and_not1_b32 vcc_lo, exec_lo, s22
	s_cbranch_vccnz .LBB6_184
; %bb.177:
	s_wait_xcnt 0x0
	v_cvt_f32_f64_e32 v2, v[0:1]
	v_mov_b32_e32 v6, 0x80
	s_mov_b32 s22, exec_lo
	s_delay_alu instid0(VALU_DEP_2) | instskip(NEXT) | instid1(VALU_DEP_1)
	v_and_b32_e32 v3, 0x7fffffff, v2
	v_cmpx_gt_u32_e32 0x43800000, v3
	s_cbranch_execz .LBB6_183
; %bb.178:
	v_cmp_lt_u32_e32 vcc_lo, 0x3bffffff, v3
	s_mov_b32 s23, 0
                                        ; implicit-def: $vgpr3
	s_and_saveexec_b32 s24, vcc_lo
	s_delay_alu instid0(SALU_CYCLE_1)
	s_xor_b32 s24, exec_lo, s24
	s_cbranch_execz .LBB6_411
; %bb.179:
	v_bfe_u32 v3, v2, 20, 1
	s_mov_b32 s23, exec_lo
	s_delay_alu instid0(VALU_DEP_1) | instskip(NEXT) | instid1(VALU_DEP_1)
	v_add3_u32 v3, v2, v3, 0x487ffff
	v_lshrrev_b32_e32 v3, 20, v3
	s_and_not1_saveexec_b32 s24, s24
	s_cbranch_execnz .LBB6_412
.LBB6_180:
	s_or_b32 exec_lo, exec_lo, s24
	v_mov_b32_e32 v6, 0
	s_and_saveexec_b32 s24, s23
.LBB6_181:
	v_lshrrev_b32_e32 v2, 24, v2
	s_delay_alu instid0(VALU_DEP_1)
	v_and_or_b32 v6, 0x80, v2, v3
.LBB6_182:
	s_or_b32 exec_lo, exec_lo, s24
.LBB6_183:
	s_delay_alu instid0(SALU_CYCLE_1)
	s_or_b32 exec_lo, exec_lo, s22
	global_store_b8 v[4:5], v6, off
.LBB6_184:
	s_mov_b32 s22, -1
.LBB6_185:
	s_mov_b32 s23, 0
.LBB6_186:
	s_delay_alu instid0(SALU_CYCLE_1)
	s_and_b32 vcc_lo, exec_lo, s23
	s_cbranch_vccz .LBB6_227
; %bb.187:
	s_cmp_gt_i32 s21, 22
	s_mov_b32 s23, -1
	s_cbranch_scc0 .LBB6_219
; %bb.188:
	s_cmp_lt_i32 s21, 24
	s_mov_b32 s22, -1
	s_cbranch_scc1 .LBB6_208
; %bb.189:
	s_cmp_gt_i32 s21, 24
	s_cbranch_scc0 .LBB6_197
; %bb.190:
	s_wait_xcnt 0x0
	v_cvt_f32_f64_e32 v2, v[0:1]
	v_mov_b32_e32 v6, 0x80
	s_mov_b32 s22, exec_lo
	s_delay_alu instid0(VALU_DEP_2) | instskip(NEXT) | instid1(VALU_DEP_1)
	v_and_b32_e32 v3, 0x7fffffff, v2
	v_cmpx_gt_u32_e32 0x47800000, v3
	s_cbranch_execz .LBB6_196
; %bb.191:
	v_cmp_lt_u32_e32 vcc_lo, 0x37ffffff, v3
	s_mov_b32 s23, 0
                                        ; implicit-def: $vgpr3
	s_and_saveexec_b32 s24, vcc_lo
	s_delay_alu instid0(SALU_CYCLE_1)
	s_xor_b32 s24, exec_lo, s24
	s_cbranch_execz .LBB6_530
; %bb.192:
	v_bfe_u32 v3, v2, 21, 1
	s_mov_b32 s23, exec_lo
	s_delay_alu instid0(VALU_DEP_1) | instskip(NEXT) | instid1(VALU_DEP_1)
	v_add3_u32 v3, v2, v3, 0x88fffff
	v_lshrrev_b32_e32 v3, 21, v3
	s_and_not1_saveexec_b32 s24, s24
	s_cbranch_execnz .LBB6_531
.LBB6_193:
	s_or_b32 exec_lo, exec_lo, s24
	v_mov_b32_e32 v6, 0
	s_and_saveexec_b32 s24, s23
.LBB6_194:
	v_lshrrev_b32_e32 v2, 24, v2
	s_delay_alu instid0(VALU_DEP_1)
	v_and_or_b32 v6, 0x80, v2, v3
.LBB6_195:
	s_or_b32 exec_lo, exec_lo, s24
.LBB6_196:
	s_delay_alu instid0(SALU_CYCLE_1)
	s_or_b32 exec_lo, exec_lo, s22
	s_mov_b32 s22, 0
	global_store_b8 v[4:5], v6, off
.LBB6_197:
	s_and_b32 vcc_lo, exec_lo, s22
	s_cbranch_vccz .LBB6_207
; %bb.198:
	s_wait_xcnt 0x0
	v_cvt_f32_f64_e32 v2, v[0:1]
	s_mov_b32 s22, exec_lo
                                        ; implicit-def: $vgpr3
	s_delay_alu instid0(VALU_DEP_1) | instskip(NEXT) | instid1(VALU_DEP_1)
	v_and_b32_e32 v6, 0x7fffffff, v2
	v_cmpx_gt_u32_e32 0x43f00000, v6
	s_xor_b32 s22, exec_lo, s22
	s_cbranch_execz .LBB6_204
; %bb.199:
	s_mov_b32 s23, exec_lo
                                        ; implicit-def: $vgpr3
	v_cmpx_lt_u32_e32 0x3c7fffff, v6
	s_xor_b32 s23, exec_lo, s23
; %bb.200:
	v_bfe_u32 v3, v2, 20, 1
	s_delay_alu instid0(VALU_DEP_1) | instskip(NEXT) | instid1(VALU_DEP_1)
	v_add3_u32 v3, v2, v3, 0x407ffff
	v_and_b32_e32 v6, 0xff00000, v3
	v_lshrrev_b32_e32 v3, 20, v3
	s_delay_alu instid0(VALU_DEP_2) | instskip(NEXT) | instid1(VALU_DEP_2)
	v_cmp_ne_u32_e32 vcc_lo, 0x7f00000, v6
	v_cndmask_b32_e32 v3, 0x7e, v3, vcc_lo
; %bb.201:
	s_and_not1_saveexec_b32 s23, s23
; %bb.202:
	v_add_f32_e64 v3, 0x46800000, |v2|
; %bb.203:
	s_or_b32 exec_lo, exec_lo, s23
                                        ; implicit-def: $vgpr6
.LBB6_204:
	s_and_not1_saveexec_b32 s22, s22
; %bb.205:
	v_mov_b32_e32 v3, 0x7f
	v_cmp_lt_u32_e32 vcc_lo, 0x7f800000, v6
	s_delay_alu instid0(VALU_DEP_2)
	v_cndmask_b32_e32 v3, 0x7e, v3, vcc_lo
; %bb.206:
	s_or_b32 exec_lo, exec_lo, s22
	v_lshrrev_b32_e32 v2, 24, v2
	s_delay_alu instid0(VALU_DEP_1)
	v_and_or_b32 v2, 0x80, v2, v3
	global_store_b8 v[4:5], v2, off
.LBB6_207:
	s_mov_b32 s22, 0
.LBB6_208:
	s_delay_alu instid0(SALU_CYCLE_1)
	s_and_not1_b32 vcc_lo, exec_lo, s22
	s_cbranch_vccnz .LBB6_218
; %bb.209:
	s_wait_xcnt 0x0
	v_cvt_f32_f64_e32 v2, v[0:1]
	s_mov_b32 s22, exec_lo
                                        ; implicit-def: $vgpr3
	s_delay_alu instid0(VALU_DEP_1) | instskip(NEXT) | instid1(VALU_DEP_1)
	v_and_b32_e32 v6, 0x7fffffff, v2
	v_cmpx_gt_u32_e32 0x47800000, v6
	s_xor_b32 s22, exec_lo, s22
	s_cbranch_execz .LBB6_215
; %bb.210:
	s_mov_b32 s23, exec_lo
                                        ; implicit-def: $vgpr3
	v_cmpx_lt_u32_e32 0x387fffff, v6
	s_xor_b32 s23, exec_lo, s23
; %bb.211:
	v_bfe_u32 v3, v2, 21, 1
	s_delay_alu instid0(VALU_DEP_1) | instskip(NEXT) | instid1(VALU_DEP_1)
	v_add3_u32 v3, v2, v3, 0x80fffff
	v_lshrrev_b32_e32 v3, 21, v3
; %bb.212:
	s_and_not1_saveexec_b32 s23, s23
; %bb.213:
	v_add_f32_e64 v3, 0x43000000, |v2|
; %bb.214:
	s_or_b32 exec_lo, exec_lo, s23
                                        ; implicit-def: $vgpr6
.LBB6_215:
	s_and_not1_saveexec_b32 s22, s22
; %bb.216:
	v_mov_b32_e32 v3, 0x7f
	v_cmp_lt_u32_e32 vcc_lo, 0x7f800000, v6
	s_delay_alu instid0(VALU_DEP_2)
	v_cndmask_b32_e32 v3, 0x7c, v3, vcc_lo
; %bb.217:
	s_or_b32 exec_lo, exec_lo, s22
	v_lshrrev_b32_e32 v2, 24, v2
	s_delay_alu instid0(VALU_DEP_1)
	v_and_or_b32 v2, 0x80, v2, v3
	global_store_b8 v[4:5], v2, off
.LBB6_218:
	s_mov_b32 s23, 0
	s_mov_b32 s22, -1
.LBB6_219:
	s_and_not1_b32 vcc_lo, exec_lo, s23
	s_cbranch_vccnz .LBB6_227
; %bb.220:
	s_cmp_gt_i32 s21, 14
	s_mov_b32 s23, -1
	s_cbranch_scc0 .LBB6_224
; %bb.221:
	s_cmp_eq_u32 s21, 15
	s_mov_b32 s0, -1
	s_cbranch_scc0 .LBB6_223
; %bb.222:
	s_wait_xcnt 0x0
	v_cvt_f32_f64_e32 v2, v[0:1]
	s_mov_b32 s22, -1
	s_mov_b32 s0, 0
	s_delay_alu instid0(VALU_DEP_1) | instskip(SKIP_1) | instid1(VALU_DEP_2)
	v_bfe_u32 v3, v2, 16, 1
	v_cmp_o_f32_e32 vcc_lo, v2, v2
	v_add3_u32 v3, v2, v3, 0x7fff
	s_delay_alu instid0(VALU_DEP_1) | instskip(NEXT) | instid1(VALU_DEP_1)
	v_lshrrev_b32_e32 v3, 16, v3
	v_cndmask_b32_e32 v2, 0x7fc0, v3, vcc_lo
	global_store_b16 v[4:5], v2, off
.LBB6_223:
	s_mov_b32 s23, 0
.LBB6_224:
	s_delay_alu instid0(SALU_CYCLE_1)
	s_and_b32 vcc_lo, exec_lo, s23
	s_cbranch_vccz .LBB6_227
; %bb.225:
	s_cmp_eq_u32 s21, 11
	s_mov_b32 s0, -1
	s_cbranch_scc0 .LBB6_227
; %bb.226:
	v_cmp_neq_f64_e32 vcc_lo, 0, v[0:1]
	s_mov_b32 s22, -1
	s_mov_b32 s0, 0
	s_wait_xcnt 0x0
	v_cndmask_b32_e64 v2, 0, 1, vcc_lo
	global_store_b8 v[4:5], v2, off
.LBB6_227:
	s_mov_b32 s21, 0
.LBB6_228:
	s_delay_alu instid0(SALU_CYCLE_1)
	s_and_b32 vcc_lo, exec_lo, s21
	s_cbranch_vccz .LBB6_267
; %bb.229:
	s_and_b32 s15, 0xffff, s15
	s_mov_b32 s21, -1
	s_cmp_lt_i32 s15, 5
	s_cbranch_scc1 .LBB6_250
; %bb.230:
	s_cmp_lt_i32 s15, 8
	s_cbranch_scc1 .LBB6_240
; %bb.231:
	s_cmp_lt_i32 s15, 9
	s_cbranch_scc1 .LBB6_237
; %bb.232:
	s_cmp_gt_i32 s15, 9
	s_cbranch_scc0 .LBB6_234
; %bb.233:
	s_wait_xcnt 0x0
	v_mov_b32_e32 v2, 0
	s_mov_b32 s21, 0
	s_delay_alu instid0(VALU_DEP_1)
	v_mov_b32_e32 v3, v2
	global_store_b128 v[4:5], v[0:3], off
.LBB6_234:
	s_and_not1_b32 vcc_lo, exec_lo, s21
	s_cbranch_vccnz .LBB6_236
; %bb.235:
	s_wait_xcnt 0x0
	v_cvt_f32_f64_e32 v2, v[0:1]
	v_mov_b32_e32 v3, 0
	global_store_b64 v[4:5], v[2:3], off
.LBB6_236:
	s_mov_b32 s21, 0
.LBB6_237:
	s_delay_alu instid0(SALU_CYCLE_1)
	s_and_not1_b32 vcc_lo, exec_lo, s21
	s_cbranch_vccnz .LBB6_239
; %bb.238:
	s_wait_xcnt 0x0
	v_and_or_b32 v2, 0x1ff, v1, v0
	v_lshrrev_b32_e32 v3, 8, v1
	v_bfe_u32 v6, v1, 20, 11
	s_delay_alu instid0(VALU_DEP_3) | instskip(NEXT) | instid1(VALU_DEP_2)
	v_cmp_ne_u32_e32 vcc_lo, 0, v2
	v_sub_nc_u32_e32 v7, 0x3f1, v6
	v_cndmask_b32_e64 v2, 0, 1, vcc_lo
	s_delay_alu instid0(VALU_DEP_1) | instskip(NEXT) | instid1(VALU_DEP_3)
	v_and_or_b32 v2, 0xffe, v3, v2
	v_med3_i32 v3, v7, 0, 13
	s_delay_alu instid0(VALU_DEP_2) | instskip(NEXT) | instid1(VALU_DEP_1)
	v_or_b32_e32 v7, 0x1000, v2
	v_lshrrev_b32_e32 v8, v3, v7
	s_delay_alu instid0(VALU_DEP_1) | instskip(NEXT) | instid1(VALU_DEP_1)
	v_lshlrev_b32_e32 v3, v3, v8
	v_cmp_ne_u32_e32 vcc_lo, v3, v7
	v_cndmask_b32_e64 v3, 0, 1, vcc_lo
	s_delay_alu instid0(VALU_DEP_1) | instskip(SKIP_1) | instid1(VALU_DEP_1)
	v_or_b32_e32 v3, v8, v3
	v_add_nc_u32_e32 v6, 0xfffffc10, v6
	v_lshl_or_b32 v7, v6, 12, v2
	v_cmp_gt_i32_e32 vcc_lo, 1, v6
	s_delay_alu instid0(VALU_DEP_2) | instskip(NEXT) | instid1(VALU_DEP_1)
	v_cndmask_b32_e32 v3, v7, v3, vcc_lo
	v_dual_lshrrev_b32 v3, 2, v3 :: v_dual_bitop2_b32 v7, 7, v3 bitop3:0x40
	s_delay_alu instid0(VALU_DEP_1) | instskip(SKIP_4) | instid1(VALU_DEP_2)
	v_cmp_lt_i32_e32 vcc_lo, 5, v7
	v_cndmask_b32_e64 v8, 0, 1, vcc_lo
	v_cmp_eq_u32_e32 vcc_lo, 3, v7
	v_cndmask_b32_e64 v7, 0, 1, vcc_lo
	v_cmp_ne_u32_e32 vcc_lo, 0, v2
	v_or_b32_e32 v7, v7, v8
	s_delay_alu instid0(VALU_DEP_1) | instskip(NEXT) | instid1(VALU_DEP_1)
	v_dual_mov_b32 v8, 0x7e00 :: v_dual_add_nc_u32 v3, v3, v7
	v_cndmask_b32_e32 v2, 0x7c00, v8, vcc_lo
	v_cmp_gt_i32_e32 vcc_lo, 31, v6
	v_lshrrev_b32_e32 v7, 16, v1
	s_delay_alu instid0(VALU_DEP_4) | instskip(SKIP_1) | instid1(VALU_DEP_2)
	v_cndmask_b32_e32 v3, 0x7c00, v3, vcc_lo
	v_cmp_eq_u32_e32 vcc_lo, 0x40f, v6
	v_cndmask_b32_e32 v2, v3, v2, vcc_lo
	s_delay_alu instid0(VALU_DEP_4) | instskip(NEXT) | instid1(VALU_DEP_1)
	v_and_b32_e32 v3, 0x8000, v7
	v_bitop3_b32 v2, v3, 0xffff, v2 bitop3:0xc8
	global_store_b32 v[4:5], v2, off
.LBB6_239:
	s_mov_b32 s21, 0
.LBB6_240:
	s_delay_alu instid0(SALU_CYCLE_1)
	s_and_not1_b32 vcc_lo, exec_lo, s21
	s_cbranch_vccnz .LBB6_249
; %bb.241:
	s_cmp_lt_i32 s15, 6
	s_mov_b32 s21, -1
	s_cbranch_scc1 .LBB6_247
; %bb.242:
	s_cmp_gt_i32 s15, 6
	s_cbranch_scc0 .LBB6_244
; %bb.243:
	s_mov_b32 s21, 0
	global_store_b64 v[4:5], v[0:1], off
.LBB6_244:
	s_and_not1_b32 vcc_lo, exec_lo, s21
	s_cbranch_vccnz .LBB6_246
; %bb.245:
	s_wait_xcnt 0x0
	v_cvt_f32_f64_e32 v2, v[0:1]
	global_store_b32 v[4:5], v2, off
.LBB6_246:
	s_mov_b32 s21, 0
.LBB6_247:
	s_delay_alu instid0(SALU_CYCLE_1)
	s_and_not1_b32 vcc_lo, exec_lo, s21
	s_cbranch_vccnz .LBB6_249
; %bb.248:
	s_wait_xcnt 0x0
	v_and_or_b32 v2, 0x1ff, v1, v0
	v_lshrrev_b32_e32 v3, 8, v1
	v_bfe_u32 v6, v1, 20, 11
	s_delay_alu instid0(VALU_DEP_3) | instskip(NEXT) | instid1(VALU_DEP_2)
	v_cmp_ne_u32_e32 vcc_lo, 0, v2
	v_sub_nc_u32_e32 v7, 0x3f1, v6
	v_cndmask_b32_e64 v2, 0, 1, vcc_lo
	s_delay_alu instid0(VALU_DEP_1) | instskip(NEXT) | instid1(VALU_DEP_3)
	v_and_or_b32 v2, 0xffe, v3, v2
	v_med3_i32 v3, v7, 0, 13
	s_delay_alu instid0(VALU_DEP_2) | instskip(NEXT) | instid1(VALU_DEP_1)
	v_or_b32_e32 v7, 0x1000, v2
	v_lshrrev_b32_e32 v8, v3, v7
	s_delay_alu instid0(VALU_DEP_1) | instskip(NEXT) | instid1(VALU_DEP_1)
	v_lshlrev_b32_e32 v3, v3, v8
	v_cmp_ne_u32_e32 vcc_lo, v3, v7
	v_cndmask_b32_e64 v3, 0, 1, vcc_lo
	s_delay_alu instid0(VALU_DEP_1) | instskip(SKIP_1) | instid1(VALU_DEP_1)
	v_or_b32_e32 v3, v8, v3
	v_add_nc_u32_e32 v6, 0xfffffc10, v6
	v_lshl_or_b32 v7, v6, 12, v2
	v_cmp_gt_i32_e32 vcc_lo, 1, v6
	s_delay_alu instid0(VALU_DEP_2) | instskip(NEXT) | instid1(VALU_DEP_1)
	v_cndmask_b32_e32 v3, v7, v3, vcc_lo
	v_dual_lshrrev_b32 v3, 2, v3 :: v_dual_bitop2_b32 v7, 7, v3 bitop3:0x40
	s_delay_alu instid0(VALU_DEP_1) | instskip(SKIP_4) | instid1(VALU_DEP_2)
	v_cmp_lt_i32_e32 vcc_lo, 5, v7
	v_cndmask_b32_e64 v8, 0, 1, vcc_lo
	v_cmp_eq_u32_e32 vcc_lo, 3, v7
	v_cndmask_b32_e64 v7, 0, 1, vcc_lo
	v_cmp_ne_u32_e32 vcc_lo, 0, v2
	v_or_b32_e32 v7, v7, v8
	s_delay_alu instid0(VALU_DEP_1) | instskip(NEXT) | instid1(VALU_DEP_1)
	v_dual_mov_b32 v8, 0x7e00 :: v_dual_add_nc_u32 v3, v3, v7
	v_cndmask_b32_e32 v2, 0x7c00, v8, vcc_lo
	v_cmp_gt_i32_e32 vcc_lo, 31, v6
	s_delay_alu instid0(VALU_DEP_3) | instskip(SKIP_1) | instid1(VALU_DEP_2)
	v_cndmask_b32_e32 v3, 0x7c00, v3, vcc_lo
	v_cmp_eq_u32_e32 vcc_lo, 0x40f, v6
	v_dual_cndmask_b32 v2, v3, v2 :: v_dual_lshrrev_b32 v3, 16, v1
	s_delay_alu instid0(VALU_DEP_1)
	v_and_or_b32 v2, 0x8000, v3, v2
	global_store_b16 v[4:5], v2, off
.LBB6_249:
	s_mov_b32 s21, 0
.LBB6_250:
	s_delay_alu instid0(SALU_CYCLE_1)
	s_and_not1_b32 vcc_lo, exec_lo, s21
	s_cbranch_vccnz .LBB6_266
; %bb.251:
	s_cmp_lt_i32 s15, 2
	s_mov_b32 s21, -1
	s_cbranch_scc1 .LBB6_261
; %bb.252:
	s_cmp_lt_i32 s15, 3
	s_cbranch_scc1 .LBB6_258
; %bb.253:
	s_cmp_gt_i32 s15, 3
	s_cbranch_scc0 .LBB6_255
; %bb.254:
	s_wait_xcnt 0x0
	v_trunc_f64_e32 v[2:3], v[0:1]
	s_mov_b32 s21, 0
	s_delay_alu instid0(VALU_DEP_1) | instskip(NEXT) | instid1(VALU_DEP_1)
	v_ldexp_f64 v[6:7], v[2:3], 0xffffffe0
	v_floor_f64_e32 v[6:7], v[6:7]
	s_delay_alu instid0(VALU_DEP_1) | instskip(SKIP_1) | instid1(VALU_DEP_2)
	v_fmamk_f64 v[2:3], v[6:7], 0xc1f00000, v[2:3]
	v_cvt_i32_f64_e32 v7, v[6:7]
	v_cvt_u32_f64_e32 v6, v[2:3]
	global_store_b64 v[4:5], v[6:7], off
.LBB6_255:
	s_and_not1_b32 vcc_lo, exec_lo, s21
	s_cbranch_vccnz .LBB6_257
; %bb.256:
	s_wait_xcnt 0x0
	v_cvt_i32_f64_e32 v2, v[0:1]
	global_store_b32 v[4:5], v2, off
.LBB6_257:
	s_mov_b32 s21, 0
.LBB6_258:
	s_delay_alu instid0(SALU_CYCLE_1)
	s_and_not1_b32 vcc_lo, exec_lo, s21
	s_cbranch_vccnz .LBB6_260
; %bb.259:
	s_wait_xcnt 0x0
	v_cvt_i32_f64_e32 v2, v[0:1]
	global_store_b16 v[4:5], v2, off
.LBB6_260:
	s_mov_b32 s21, 0
.LBB6_261:
	s_delay_alu instid0(SALU_CYCLE_1)
	s_and_not1_b32 vcc_lo, exec_lo, s21
	s_cbranch_vccnz .LBB6_266
; %bb.262:
	s_cmp_gt_i32 s15, 0
	s_mov_b32 s15, -1
	s_cbranch_scc0 .LBB6_264
; %bb.263:
	s_wait_xcnt 0x0
	v_cvt_i32_f64_e32 v2, v[0:1]
	s_mov_b32 s15, 0
	global_store_b8 v[4:5], v2, off
.LBB6_264:
	s_and_not1_b32 vcc_lo, exec_lo, s15
	s_cbranch_vccnz .LBB6_266
; %bb.265:
	s_wait_xcnt 0x0
	v_trunc_f64_e32 v[0:1], v[0:1]
	s_delay_alu instid0(VALU_DEP_1) | instskip(NEXT) | instid1(VALU_DEP_1)
	v_ldexp_f64 v[2:3], v[0:1], 0xffffffe0
	v_floor_f64_e32 v[2:3], v[2:3]
	s_delay_alu instid0(VALU_DEP_1) | instskip(NEXT) | instid1(VALU_DEP_1)
	v_fmamk_f64 v[0:1], v[2:3], 0xc1f00000, v[0:1]
	v_cvt_u32_f64_e32 v0, v[0:1]
	global_store_b8 v[4:5], v0, off
.LBB6_266:
	s_mov_b32 s22, -1
.LBB6_267:
	s_delay_alu instid0(SALU_CYCLE_1)
	s_and_not1_b32 vcc_lo, exec_lo, s22
	s_cbranch_vccnz .LBB6_380
; %bb.268:
	v_add_nc_u32_e32 v18, 0x80, v18
	s_mov_b32 s21, -1
	s_branch .LBB6_381
.LBB6_269:
	s_mov_b32 s17, -1
                                        ; implicit-def: $vgpr4_vgpr5
.LBB6_270:
	s_mov_b32 s22, 0
.LBB6_271:
	s_delay_alu instid0(SALU_CYCLE_1)
	s_and_b32 vcc_lo, exec_lo, s22
	s_cbranch_vccz .LBB6_275
; %bb.272:
	s_cmp_eq_u32 s15, 29
	s_cbranch_scc0 .LBB6_274
; %bb.273:
	global_load_b64 v[4:5], v[2:3], off
	s_mov_b32 s21, -1
	s_mov_b32 s17, 0
	s_mov_b32 s22, 0
	s_wait_loadcnt 0x0
	v_cvt_f64_u32_e32 v[6:7], v5
	v_cvt_f64_u32_e32 v[4:5], v4
	s_delay_alu instid0(VALU_DEP_2) | instskip(NEXT) | instid1(VALU_DEP_1)
	v_ldexp_f64 v[6:7], v[6:7], 32
	v_add_f64_e32 v[4:5], v[6:7], v[4:5]
	s_branch .LBB6_276
.LBB6_274:
	s_mov_b32 s17, -1
                                        ; implicit-def: $vgpr4_vgpr5
.LBB6_275:
	s_mov_b32 s22, 0
.LBB6_276:
	s_delay_alu instid0(SALU_CYCLE_1)
	s_and_b32 vcc_lo, exec_lo, s22
	s_cbranch_vccz .LBB6_294
; %bb.277:
	s_cmp_lt_i32 s15, 27
	s_cbranch_scc1 .LBB6_280
; %bb.278:
	s_cmp_gt_i32 s15, 27
	s_cbranch_scc0 .LBB6_281
; %bb.279:
	global_load_b32 v4, v[2:3], off
	s_mov_b32 s21, 0
	s_wait_loadcnt 0x0
	v_cvt_f64_u32_e32 v[4:5], v4
	s_branch .LBB6_282
.LBB6_280:
	s_mov_b32 s21, -1
                                        ; implicit-def: $vgpr4_vgpr5
	s_branch .LBB6_285
.LBB6_281:
	s_mov_b32 s21, -1
                                        ; implicit-def: $vgpr4_vgpr5
.LBB6_282:
	s_delay_alu instid0(SALU_CYCLE_1)
	s_and_not1_b32 vcc_lo, exec_lo, s21
	s_cbranch_vccnz .LBB6_284
; %bb.283:
	global_load_u16 v4, v[2:3], off
	s_wait_loadcnt 0x0
	v_cvt_f64_u32_e32 v[4:5], v4
.LBB6_284:
	s_mov_b32 s21, 0
.LBB6_285:
	s_delay_alu instid0(SALU_CYCLE_1)
	s_and_not1_b32 vcc_lo, exec_lo, s21
	s_cbranch_vccnz .LBB6_293
; %bb.286:
	global_load_u8 v6, v[2:3], off
	s_mov_b32 s21, 0
	s_mov_b32 s22, exec_lo
	s_wait_loadcnt 0x0
	v_cmpx_lt_i16_e32 0x7f, v6
	s_xor_b32 s22, exec_lo, s22
	s_cbranch_execz .LBB6_307
; %bb.287:
	s_mov_b32 s21, -1
	s_mov_b32 s23, exec_lo
	v_cmpx_eq_u16_e32 0x80, v6
; %bb.288:
	s_xor_b32 s21, exec_lo, -1
; %bb.289:
	s_or_b32 exec_lo, exec_lo, s23
	s_delay_alu instid0(SALU_CYCLE_1)
	s_and_b32 s21, s21, exec_lo
	s_or_saveexec_b32 s22, s22
	v_mov_b64_e32 v[4:5], 0x7ff8000020000000
	s_xor_b32 exec_lo, exec_lo, s22
	s_cbranch_execnz .LBB6_308
.LBB6_290:
	s_or_b32 exec_lo, exec_lo, s22
	s_and_saveexec_b32 s22, s21
	s_cbranch_execz .LBB6_292
.LBB6_291:
	v_and_b32_e32 v4, 0xffff, v6
	s_delay_alu instid0(VALU_DEP_1) | instskip(SKIP_1) | instid1(VALU_DEP_2)
	v_and_b32_e32 v5, 7, v4
	v_bfe_u32 v9, v4, 3, 4
	v_clz_i32_u32_e32 v7, v5
	s_delay_alu instid0(VALU_DEP_2) | instskip(NEXT) | instid1(VALU_DEP_2)
	v_cmp_eq_u32_e32 vcc_lo, 0, v9
	v_min_u32_e32 v7, 32, v7
	s_delay_alu instid0(VALU_DEP_1) | instskip(NEXT) | instid1(VALU_DEP_1)
	v_subrev_nc_u32_e32 v8, 28, v7
	v_dual_lshlrev_b32 v4, v8, v4 :: v_dual_sub_nc_u32 v7, 29, v7
	s_delay_alu instid0(VALU_DEP_1) | instskip(NEXT) | instid1(VALU_DEP_2)
	v_dual_lshlrev_b32 v6, 24, v6 :: v_dual_bitop2_b32 v4, 7, v4 bitop3:0x40
	v_cndmask_b32_e32 v7, v9, v7, vcc_lo
	s_delay_alu instid0(VALU_DEP_2) | instskip(NEXT) | instid1(VALU_DEP_3)
	v_cndmask_b32_e32 v4, v5, v4, vcc_lo
	v_and_b32_e32 v5, 0x80000000, v6
	s_delay_alu instid0(VALU_DEP_3) | instskip(NEXT) | instid1(VALU_DEP_3)
	v_lshl_add_u32 v6, v7, 23, 0x3b800000
	v_lshlrev_b32_e32 v4, 20, v4
	s_delay_alu instid0(VALU_DEP_1) | instskip(NEXT) | instid1(VALU_DEP_1)
	v_or3_b32 v4, v5, v6, v4
	v_cvt_f64_f32_e32 v[4:5], v4
.LBB6_292:
	s_or_b32 exec_lo, exec_lo, s22
.LBB6_293:
	s_mov_b32 s21, -1
.LBB6_294:
	s_mov_b32 s22, 0
.LBB6_295:
	s_delay_alu instid0(SALU_CYCLE_1)
	s_and_b32 vcc_lo, exec_lo, s22
	s_cbranch_vccz .LBB6_330
; %bb.296:
	s_cmp_gt_i32 s15, 22
	s_cbranch_scc0 .LBB6_306
; %bb.297:
	s_cmp_lt_i32 s15, 24
	s_cbranch_scc1 .LBB6_309
; %bb.298:
	s_cmp_gt_i32 s15, 24
	s_cbranch_scc0 .LBB6_310
; %bb.299:
	global_load_u8 v6, v[2:3], off
	s_mov_b32 s21, 0
	s_mov_b32 s22, exec_lo
	s_wait_loadcnt 0x0
	v_cmpx_lt_i16_e32 0x7f, v6
	s_xor_b32 s22, exec_lo, s22
	s_cbranch_execz .LBB6_322
; %bb.300:
	s_mov_b32 s21, -1
	s_mov_b32 s23, exec_lo
	v_cmpx_eq_u16_e32 0x80, v6
; %bb.301:
	s_xor_b32 s21, exec_lo, -1
; %bb.302:
	s_or_b32 exec_lo, exec_lo, s23
	s_delay_alu instid0(SALU_CYCLE_1)
	s_and_b32 s21, s21, exec_lo
	s_or_saveexec_b32 s22, s22
	v_mov_b64_e32 v[4:5], 0x7ff8000020000000
	s_xor_b32 exec_lo, exec_lo, s22
	s_cbranch_execnz .LBB6_323
.LBB6_303:
	s_or_b32 exec_lo, exec_lo, s22
	s_and_saveexec_b32 s22, s21
	s_cbranch_execz .LBB6_305
.LBB6_304:
	v_and_b32_e32 v4, 0xffff, v6
	s_delay_alu instid0(VALU_DEP_1) | instskip(SKIP_1) | instid1(VALU_DEP_2)
	v_and_b32_e32 v5, 3, v4
	v_bfe_u32 v9, v4, 2, 5
	v_clz_i32_u32_e32 v7, v5
	s_delay_alu instid0(VALU_DEP_2) | instskip(NEXT) | instid1(VALU_DEP_2)
	v_cmp_eq_u32_e32 vcc_lo, 0, v9
	v_min_u32_e32 v7, 32, v7
	s_delay_alu instid0(VALU_DEP_1) | instskip(NEXT) | instid1(VALU_DEP_1)
	v_subrev_nc_u32_e32 v8, 29, v7
	v_dual_lshlrev_b32 v4, v8, v4 :: v_dual_sub_nc_u32 v7, 30, v7
	s_delay_alu instid0(VALU_DEP_1) | instskip(NEXT) | instid1(VALU_DEP_2)
	v_dual_lshlrev_b32 v6, 24, v6 :: v_dual_bitop2_b32 v4, 3, v4 bitop3:0x40
	v_cndmask_b32_e32 v7, v9, v7, vcc_lo
	s_delay_alu instid0(VALU_DEP_2) | instskip(NEXT) | instid1(VALU_DEP_3)
	v_cndmask_b32_e32 v4, v5, v4, vcc_lo
	v_and_b32_e32 v5, 0x80000000, v6
	s_delay_alu instid0(VALU_DEP_3) | instskip(NEXT) | instid1(VALU_DEP_3)
	v_lshl_add_u32 v6, v7, 23, 0x37800000
	v_lshlrev_b32_e32 v4, 21, v4
	s_delay_alu instid0(VALU_DEP_1) | instskip(NEXT) | instid1(VALU_DEP_1)
	v_or3_b32 v4, v5, v6, v4
	v_cvt_f64_f32_e32 v[4:5], v4
.LBB6_305:
	s_or_b32 exec_lo, exec_lo, s22
	s_mov_b32 s21, 0
	s_branch .LBB6_311
.LBB6_306:
	s_mov_b32 s22, -1
                                        ; implicit-def: $vgpr4_vgpr5
	s_branch .LBB6_317
.LBB6_307:
	s_or_saveexec_b32 s22, s22
	v_mov_b64_e32 v[4:5], 0x7ff8000020000000
	s_xor_b32 exec_lo, exec_lo, s22
	s_cbranch_execz .LBB6_290
.LBB6_308:
	v_cmp_ne_u16_e32 vcc_lo, 0, v6
	v_mov_b64_e32 v[4:5], 0
	s_and_not1_b32 s21, s21, exec_lo
	s_and_b32 s23, vcc_lo, exec_lo
	s_delay_alu instid0(SALU_CYCLE_1)
	s_or_b32 s21, s21, s23
	s_or_b32 exec_lo, exec_lo, s22
	s_and_saveexec_b32 s22, s21
	s_cbranch_execnz .LBB6_291
	s_branch .LBB6_292
.LBB6_309:
	s_mov_b32 s21, -1
                                        ; implicit-def: $vgpr4_vgpr5
	s_branch .LBB6_314
.LBB6_310:
	s_mov_b32 s21, -1
                                        ; implicit-def: $vgpr4_vgpr5
.LBB6_311:
	s_delay_alu instid0(SALU_CYCLE_1)
	s_and_b32 vcc_lo, exec_lo, s21
	s_cbranch_vccz .LBB6_313
; %bb.312:
	global_load_u8 v4, v[2:3], off
	s_wait_loadcnt 0x0
	v_lshlrev_b32_e32 v4, 24, v4
	s_delay_alu instid0(VALU_DEP_1) | instskip(NEXT) | instid1(VALU_DEP_1)
	v_and_b32_e32 v5, 0x7f000000, v4
	v_clz_i32_u32_e32 v6, v5
	v_cmp_ne_u32_e32 vcc_lo, 0, v5
	v_add_nc_u32_e32 v8, 0x1000000, v5
	s_delay_alu instid0(VALU_DEP_3) | instskip(NEXT) | instid1(VALU_DEP_1)
	v_min_u32_e32 v6, 32, v6
	v_sub_nc_u32_e64 v6, v6, 4 clamp
	s_delay_alu instid0(VALU_DEP_1) | instskip(NEXT) | instid1(VALU_DEP_1)
	v_dual_lshlrev_b32 v7, v6, v5 :: v_dual_lshlrev_b32 v6, 23, v6
	v_lshrrev_b32_e32 v7, 4, v7
	s_delay_alu instid0(VALU_DEP_1) | instskip(NEXT) | instid1(VALU_DEP_1)
	v_dual_sub_nc_u32 v6, v7, v6 :: v_dual_ashrrev_i32 v7, 8, v8
	v_add_nc_u32_e32 v6, 0x3c000000, v6
	s_delay_alu instid0(VALU_DEP_1) | instskip(NEXT) | instid1(VALU_DEP_1)
	v_and_or_b32 v6, 0x7f800000, v7, v6
	v_cndmask_b32_e32 v5, 0, v6, vcc_lo
	s_delay_alu instid0(VALU_DEP_1) | instskip(NEXT) | instid1(VALU_DEP_1)
	v_and_or_b32 v4, 0x80000000, v4, v5
	v_cvt_f64_f32_e32 v[4:5], v4
.LBB6_313:
	s_mov_b32 s21, 0
.LBB6_314:
	s_delay_alu instid0(SALU_CYCLE_1)
	s_and_not1_b32 vcc_lo, exec_lo, s21
	s_cbranch_vccnz .LBB6_316
; %bb.315:
	global_load_u8 v4, v[2:3], off
	s_wait_loadcnt 0x0
	v_lshlrev_b32_e32 v5, 25, v4
	v_lshlrev_b16 v4, 8, v4
	s_delay_alu instid0(VALU_DEP_1) | instskip(SKIP_1) | instid1(VALU_DEP_2)
	v_and_or_b32 v7, 0x7f00, v4, 0.5
	v_bfe_i32 v4, v4, 0, 16
	v_dual_add_f32 v7, -0.5, v7 :: v_dual_lshrrev_b32 v6, 4, v5
	v_cmp_gt_u32_e32 vcc_lo, 0x8000000, v5
	s_delay_alu instid0(VALU_DEP_2) | instskip(NEXT) | instid1(VALU_DEP_1)
	v_or_b32_e32 v6, 0x70000000, v6
	v_mul_f32_e32 v6, 0x7800000, v6
	s_delay_alu instid0(VALU_DEP_1) | instskip(NEXT) | instid1(VALU_DEP_1)
	v_cndmask_b32_e32 v5, v6, v7, vcc_lo
	v_and_or_b32 v4, 0x80000000, v4, v5
	s_delay_alu instid0(VALU_DEP_1)
	v_cvt_f64_f32_e32 v[4:5], v4
.LBB6_316:
	s_mov_b32 s22, 0
	s_mov_b32 s21, -1
.LBB6_317:
	s_and_not1_b32 vcc_lo, exec_lo, s22
	s_cbranch_vccnz .LBB6_330
; %bb.318:
	s_cmp_gt_i32 s15, 14
	s_cbranch_scc0 .LBB6_321
; %bb.319:
	s_cmp_eq_u32 s15, 15
	s_cbranch_scc0 .LBB6_324
; %bb.320:
	global_load_u16 v4, v[2:3], off
	s_mov_b32 s21, -1
	s_mov_b32 s17, 0
	s_wait_loadcnt 0x0
	v_lshlrev_b32_e32 v4, 16, v4
	s_delay_alu instid0(VALU_DEP_1)
	v_cvt_f64_f32_e32 v[4:5], v4
	s_branch .LBB6_325
.LBB6_321:
	s_mov_b32 s22, -1
                                        ; implicit-def: $vgpr4_vgpr5
	s_branch .LBB6_326
.LBB6_322:
	s_or_saveexec_b32 s22, s22
	v_mov_b64_e32 v[4:5], 0x7ff8000020000000
	s_xor_b32 exec_lo, exec_lo, s22
	s_cbranch_execz .LBB6_303
.LBB6_323:
	v_cmp_ne_u16_e32 vcc_lo, 0, v6
	v_mov_b64_e32 v[4:5], 0
	s_and_not1_b32 s21, s21, exec_lo
	s_and_b32 s23, vcc_lo, exec_lo
	s_delay_alu instid0(SALU_CYCLE_1)
	s_or_b32 s21, s21, s23
	s_or_b32 exec_lo, exec_lo, s22
	s_and_saveexec_b32 s22, s21
	s_cbranch_execnz .LBB6_304
	s_branch .LBB6_305
.LBB6_324:
	s_mov_b32 s17, -1
                                        ; implicit-def: $vgpr4_vgpr5
.LBB6_325:
	s_mov_b32 s22, 0
.LBB6_326:
	s_delay_alu instid0(SALU_CYCLE_1)
	s_and_b32 vcc_lo, exec_lo, s22
	s_cbranch_vccz .LBB6_330
; %bb.327:
	s_cmp_eq_u32 s15, 11
	s_cbranch_scc0 .LBB6_329
; %bb.328:
	global_load_u8 v4, v[2:3], off
	s_mov_b32 s17, 0
	s_mov_b32 s21, -1
	s_wait_loadcnt 0x0
	v_cmp_ne_u16_e32 vcc_lo, 0, v4
	v_mov_b32_e32 v4, 0
	v_cndmask_b32_e64 v5, 0, 0x3ff00000, vcc_lo
	s_branch .LBB6_330
.LBB6_329:
	s_mov_b32 s17, -1
                                        ; implicit-def: $vgpr4_vgpr5
.LBB6_330:
	s_branch .LBB6_20
.LBB6_331:
	s_and_b32 s0, 0xffff, s0
	s_delay_alu instid0(SALU_CYCLE_1)
	s_cmp_lt_i32 s0, 5
	s_cbranch_scc1 .LBB6_336
; %bb.332:
	s_cmp_lt_i32 s0, 8
	s_cbranch_scc1 .LBB6_337
; %bb.333:
	;; [unrolled: 3-line block ×3, first 2 shown]
	s_cmp_gt_i32 s0, 9
	s_cbranch_scc0 .LBB6_339
; %bb.335:
	global_load_b64 v[4:5], v[2:3], off
	s_mov_b32 s15, 0
	s_branch .LBB6_340
.LBB6_336:
	s_mov_b32 s15, -1
                                        ; implicit-def: $vgpr4_vgpr5
	s_branch .LBB6_358
.LBB6_337:
	s_mov_b32 s15, -1
                                        ; implicit-def: $vgpr4_vgpr5
	s_branch .LBB6_346
.LBB6_338:
	s_mov_b32 s15, -1
                                        ; implicit-def: $vgpr4_vgpr5
	s_branch .LBB6_343
.LBB6_339:
	s_mov_b32 s15, -1
                                        ; implicit-def: $vgpr4_vgpr5
.LBB6_340:
	s_delay_alu instid0(SALU_CYCLE_1)
	s_and_not1_b32 vcc_lo, exec_lo, s15
	s_cbranch_vccnz .LBB6_342
; %bb.341:
	s_wait_loadcnt 0x0
	global_load_b32 v4, v[2:3], off
	s_wait_loadcnt 0x0
	v_cvt_f64_f32_e32 v[4:5], v4
.LBB6_342:
	s_mov_b32 s15, 0
.LBB6_343:
	s_delay_alu instid0(SALU_CYCLE_1)
	s_and_not1_b32 vcc_lo, exec_lo, s15
	s_cbranch_vccnz .LBB6_345
; %bb.344:
	s_wait_loadcnt 0x0
	global_load_b32 v4, v[2:3], off
	s_wait_loadcnt 0x0
	v_cvt_f32_f16_e32 v4, v4
	s_delay_alu instid0(VALU_DEP_1)
	v_cvt_f64_f32_e32 v[4:5], v4
.LBB6_345:
	s_mov_b32 s15, 0
.LBB6_346:
	s_delay_alu instid0(SALU_CYCLE_1)
	s_and_not1_b32 vcc_lo, exec_lo, s15
	s_cbranch_vccnz .LBB6_357
; %bb.347:
	s_cmp_lt_i32 s0, 6
	s_cbranch_scc1 .LBB6_350
; %bb.348:
	s_cmp_gt_i32 s0, 6
	s_cbranch_scc0 .LBB6_351
; %bb.349:
	s_wait_loadcnt 0x0
	global_load_b64 v[4:5], v[2:3], off
	s_mov_b32 s15, 0
	s_branch .LBB6_352
.LBB6_350:
	s_mov_b32 s15, -1
                                        ; implicit-def: $vgpr4_vgpr5
	s_branch .LBB6_355
.LBB6_351:
	s_mov_b32 s15, -1
                                        ; implicit-def: $vgpr4_vgpr5
.LBB6_352:
	s_delay_alu instid0(SALU_CYCLE_1)
	s_and_not1_b32 vcc_lo, exec_lo, s15
	s_cbranch_vccnz .LBB6_354
; %bb.353:
	s_wait_loadcnt 0x0
	global_load_b32 v4, v[2:3], off
	s_wait_loadcnt 0x0
	v_cvt_f64_f32_e32 v[4:5], v4
.LBB6_354:
	s_mov_b32 s15, 0
.LBB6_355:
	s_delay_alu instid0(SALU_CYCLE_1)
	s_and_not1_b32 vcc_lo, exec_lo, s15
	s_cbranch_vccnz .LBB6_357
; %bb.356:
	s_wait_loadcnt 0x0
	global_load_u16 v4, v[2:3], off
	s_wait_loadcnt 0x0
	v_cvt_f32_f16_e32 v4, v4
	s_delay_alu instid0(VALU_DEP_1)
	v_cvt_f64_f32_e32 v[4:5], v4
.LBB6_357:
	s_mov_b32 s15, 0
.LBB6_358:
	s_delay_alu instid0(SALU_CYCLE_1)
	s_and_not1_b32 vcc_lo, exec_lo, s15
	s_cbranch_vccnz .LBB6_378
; %bb.359:
	s_cmp_lt_i32 s0, 2
	s_cbranch_scc1 .LBB6_363
; %bb.360:
	s_cmp_lt_i32 s0, 3
	s_cbranch_scc1 .LBB6_364
; %bb.361:
	s_cmp_gt_i32 s0, 3
	s_cbranch_scc0 .LBB6_365
; %bb.362:
	s_wait_loadcnt 0x0
	global_load_b64 v[4:5], v[2:3], off
	s_mov_b32 s15, 0
	s_wait_loadcnt 0x0
	v_cvt_f64_i32_e32 v[6:7], v5
	v_cvt_f64_u32_e32 v[4:5], v4
	s_delay_alu instid0(VALU_DEP_2) | instskip(NEXT) | instid1(VALU_DEP_1)
	v_ldexp_f64 v[6:7], v[6:7], 32
	v_add_f64_e32 v[4:5], v[6:7], v[4:5]
	s_branch .LBB6_366
.LBB6_363:
	s_mov_b32 s15, -1
                                        ; implicit-def: $vgpr4_vgpr5
	s_branch .LBB6_372
.LBB6_364:
	s_mov_b32 s15, -1
                                        ; implicit-def: $vgpr4_vgpr5
	s_branch .LBB6_369
.LBB6_365:
	s_mov_b32 s15, -1
                                        ; implicit-def: $vgpr4_vgpr5
.LBB6_366:
	s_delay_alu instid0(SALU_CYCLE_1)
	s_and_not1_b32 vcc_lo, exec_lo, s15
	s_cbranch_vccnz .LBB6_368
; %bb.367:
	s_wait_loadcnt 0x0
	global_load_b32 v4, v[2:3], off
	s_wait_loadcnt 0x0
	v_cvt_f64_i32_e32 v[4:5], v4
.LBB6_368:
	s_mov_b32 s15, 0
.LBB6_369:
	s_delay_alu instid0(SALU_CYCLE_1)
	s_and_not1_b32 vcc_lo, exec_lo, s15
	s_cbranch_vccnz .LBB6_371
; %bb.370:
	s_wait_loadcnt 0x0
	global_load_i16 v4, v[2:3], off
	s_wait_loadcnt 0x0
	v_cvt_f64_i32_e32 v[4:5], v4
.LBB6_371:
	s_mov_b32 s15, 0
.LBB6_372:
	s_delay_alu instid0(SALU_CYCLE_1)
	s_and_not1_b32 vcc_lo, exec_lo, s15
	s_cbranch_vccnz .LBB6_378
; %bb.373:
	s_cmp_gt_i32 s0, 0
	s_mov_b32 s0, 0
	s_cbranch_scc0 .LBB6_375
; %bb.374:
	s_wait_loadcnt 0x0
	global_load_i8 v4, v[2:3], off
	s_wait_loadcnt 0x0
	v_cvt_f64_i32_e32 v[4:5], v4
	s_branch .LBB6_376
.LBB6_375:
	s_mov_b32 s0, -1
                                        ; implicit-def: $vgpr4_vgpr5
.LBB6_376:
	s_delay_alu instid0(SALU_CYCLE_1)
	s_and_not1_b32 vcc_lo, exec_lo, s0
	s_cbranch_vccnz .LBB6_378
; %bb.377:
	global_load_u8 v2, v[2:3], off
	s_wait_loadcnt 0x0
	v_cvt_f64_u32_e32 v[4:5], v2
.LBB6_378:
	s_branch .LBB6_21
.LBB6_379:
	s_mov_b32 s0, 0
.LBB6_380:
	s_mov_b32 s21, 0
                                        ; implicit-def: $vgpr18
.LBB6_381:
	s_and_b32 s15, s0, exec_lo
	s_and_b32 s17, s17, exec_lo
	;; [unrolled: 1-line block ×3, first 2 shown]
	s_or_not1_b32 s23, s21, exec_lo
.LBB6_382:
	s_wait_xcnt 0x0
	s_or_b32 exec_lo, exec_lo, s19
	s_mov_b32 s22, 0
	s_mov_b32 s21, 0
                                        ; implicit-def: $sgpr0
                                        ; implicit-def: $vgpr0_vgpr1
                                        ; implicit-def: $vgpr2_vgpr3
	s_and_saveexec_b32 s19, s23
	s_cbranch_execz .LBB6_391
; %bb.383:
	s_mov_b32 s25, -1
	s_mov_b32 s20, s18
	s_mov_b32 s22, s17
	s_mov_b32 s21, s15
	s_mov_b32 s23, exec_lo
	v_cmpx_gt_i32_e64 s16, v18
	s_cbranch_execz .LBB6_775
; %bb.384:
	s_wait_loadcnt 0x0
	v_mul_lo_u32 v0, v18, s9
	s_and_b32 s0, s13, 0xff
	s_delay_alu instid0(SALU_CYCLE_1) | instskip(NEXT) | instid1(VALU_DEP_1)
	s_cmp_lt_i32 s0, 11
	v_ashrrev_i32_e32 v1, 31, v0
	s_delay_alu instid0(VALU_DEP_1)
	v_add_nc_u64_e32 v[2:3], s[6:7], v[0:1]
	s_cbranch_scc1 .LBB6_394
; %bb.385:
	s_and_b32 s21, 0xffff, s0
	s_delay_alu instid0(SALU_CYCLE_1)
	s_cmp_gt_i32 s21, 25
	s_cbranch_scc0 .LBB6_403
; %bb.386:
	s_cmp_gt_i32 s21, 28
	s_cbranch_scc0 .LBB6_405
; %bb.387:
	;; [unrolled: 3-line block ×4, first 2 shown]
	s_cmp_eq_u32 s21, 46
	s_mov_b32 s24, 0
	s_cbranch_scc0 .LBB6_413
; %bb.390:
	global_load_b32 v0, v[2:3], off
	s_mov_b32 s22, -1
	s_mov_b32 s20, 0
	s_wait_loadcnt 0x0
	v_lshlrev_b32_e32 v0, 16, v0
	s_delay_alu instid0(VALU_DEP_1)
	v_cvt_f64_f32_e32 v[0:1], v0
	s_branch .LBB6_415
.LBB6_391:
	s_or_b32 exec_lo, exec_lo, s19
	s_mov_b32 s16, 0
	s_and_saveexec_b32 s19, s18
	s_cbranch_execnz .LBB6_1251
.LBB6_392:
	s_or_b32 exec_lo, exec_lo, s19
	s_and_saveexec_b32 s18, s20
	s_delay_alu instid0(SALU_CYCLE_1)
	s_xor_b32 s18, exec_lo, s18
	s_cbranch_execz .LBB6_1252
.LBB6_393:
	s_wait_loadcnt 0x0
	global_load_u8 v2, v[0:1], off
	s_or_b32 s21, s21, exec_lo
	s_wait_loadcnt 0x0
	v_cmp_ne_u16_e32 vcc_lo, 0, v2
	v_mov_b32_e32 v2, 0
	v_cndmask_b32_e64 v3, 0, 0x3ff00000, vcc_lo
	s_wait_xcnt 0x0
	s_or_b32 exec_lo, exec_lo, s18
	s_and_saveexec_b32 s18, s22
	s_cbranch_execz .LBB6_1298
	s_branch .LBB6_1253
.LBB6_394:
	s_mov_b32 s22, 0
	s_mov_b32 s20, s18
                                        ; implicit-def: $vgpr0_vgpr1
	s_cbranch_execnz .LBB6_481
.LBB6_395:
	s_and_not1_b32 vcc_lo, exec_lo, s22
	s_cbranch_vccnz .LBB6_529
.LBB6_396:
	s_wait_xcnt 0x0
	v_mul_lo_u32 v2, v18, s10
	s_and_b32 s0, s1, 0xff
	s_delay_alu instid0(SALU_CYCLE_1) | instskip(NEXT) | instid1(VALU_DEP_1)
	s_cmp_lt_i32 s0, 11
	v_ashrrev_i32_e32 v3, 31, v2
	s_delay_alu instid0(VALU_DEP_1)
	v_add_nc_u64_e32 v[2:3], s[2:3], v[2:3]
	s_cbranch_scc1 .LBB6_404
; %bb.397:
	s_and_b32 s21, 0xffff, s0
	s_delay_alu instid0(SALU_CYCLE_1)
	s_cmp_gt_i32 s21, 25
	s_cbranch_scc0 .LBB6_406
; %bb.398:
	s_cmp_gt_i32 s21, 28
	s_cbranch_scc0 .LBB6_408
; %bb.399:
	;; [unrolled: 3-line block ×4, first 2 shown]
	s_cmp_eq_u32 s21, 46
	s_mov_b32 s25, 0
	s_cbranch_scc0 .LBB6_532
; %bb.402:
	global_load_b32 v4, v[2:3], off
	s_mov_b32 s24, -1
	s_mov_b32 s22, 0
	s_wait_loadcnt 0x0
	v_lshlrev_b32_e32 v4, 16, v4
	s_delay_alu instid0(VALU_DEP_1)
	v_cvt_f64_f32_e32 v[4:5], v4
	s_branch .LBB6_534
.LBB6_403:
	s_mov_b32 s24, -1
	s_mov_b32 s22, 0
	s_mov_b32 s20, s18
                                        ; implicit-def: $vgpr0_vgpr1
	s_branch .LBB6_445
.LBB6_404:
	s_mov_b32 s21, -1
	s_mov_b32 s24, 0
	s_mov_b32 s22, s17
                                        ; implicit-def: $vgpr4_vgpr5
	s_branch .LBB6_599
.LBB6_405:
	s_mov_b32 s24, -1
	s_mov_b32 s22, 0
	s_mov_b32 s20, s18
                                        ; implicit-def: $vgpr0_vgpr1
	s_branch .LBB6_426
.LBB6_406:
	s_mov_b32 s25, -1
	s_mov_b32 s24, 0
	s_mov_b32 s22, s17
                                        ; implicit-def: $vgpr4_vgpr5
	s_branch .LBB6_563
.LBB6_407:
	s_mov_b32 s24, -1
	s_mov_b32 s22, 0
	s_mov_b32 s20, s18
                                        ; implicit-def: $vgpr0_vgpr1
	s_branch .LBB6_421
.LBB6_408:
	s_mov_b32 s25, -1
	s_mov_b32 s24, 0
	s_mov_b32 s22, s17
                                        ; implicit-def: $vgpr4_vgpr5
	s_branch .LBB6_544
.LBB6_409:
	s_mov_b32 s24, -1
	s_mov_b32 s22, 0
	s_mov_b32 s20, s18
	s_branch .LBB6_414
.LBB6_410:
	s_mov_b32 s25, -1
	s_mov_b32 s24, 0
	s_mov_b32 s22, s17
                                        ; implicit-def: $vgpr4_vgpr5
	s_branch .LBB6_539
.LBB6_411:
	s_and_not1_saveexec_b32 s24, s24
	s_cbranch_execz .LBB6_180
.LBB6_412:
	v_add_f32_e64 v3, 0x46000000, |v2|
	s_and_not1_b32 s23, s23, exec_lo
	s_delay_alu instid0(VALU_DEP_1) | instskip(NEXT) | instid1(VALU_DEP_1)
	v_and_b32_e32 v3, 0xff, v3
	v_cmp_ne_u32_e32 vcc_lo, 0, v3
	s_and_b32 s25, vcc_lo, exec_lo
	s_delay_alu instid0(SALU_CYCLE_1)
	s_or_b32 s23, s23, s25
	s_or_b32 exec_lo, exec_lo, s24
	v_mov_b32_e32 v6, 0
	s_and_saveexec_b32 s24, s23
	s_cbranch_execnz .LBB6_181
	s_branch .LBB6_182
.LBB6_413:
	s_mov_b32 s20, -1
	s_mov_b32 s22, 0
.LBB6_414:
                                        ; implicit-def: $vgpr0_vgpr1
.LBB6_415:
	s_and_b32 vcc_lo, exec_lo, s24
	s_cbranch_vccz .LBB6_420
; %bb.416:
	s_cmp_eq_u32 s21, 44
	s_cbranch_scc0 .LBB6_419
; %bb.417:
	global_load_u8 v4, v[2:3], off
	s_mov_b32 s20, 0
	s_mov_b32 s22, -1
	s_wait_loadcnt 0x0
	v_cmp_ne_u32_e32 vcc_lo, 0xff, v4
	v_lshlrev_b32_e32 v0, 23, v4
	s_delay_alu instid0(VALU_DEP_1) | instskip(NEXT) | instid1(VALU_DEP_1)
	v_cvt_f64_f32_e32 v[0:1], v0
	v_cndmask_b32_e32 v0, 0x20000000, v0, vcc_lo
	s_delay_alu instid0(VALU_DEP_2) | instskip(SKIP_1) | instid1(VALU_DEP_2)
	v_cndmask_b32_e32 v1, 0x7ff80000, v1, vcc_lo
	v_cmp_ne_u32_e32 vcc_lo, 0, v4
	v_cndmask_b32_e32 v1, 0x38000000, v1, vcc_lo
	s_delay_alu instid0(VALU_DEP_4)
	v_cndmask_b32_e32 v0, 0, v0, vcc_lo
	s_branch .LBB6_420
.LBB6_418:
	s_mov_b32 s25, -1
	s_mov_b32 s24, 0
	s_mov_b32 s22, s17
	s_branch .LBB6_533
.LBB6_419:
	s_mov_b32 s20, -1
                                        ; implicit-def: $vgpr0_vgpr1
.LBB6_420:
	s_mov_b32 s24, 0
.LBB6_421:
	s_delay_alu instid0(SALU_CYCLE_1)
	s_and_b32 vcc_lo, exec_lo, s24
	s_cbranch_vccz .LBB6_425
; %bb.422:
	s_cmp_eq_u32 s21, 29
	s_cbranch_scc0 .LBB6_424
; %bb.423:
	global_load_b64 v[0:1], v[2:3], off
	s_mov_b32 s22, -1
	s_mov_b32 s20, 0
	s_mov_b32 s24, 0
	s_wait_loadcnt 0x0
	v_cvt_f64_u32_e32 v[4:5], v1
	v_cvt_f64_u32_e32 v[0:1], v0
	s_delay_alu instid0(VALU_DEP_2) | instskip(NEXT) | instid1(VALU_DEP_1)
	v_ldexp_f64 v[4:5], v[4:5], 32
	v_add_f64_e32 v[0:1], v[4:5], v[0:1]
	s_branch .LBB6_426
.LBB6_424:
	s_mov_b32 s20, -1
                                        ; implicit-def: $vgpr0_vgpr1
.LBB6_425:
	s_mov_b32 s24, 0
.LBB6_426:
	s_delay_alu instid0(SALU_CYCLE_1)
	s_and_b32 vcc_lo, exec_lo, s24
	s_cbranch_vccz .LBB6_444
; %bb.427:
	s_cmp_lt_i32 s21, 27
	s_cbranch_scc1 .LBB6_430
; %bb.428:
	s_cmp_gt_i32 s21, 27
	s_cbranch_scc0 .LBB6_431
; %bb.429:
	global_load_b32 v0, v[2:3], off
	s_mov_b32 s22, 0
	s_wait_loadcnt 0x0
	v_cvt_f64_u32_e32 v[0:1], v0
	s_branch .LBB6_432
.LBB6_430:
	s_mov_b32 s22, -1
                                        ; implicit-def: $vgpr0_vgpr1
	s_branch .LBB6_435
.LBB6_431:
	s_mov_b32 s22, -1
                                        ; implicit-def: $vgpr0_vgpr1
.LBB6_432:
	s_delay_alu instid0(SALU_CYCLE_1)
	s_and_not1_b32 vcc_lo, exec_lo, s22
	s_cbranch_vccnz .LBB6_434
; %bb.433:
	global_load_u16 v0, v[2:3], off
	s_wait_loadcnt 0x0
	v_cvt_f64_u32_e32 v[0:1], v0
.LBB6_434:
	s_mov_b32 s22, 0
.LBB6_435:
	s_delay_alu instid0(SALU_CYCLE_1)
	s_and_not1_b32 vcc_lo, exec_lo, s22
	s_cbranch_vccnz .LBB6_443
; %bb.436:
	global_load_u8 v4, v[2:3], off
	s_mov_b32 s22, 0
	s_mov_b32 s24, exec_lo
	s_wait_loadcnt 0x0
	v_cmpx_lt_i16_e32 0x7f, v4
	s_xor_b32 s24, exec_lo, s24
	s_cbranch_execz .LBB6_457
; %bb.437:
	s_mov_b32 s22, -1
	s_mov_b32 s25, exec_lo
	v_cmpx_eq_u16_e32 0x80, v4
; %bb.438:
	s_xor_b32 s22, exec_lo, -1
; %bb.439:
	s_or_b32 exec_lo, exec_lo, s25
	s_delay_alu instid0(SALU_CYCLE_1)
	s_and_b32 s22, s22, exec_lo
	s_or_saveexec_b32 s24, s24
	v_mov_b64_e32 v[0:1], 0x7ff8000020000000
	s_xor_b32 exec_lo, exec_lo, s24
	s_cbranch_execnz .LBB6_458
.LBB6_440:
	s_or_b32 exec_lo, exec_lo, s24
	s_and_saveexec_b32 s24, s22
	s_cbranch_execz .LBB6_442
.LBB6_441:
	v_and_b32_e32 v0, 0xffff, v4
	s_delay_alu instid0(VALU_DEP_1) | instskip(SKIP_1) | instid1(VALU_DEP_2)
	v_and_b32_e32 v1, 7, v0
	v_bfe_u32 v7, v0, 3, 4
	v_clz_i32_u32_e32 v5, v1
	s_delay_alu instid0(VALU_DEP_2) | instskip(NEXT) | instid1(VALU_DEP_2)
	v_cmp_eq_u32_e32 vcc_lo, 0, v7
	v_min_u32_e32 v5, 32, v5
	s_delay_alu instid0(VALU_DEP_1) | instskip(NEXT) | instid1(VALU_DEP_1)
	v_subrev_nc_u32_e32 v6, 28, v5
	v_dual_lshlrev_b32 v0, v6, v0 :: v_dual_sub_nc_u32 v5, 29, v5
	s_delay_alu instid0(VALU_DEP_1) | instskip(NEXT) | instid1(VALU_DEP_2)
	v_and_b32_e32 v0, 7, v0
	v_dual_cndmask_b32 v5, v7, v5 :: v_dual_lshlrev_b32 v4, 24, v4
	s_delay_alu instid0(VALU_DEP_2) | instskip(NEXT) | instid1(VALU_DEP_2)
	v_cndmask_b32_e32 v0, v1, v0, vcc_lo
	v_and_b32_e32 v1, 0x80000000, v4
	s_delay_alu instid0(VALU_DEP_3) | instskip(NEXT) | instid1(VALU_DEP_3)
	v_lshl_add_u32 v4, v5, 23, 0x3b800000
	v_lshlrev_b32_e32 v0, 20, v0
	s_delay_alu instid0(VALU_DEP_1) | instskip(NEXT) | instid1(VALU_DEP_1)
	v_or3_b32 v0, v1, v4, v0
	v_cvt_f64_f32_e32 v[0:1], v0
.LBB6_442:
	s_or_b32 exec_lo, exec_lo, s24
.LBB6_443:
	s_mov_b32 s22, -1
.LBB6_444:
	s_mov_b32 s24, 0
.LBB6_445:
	s_delay_alu instid0(SALU_CYCLE_1)
	s_and_b32 vcc_lo, exec_lo, s24
	s_cbranch_vccz .LBB6_480
; %bb.446:
	s_cmp_gt_i32 s21, 22
	s_cbranch_scc0 .LBB6_456
; %bb.447:
	s_cmp_lt_i32 s21, 24
	s_cbranch_scc1 .LBB6_459
; %bb.448:
	s_cmp_gt_i32 s21, 24
	s_cbranch_scc0 .LBB6_460
; %bb.449:
	global_load_u8 v4, v[2:3], off
	s_mov_b32 s22, 0
	s_mov_b32 s24, exec_lo
	s_wait_loadcnt 0x0
	v_cmpx_lt_i16_e32 0x7f, v4
	s_xor_b32 s24, exec_lo, s24
	s_cbranch_execz .LBB6_472
; %bb.450:
	s_mov_b32 s22, -1
	s_mov_b32 s25, exec_lo
	v_cmpx_eq_u16_e32 0x80, v4
; %bb.451:
	s_xor_b32 s22, exec_lo, -1
; %bb.452:
	s_or_b32 exec_lo, exec_lo, s25
	s_delay_alu instid0(SALU_CYCLE_1)
	s_and_b32 s22, s22, exec_lo
	s_or_saveexec_b32 s24, s24
	v_mov_b64_e32 v[0:1], 0x7ff8000020000000
	s_xor_b32 exec_lo, exec_lo, s24
	s_cbranch_execnz .LBB6_473
.LBB6_453:
	s_or_b32 exec_lo, exec_lo, s24
	s_and_saveexec_b32 s24, s22
	s_cbranch_execz .LBB6_455
.LBB6_454:
	v_and_b32_e32 v0, 0xffff, v4
	s_delay_alu instid0(VALU_DEP_1) | instskip(SKIP_1) | instid1(VALU_DEP_2)
	v_and_b32_e32 v1, 3, v0
	v_bfe_u32 v7, v0, 2, 5
	v_clz_i32_u32_e32 v5, v1
	s_delay_alu instid0(VALU_DEP_2) | instskip(NEXT) | instid1(VALU_DEP_2)
	v_cmp_eq_u32_e32 vcc_lo, 0, v7
	v_min_u32_e32 v5, 32, v5
	s_delay_alu instid0(VALU_DEP_1) | instskip(NEXT) | instid1(VALU_DEP_1)
	v_subrev_nc_u32_e32 v6, 29, v5
	v_dual_lshlrev_b32 v0, v6, v0 :: v_dual_sub_nc_u32 v5, 30, v5
	s_delay_alu instid0(VALU_DEP_1) | instskip(NEXT) | instid1(VALU_DEP_2)
	v_and_b32_e32 v0, 3, v0
	v_dual_cndmask_b32 v5, v7, v5 :: v_dual_lshlrev_b32 v4, 24, v4
	s_delay_alu instid0(VALU_DEP_2) | instskip(NEXT) | instid1(VALU_DEP_2)
	v_cndmask_b32_e32 v0, v1, v0, vcc_lo
	v_and_b32_e32 v1, 0x80000000, v4
	s_delay_alu instid0(VALU_DEP_3) | instskip(NEXT) | instid1(VALU_DEP_3)
	v_lshl_add_u32 v4, v5, 23, 0x37800000
	v_lshlrev_b32_e32 v0, 21, v0
	s_delay_alu instid0(VALU_DEP_1) | instskip(NEXT) | instid1(VALU_DEP_1)
	v_or3_b32 v0, v1, v4, v0
	v_cvt_f64_f32_e32 v[0:1], v0
.LBB6_455:
	s_or_b32 exec_lo, exec_lo, s24
	s_mov_b32 s22, 0
	s_branch .LBB6_461
.LBB6_456:
	s_mov_b32 s24, -1
                                        ; implicit-def: $vgpr0_vgpr1
	s_branch .LBB6_467
.LBB6_457:
	s_or_saveexec_b32 s24, s24
	v_mov_b64_e32 v[0:1], 0x7ff8000020000000
	s_xor_b32 exec_lo, exec_lo, s24
	s_cbranch_execz .LBB6_440
.LBB6_458:
	v_cmp_ne_u16_e32 vcc_lo, 0, v4
	v_mov_b64_e32 v[0:1], 0
	s_and_not1_b32 s22, s22, exec_lo
	s_and_b32 s25, vcc_lo, exec_lo
	s_delay_alu instid0(SALU_CYCLE_1)
	s_or_b32 s22, s22, s25
	s_or_b32 exec_lo, exec_lo, s24
	s_and_saveexec_b32 s24, s22
	s_cbranch_execnz .LBB6_441
	s_branch .LBB6_442
.LBB6_459:
	s_mov_b32 s22, -1
                                        ; implicit-def: $vgpr0_vgpr1
	s_branch .LBB6_464
.LBB6_460:
	s_mov_b32 s22, -1
                                        ; implicit-def: $vgpr0_vgpr1
.LBB6_461:
	s_delay_alu instid0(SALU_CYCLE_1)
	s_and_b32 vcc_lo, exec_lo, s22
	s_cbranch_vccz .LBB6_463
; %bb.462:
	global_load_u8 v0, v[2:3], off
	s_wait_loadcnt 0x0
	v_lshlrev_b32_e32 v0, 24, v0
	s_delay_alu instid0(VALU_DEP_1) | instskip(NEXT) | instid1(VALU_DEP_1)
	v_and_b32_e32 v1, 0x7f000000, v0
	v_clz_i32_u32_e32 v4, v1
	v_cmp_ne_u32_e32 vcc_lo, 0, v1
	v_add_nc_u32_e32 v6, 0x1000000, v1
	s_delay_alu instid0(VALU_DEP_3) | instskip(NEXT) | instid1(VALU_DEP_1)
	v_min_u32_e32 v4, 32, v4
	v_sub_nc_u32_e64 v4, v4, 4 clamp
	s_delay_alu instid0(VALU_DEP_1) | instskip(NEXT) | instid1(VALU_DEP_1)
	v_dual_lshlrev_b32 v5, v4, v1 :: v_dual_lshlrev_b32 v4, 23, v4
	v_lshrrev_b32_e32 v5, 4, v5
	s_delay_alu instid0(VALU_DEP_1) | instskip(NEXT) | instid1(VALU_DEP_1)
	v_dual_sub_nc_u32 v4, v5, v4 :: v_dual_ashrrev_i32 v5, 8, v6
	v_add_nc_u32_e32 v4, 0x3c000000, v4
	s_delay_alu instid0(VALU_DEP_1) | instskip(NEXT) | instid1(VALU_DEP_1)
	v_and_or_b32 v4, 0x7f800000, v5, v4
	v_cndmask_b32_e32 v1, 0, v4, vcc_lo
	s_delay_alu instid0(VALU_DEP_1) | instskip(NEXT) | instid1(VALU_DEP_1)
	v_and_or_b32 v0, 0x80000000, v0, v1
	v_cvt_f64_f32_e32 v[0:1], v0
.LBB6_463:
	s_mov_b32 s22, 0
.LBB6_464:
	s_delay_alu instid0(SALU_CYCLE_1)
	s_and_not1_b32 vcc_lo, exec_lo, s22
	s_cbranch_vccnz .LBB6_466
; %bb.465:
	global_load_u8 v0, v[2:3], off
	s_wait_loadcnt 0x0
	v_lshlrev_b32_e32 v1, 25, v0
	v_lshlrev_b16 v0, 8, v0
	s_delay_alu instid0(VALU_DEP_1) | instskip(SKIP_1) | instid1(VALU_DEP_2)
	v_and_or_b32 v5, 0x7f00, v0, 0.5
	v_bfe_i32 v0, v0, 0, 16
	v_add_f32_e32 v5, -0.5, v5
	v_lshrrev_b32_e32 v4, 4, v1
	v_cmp_gt_u32_e32 vcc_lo, 0x8000000, v1
	s_delay_alu instid0(VALU_DEP_2) | instskip(NEXT) | instid1(VALU_DEP_1)
	v_or_b32_e32 v4, 0x70000000, v4
	v_mul_f32_e32 v4, 0x7800000, v4
	s_delay_alu instid0(VALU_DEP_1) | instskip(NEXT) | instid1(VALU_DEP_1)
	v_cndmask_b32_e32 v1, v4, v5, vcc_lo
	v_and_or_b32 v0, 0x80000000, v0, v1
	s_delay_alu instid0(VALU_DEP_1)
	v_cvt_f64_f32_e32 v[0:1], v0
.LBB6_466:
	s_mov_b32 s24, 0
	s_mov_b32 s22, -1
.LBB6_467:
	s_and_not1_b32 vcc_lo, exec_lo, s24
	s_cbranch_vccnz .LBB6_480
; %bb.468:
	s_cmp_gt_i32 s21, 14
	s_cbranch_scc0 .LBB6_471
; %bb.469:
	s_cmp_eq_u32 s21, 15
	s_cbranch_scc0 .LBB6_474
; %bb.470:
	global_load_u16 v0, v[2:3], off
	s_mov_b32 s22, -1
	s_mov_b32 s20, 0
	s_wait_loadcnt 0x0
	v_lshlrev_b32_e32 v0, 16, v0
	s_delay_alu instid0(VALU_DEP_1)
	v_cvt_f64_f32_e32 v[0:1], v0
	s_branch .LBB6_475
.LBB6_471:
	s_mov_b32 s24, -1
                                        ; implicit-def: $vgpr0_vgpr1
	s_branch .LBB6_476
.LBB6_472:
	s_or_saveexec_b32 s24, s24
	v_mov_b64_e32 v[0:1], 0x7ff8000020000000
	s_xor_b32 exec_lo, exec_lo, s24
	s_cbranch_execz .LBB6_453
.LBB6_473:
	v_cmp_ne_u16_e32 vcc_lo, 0, v4
	v_mov_b64_e32 v[0:1], 0
	s_and_not1_b32 s22, s22, exec_lo
	s_and_b32 s25, vcc_lo, exec_lo
	s_delay_alu instid0(SALU_CYCLE_1)
	s_or_b32 s22, s22, s25
	s_or_b32 exec_lo, exec_lo, s24
	s_and_saveexec_b32 s24, s22
	s_cbranch_execnz .LBB6_454
	s_branch .LBB6_455
.LBB6_474:
	s_mov_b32 s20, -1
                                        ; implicit-def: $vgpr0_vgpr1
.LBB6_475:
	s_mov_b32 s24, 0
.LBB6_476:
	s_delay_alu instid0(SALU_CYCLE_1)
	s_and_b32 vcc_lo, exec_lo, s24
	s_cbranch_vccz .LBB6_480
; %bb.477:
	s_cmp_eq_u32 s21, 11
	s_cbranch_scc0 .LBB6_479
; %bb.478:
	global_load_u8 v0, v[2:3], off
	s_mov_b32 s20, 0
	s_mov_b32 s22, -1
	s_wait_loadcnt 0x0
	v_cmp_ne_u16_e32 vcc_lo, 0, v0
	v_mov_b32_e32 v0, 0
	v_cndmask_b32_e64 v1, 0, 0x3ff00000, vcc_lo
	s_branch .LBB6_480
.LBB6_479:
	s_mov_b32 s20, -1
                                        ; implicit-def: $vgpr0_vgpr1
.LBB6_480:
	s_branch .LBB6_395
.LBB6_481:
	s_and_b32 s0, 0xffff, s0
	s_delay_alu instid0(SALU_CYCLE_1)
	s_cmp_lt_i32 s0, 5
	s_cbranch_scc1 .LBB6_486
; %bb.482:
	s_cmp_lt_i32 s0, 8
	s_cbranch_scc1 .LBB6_487
; %bb.483:
	;; [unrolled: 3-line block ×3, first 2 shown]
	s_cmp_gt_i32 s0, 9
	s_cbranch_scc0 .LBB6_489
; %bb.485:
	global_load_b64 v[0:1], v[2:3], off
	s_mov_b32 s21, 0
	s_branch .LBB6_490
.LBB6_486:
	s_mov_b32 s21, -1
                                        ; implicit-def: $vgpr0_vgpr1
	s_branch .LBB6_508
.LBB6_487:
	s_mov_b32 s21, -1
                                        ; implicit-def: $vgpr0_vgpr1
	s_branch .LBB6_496
.LBB6_488:
	s_mov_b32 s21, -1
                                        ; implicit-def: $vgpr0_vgpr1
	s_branch .LBB6_493
.LBB6_489:
	s_mov_b32 s21, -1
                                        ; implicit-def: $vgpr0_vgpr1
.LBB6_490:
	s_delay_alu instid0(SALU_CYCLE_1)
	s_and_not1_b32 vcc_lo, exec_lo, s21
	s_cbranch_vccnz .LBB6_492
; %bb.491:
	s_wait_loadcnt 0x0
	global_load_b32 v0, v[2:3], off
	s_wait_loadcnt 0x0
	v_cvt_f64_f32_e32 v[0:1], v0
.LBB6_492:
	s_mov_b32 s21, 0
.LBB6_493:
	s_delay_alu instid0(SALU_CYCLE_1)
	s_and_not1_b32 vcc_lo, exec_lo, s21
	s_cbranch_vccnz .LBB6_495
; %bb.494:
	s_wait_loadcnt 0x0
	global_load_b32 v0, v[2:3], off
	s_wait_loadcnt 0x0
	v_cvt_f32_f16_e32 v0, v0
	s_delay_alu instid0(VALU_DEP_1)
	v_cvt_f64_f32_e32 v[0:1], v0
.LBB6_495:
	s_mov_b32 s21, 0
.LBB6_496:
	s_delay_alu instid0(SALU_CYCLE_1)
	s_and_not1_b32 vcc_lo, exec_lo, s21
	s_cbranch_vccnz .LBB6_507
; %bb.497:
	s_cmp_lt_i32 s0, 6
	s_cbranch_scc1 .LBB6_500
; %bb.498:
	s_cmp_gt_i32 s0, 6
	s_cbranch_scc0 .LBB6_501
; %bb.499:
	s_wait_loadcnt 0x0
	global_load_b64 v[0:1], v[2:3], off
	s_mov_b32 s21, 0
	s_branch .LBB6_502
.LBB6_500:
	s_mov_b32 s21, -1
                                        ; implicit-def: $vgpr0_vgpr1
	s_branch .LBB6_505
.LBB6_501:
	s_mov_b32 s21, -1
                                        ; implicit-def: $vgpr0_vgpr1
.LBB6_502:
	s_delay_alu instid0(SALU_CYCLE_1)
	s_and_not1_b32 vcc_lo, exec_lo, s21
	s_cbranch_vccnz .LBB6_504
; %bb.503:
	s_wait_loadcnt 0x0
	global_load_b32 v0, v[2:3], off
	s_wait_loadcnt 0x0
	v_cvt_f64_f32_e32 v[0:1], v0
.LBB6_504:
	s_mov_b32 s21, 0
.LBB6_505:
	s_delay_alu instid0(SALU_CYCLE_1)
	s_and_not1_b32 vcc_lo, exec_lo, s21
	s_cbranch_vccnz .LBB6_507
; %bb.506:
	s_wait_loadcnt 0x0
	global_load_u16 v0, v[2:3], off
	s_wait_loadcnt 0x0
	v_cvt_f32_f16_e32 v0, v0
	s_delay_alu instid0(VALU_DEP_1)
	v_cvt_f64_f32_e32 v[0:1], v0
.LBB6_507:
	s_mov_b32 s21, 0
.LBB6_508:
	s_delay_alu instid0(SALU_CYCLE_1)
	s_and_not1_b32 vcc_lo, exec_lo, s21
	s_cbranch_vccnz .LBB6_528
; %bb.509:
	s_cmp_lt_i32 s0, 2
	s_cbranch_scc1 .LBB6_513
; %bb.510:
	s_cmp_lt_i32 s0, 3
	s_cbranch_scc1 .LBB6_514
; %bb.511:
	s_cmp_gt_i32 s0, 3
	s_cbranch_scc0 .LBB6_515
; %bb.512:
	s_wait_loadcnt 0x0
	global_load_b64 v[0:1], v[2:3], off
	s_mov_b32 s21, 0
	s_wait_loadcnt 0x0
	v_cvt_f64_i32_e32 v[4:5], v1
	v_cvt_f64_u32_e32 v[0:1], v0
	s_delay_alu instid0(VALU_DEP_2) | instskip(NEXT) | instid1(VALU_DEP_1)
	v_ldexp_f64 v[4:5], v[4:5], 32
	v_add_f64_e32 v[0:1], v[4:5], v[0:1]
	s_branch .LBB6_516
.LBB6_513:
	s_mov_b32 s21, -1
                                        ; implicit-def: $vgpr0_vgpr1
	s_branch .LBB6_522
.LBB6_514:
	s_mov_b32 s21, -1
                                        ; implicit-def: $vgpr0_vgpr1
	s_branch .LBB6_519
.LBB6_515:
	s_mov_b32 s21, -1
                                        ; implicit-def: $vgpr0_vgpr1
.LBB6_516:
	s_delay_alu instid0(SALU_CYCLE_1)
	s_and_not1_b32 vcc_lo, exec_lo, s21
	s_cbranch_vccnz .LBB6_518
; %bb.517:
	s_wait_loadcnt 0x0
	global_load_b32 v0, v[2:3], off
	s_wait_loadcnt 0x0
	v_cvt_f64_i32_e32 v[0:1], v0
.LBB6_518:
	s_mov_b32 s21, 0
.LBB6_519:
	s_delay_alu instid0(SALU_CYCLE_1)
	s_and_not1_b32 vcc_lo, exec_lo, s21
	s_cbranch_vccnz .LBB6_521
; %bb.520:
	s_wait_loadcnt 0x0
	global_load_i16 v0, v[2:3], off
	s_wait_loadcnt 0x0
	v_cvt_f64_i32_e32 v[0:1], v0
.LBB6_521:
	s_mov_b32 s21, 0
.LBB6_522:
	s_delay_alu instid0(SALU_CYCLE_1)
	s_and_not1_b32 vcc_lo, exec_lo, s21
	s_cbranch_vccnz .LBB6_528
; %bb.523:
	s_cmp_gt_i32 s0, 0
	s_mov_b32 s0, 0
	s_cbranch_scc0 .LBB6_525
; %bb.524:
	s_wait_loadcnt 0x0
	global_load_i8 v0, v[2:3], off
	s_wait_loadcnt 0x0
	v_cvt_f64_i32_e32 v[0:1], v0
	s_branch .LBB6_526
.LBB6_525:
	s_mov_b32 s0, -1
                                        ; implicit-def: $vgpr0_vgpr1
.LBB6_526:
	s_delay_alu instid0(SALU_CYCLE_1)
	s_and_not1_b32 vcc_lo, exec_lo, s0
	s_cbranch_vccnz .LBB6_528
; %bb.527:
	s_wait_loadcnt 0x0
	global_load_u8 v0, v[2:3], off
	s_wait_loadcnt 0x0
	v_cvt_f64_u32_e32 v[0:1], v0
.LBB6_528:
	s_branch .LBB6_396
.LBB6_529:
	s_mov_b32 s24, 0
	s_mov_b32 s0, s15
	;; [unrolled: 1-line block ×3, first 2 shown]
	s_branch .LBB6_773
.LBB6_530:
	s_and_not1_saveexec_b32 s24, s24
	s_cbranch_execz .LBB6_193
.LBB6_531:
	v_add_f32_e64 v3, 0x42800000, |v2|
	s_and_not1_b32 s23, s23, exec_lo
	s_delay_alu instid0(VALU_DEP_1) | instskip(NEXT) | instid1(VALU_DEP_1)
	v_and_b32_e32 v3, 0xff, v3
	v_cmp_ne_u32_e32 vcc_lo, 0, v3
	s_and_b32 s25, vcc_lo, exec_lo
	s_delay_alu instid0(SALU_CYCLE_1)
	s_or_b32 s23, s23, s25
	s_or_b32 exec_lo, exec_lo, s24
	v_mov_b32_e32 v6, 0
	s_and_saveexec_b32 s24, s23
	s_cbranch_execnz .LBB6_194
	s_branch .LBB6_195
.LBB6_532:
	s_mov_b32 s22, -1
	s_mov_b32 s24, 0
.LBB6_533:
                                        ; implicit-def: $vgpr4_vgpr5
.LBB6_534:
	s_and_b32 vcc_lo, exec_lo, s25
	s_cbranch_vccz .LBB6_538
; %bb.535:
	s_cmp_eq_u32 s21, 44
	s_cbranch_scc0 .LBB6_537
; %bb.536:
	global_load_u8 v6, v[2:3], off
	s_mov_b32 s22, 0
	s_mov_b32 s24, -1
	s_wait_loadcnt 0x0
	v_cmp_ne_u32_e32 vcc_lo, 0xff, v6
	v_lshlrev_b32_e32 v4, 23, v6
	s_delay_alu instid0(VALU_DEP_1) | instskip(NEXT) | instid1(VALU_DEP_1)
	v_cvt_f64_f32_e32 v[4:5], v4
	v_cndmask_b32_e32 v4, 0x20000000, v4, vcc_lo
	s_delay_alu instid0(VALU_DEP_2) | instskip(SKIP_1) | instid1(VALU_DEP_2)
	v_cndmask_b32_e32 v5, 0x7ff80000, v5, vcc_lo
	v_cmp_ne_u32_e32 vcc_lo, 0, v6
	v_cndmask_b32_e32 v5, 0x38000000, v5, vcc_lo
	s_delay_alu instid0(VALU_DEP_4)
	v_cndmask_b32_e32 v4, 0, v4, vcc_lo
	s_branch .LBB6_538
.LBB6_537:
	s_mov_b32 s22, -1
                                        ; implicit-def: $vgpr4_vgpr5
.LBB6_538:
	s_mov_b32 s25, 0
.LBB6_539:
	s_delay_alu instid0(SALU_CYCLE_1)
	s_and_b32 vcc_lo, exec_lo, s25
	s_cbranch_vccz .LBB6_543
; %bb.540:
	s_cmp_eq_u32 s21, 29
	s_cbranch_scc0 .LBB6_542
; %bb.541:
	global_load_b64 v[4:5], v[2:3], off
	s_mov_b32 s24, -1
	s_mov_b32 s22, 0
	s_mov_b32 s25, 0
	s_wait_loadcnt 0x0
	v_cvt_f64_u32_e32 v[6:7], v5
	v_cvt_f64_u32_e32 v[4:5], v4
	s_delay_alu instid0(VALU_DEP_2) | instskip(NEXT) | instid1(VALU_DEP_1)
	v_ldexp_f64 v[6:7], v[6:7], 32
	v_add_f64_e32 v[4:5], v[6:7], v[4:5]
	s_branch .LBB6_544
.LBB6_542:
	s_mov_b32 s22, -1
                                        ; implicit-def: $vgpr4_vgpr5
.LBB6_543:
	s_mov_b32 s25, 0
.LBB6_544:
	s_delay_alu instid0(SALU_CYCLE_1)
	s_and_b32 vcc_lo, exec_lo, s25
	s_cbranch_vccz .LBB6_562
; %bb.545:
	s_cmp_lt_i32 s21, 27
	s_cbranch_scc1 .LBB6_548
; %bb.546:
	s_cmp_gt_i32 s21, 27
	s_cbranch_scc0 .LBB6_549
; %bb.547:
	global_load_b32 v4, v[2:3], off
	s_mov_b32 s24, 0
	s_wait_loadcnt 0x0
	v_cvt_f64_u32_e32 v[4:5], v4
	s_branch .LBB6_550
.LBB6_548:
	s_mov_b32 s24, -1
                                        ; implicit-def: $vgpr4_vgpr5
	s_branch .LBB6_553
.LBB6_549:
	s_mov_b32 s24, -1
                                        ; implicit-def: $vgpr4_vgpr5
.LBB6_550:
	s_delay_alu instid0(SALU_CYCLE_1)
	s_and_not1_b32 vcc_lo, exec_lo, s24
	s_cbranch_vccnz .LBB6_552
; %bb.551:
	global_load_u16 v4, v[2:3], off
	s_wait_loadcnt 0x0
	v_cvt_f64_u32_e32 v[4:5], v4
.LBB6_552:
	s_mov_b32 s24, 0
.LBB6_553:
	s_delay_alu instid0(SALU_CYCLE_1)
	s_and_not1_b32 vcc_lo, exec_lo, s24
	s_cbranch_vccnz .LBB6_561
; %bb.554:
	global_load_u8 v6, v[2:3], off
	s_mov_b32 s24, 0
	s_mov_b32 s25, exec_lo
	s_wait_loadcnt 0x0
	v_cmpx_lt_i16_e32 0x7f, v6
	s_xor_b32 s25, exec_lo, s25
	s_cbranch_execz .LBB6_575
; %bb.555:
	s_mov_b32 s24, -1
	s_mov_b32 s26, exec_lo
	v_cmpx_eq_u16_e32 0x80, v6
; %bb.556:
	s_xor_b32 s24, exec_lo, -1
; %bb.557:
	s_or_b32 exec_lo, exec_lo, s26
	s_delay_alu instid0(SALU_CYCLE_1)
	s_and_b32 s24, s24, exec_lo
	s_or_saveexec_b32 s25, s25
	v_mov_b64_e32 v[4:5], 0x7ff8000020000000
	s_xor_b32 exec_lo, exec_lo, s25
	s_cbranch_execnz .LBB6_576
.LBB6_558:
	s_or_b32 exec_lo, exec_lo, s25
	s_and_saveexec_b32 s25, s24
	s_cbranch_execz .LBB6_560
.LBB6_559:
	v_and_b32_e32 v4, 0xffff, v6
	s_delay_alu instid0(VALU_DEP_1) | instskip(SKIP_1) | instid1(VALU_DEP_2)
	v_and_b32_e32 v5, 7, v4
	v_bfe_u32 v9, v4, 3, 4
	v_clz_i32_u32_e32 v7, v5
	s_delay_alu instid0(VALU_DEP_2) | instskip(NEXT) | instid1(VALU_DEP_2)
	v_cmp_eq_u32_e32 vcc_lo, 0, v9
	v_min_u32_e32 v7, 32, v7
	s_delay_alu instid0(VALU_DEP_1) | instskip(NEXT) | instid1(VALU_DEP_1)
	v_subrev_nc_u32_e32 v8, 28, v7
	v_dual_lshlrev_b32 v4, v8, v4 :: v_dual_sub_nc_u32 v7, 29, v7
	s_delay_alu instid0(VALU_DEP_1) | instskip(NEXT) | instid1(VALU_DEP_2)
	v_dual_lshlrev_b32 v6, 24, v6 :: v_dual_bitop2_b32 v4, 7, v4 bitop3:0x40
	v_cndmask_b32_e32 v7, v9, v7, vcc_lo
	s_delay_alu instid0(VALU_DEP_2) | instskip(NEXT) | instid1(VALU_DEP_3)
	v_cndmask_b32_e32 v4, v5, v4, vcc_lo
	v_and_b32_e32 v5, 0x80000000, v6
	s_delay_alu instid0(VALU_DEP_3) | instskip(NEXT) | instid1(VALU_DEP_3)
	v_lshl_add_u32 v6, v7, 23, 0x3b800000
	v_lshlrev_b32_e32 v4, 20, v4
	s_delay_alu instid0(VALU_DEP_1) | instskip(NEXT) | instid1(VALU_DEP_1)
	v_or3_b32 v4, v5, v6, v4
	v_cvt_f64_f32_e32 v[4:5], v4
.LBB6_560:
	s_or_b32 exec_lo, exec_lo, s25
.LBB6_561:
	s_mov_b32 s24, -1
.LBB6_562:
	s_mov_b32 s25, 0
.LBB6_563:
	s_delay_alu instid0(SALU_CYCLE_1)
	s_and_b32 vcc_lo, exec_lo, s25
	s_cbranch_vccz .LBB6_598
; %bb.564:
	s_cmp_gt_i32 s21, 22
	s_cbranch_scc0 .LBB6_574
; %bb.565:
	s_cmp_lt_i32 s21, 24
	s_cbranch_scc1 .LBB6_577
; %bb.566:
	s_cmp_gt_i32 s21, 24
	s_cbranch_scc0 .LBB6_578
; %bb.567:
	global_load_u8 v6, v[2:3], off
	s_mov_b32 s24, 0
	s_mov_b32 s25, exec_lo
	s_wait_loadcnt 0x0
	v_cmpx_lt_i16_e32 0x7f, v6
	s_xor_b32 s25, exec_lo, s25
	s_cbranch_execz .LBB6_590
; %bb.568:
	s_mov_b32 s24, -1
	s_mov_b32 s26, exec_lo
	v_cmpx_eq_u16_e32 0x80, v6
; %bb.569:
	s_xor_b32 s24, exec_lo, -1
; %bb.570:
	s_or_b32 exec_lo, exec_lo, s26
	s_delay_alu instid0(SALU_CYCLE_1)
	s_and_b32 s24, s24, exec_lo
	s_or_saveexec_b32 s25, s25
	v_mov_b64_e32 v[4:5], 0x7ff8000020000000
	s_xor_b32 exec_lo, exec_lo, s25
	s_cbranch_execnz .LBB6_591
.LBB6_571:
	s_or_b32 exec_lo, exec_lo, s25
	s_and_saveexec_b32 s25, s24
	s_cbranch_execz .LBB6_573
.LBB6_572:
	v_and_b32_e32 v4, 0xffff, v6
	s_delay_alu instid0(VALU_DEP_1) | instskip(SKIP_1) | instid1(VALU_DEP_2)
	v_and_b32_e32 v5, 3, v4
	v_bfe_u32 v9, v4, 2, 5
	v_clz_i32_u32_e32 v7, v5
	s_delay_alu instid0(VALU_DEP_2) | instskip(NEXT) | instid1(VALU_DEP_2)
	v_cmp_eq_u32_e32 vcc_lo, 0, v9
	v_min_u32_e32 v7, 32, v7
	s_delay_alu instid0(VALU_DEP_1) | instskip(NEXT) | instid1(VALU_DEP_1)
	v_subrev_nc_u32_e32 v8, 29, v7
	v_dual_lshlrev_b32 v4, v8, v4 :: v_dual_sub_nc_u32 v7, 30, v7
	s_delay_alu instid0(VALU_DEP_1) | instskip(NEXT) | instid1(VALU_DEP_2)
	v_dual_lshlrev_b32 v6, 24, v6 :: v_dual_bitop2_b32 v4, 3, v4 bitop3:0x40
	v_cndmask_b32_e32 v7, v9, v7, vcc_lo
	s_delay_alu instid0(VALU_DEP_2) | instskip(NEXT) | instid1(VALU_DEP_3)
	v_cndmask_b32_e32 v4, v5, v4, vcc_lo
	v_and_b32_e32 v5, 0x80000000, v6
	s_delay_alu instid0(VALU_DEP_3) | instskip(NEXT) | instid1(VALU_DEP_3)
	v_lshl_add_u32 v6, v7, 23, 0x37800000
	v_lshlrev_b32_e32 v4, 21, v4
	s_delay_alu instid0(VALU_DEP_1) | instskip(NEXT) | instid1(VALU_DEP_1)
	v_or3_b32 v4, v5, v6, v4
	v_cvt_f64_f32_e32 v[4:5], v4
.LBB6_573:
	s_or_b32 exec_lo, exec_lo, s25
	s_mov_b32 s24, 0
	s_branch .LBB6_579
.LBB6_574:
	s_mov_b32 s25, -1
                                        ; implicit-def: $vgpr4_vgpr5
	s_branch .LBB6_585
.LBB6_575:
	s_or_saveexec_b32 s25, s25
	v_mov_b64_e32 v[4:5], 0x7ff8000020000000
	s_xor_b32 exec_lo, exec_lo, s25
	s_cbranch_execz .LBB6_558
.LBB6_576:
	v_cmp_ne_u16_e32 vcc_lo, 0, v6
	v_mov_b64_e32 v[4:5], 0
	s_and_not1_b32 s24, s24, exec_lo
	s_and_b32 s26, vcc_lo, exec_lo
	s_delay_alu instid0(SALU_CYCLE_1)
	s_or_b32 s24, s24, s26
	s_or_b32 exec_lo, exec_lo, s25
	s_and_saveexec_b32 s25, s24
	s_cbranch_execnz .LBB6_559
	s_branch .LBB6_560
.LBB6_577:
	s_mov_b32 s24, -1
                                        ; implicit-def: $vgpr4_vgpr5
	s_branch .LBB6_582
.LBB6_578:
	s_mov_b32 s24, -1
                                        ; implicit-def: $vgpr4_vgpr5
.LBB6_579:
	s_delay_alu instid0(SALU_CYCLE_1)
	s_and_b32 vcc_lo, exec_lo, s24
	s_cbranch_vccz .LBB6_581
; %bb.580:
	global_load_u8 v4, v[2:3], off
	s_wait_loadcnt 0x0
	v_lshlrev_b32_e32 v4, 24, v4
	s_delay_alu instid0(VALU_DEP_1) | instskip(NEXT) | instid1(VALU_DEP_1)
	v_and_b32_e32 v5, 0x7f000000, v4
	v_clz_i32_u32_e32 v6, v5
	v_cmp_ne_u32_e32 vcc_lo, 0, v5
	v_add_nc_u32_e32 v8, 0x1000000, v5
	s_delay_alu instid0(VALU_DEP_3) | instskip(NEXT) | instid1(VALU_DEP_1)
	v_min_u32_e32 v6, 32, v6
	v_sub_nc_u32_e64 v6, v6, 4 clamp
	s_delay_alu instid0(VALU_DEP_1) | instskip(NEXT) | instid1(VALU_DEP_1)
	v_dual_lshlrev_b32 v7, v6, v5 :: v_dual_lshlrev_b32 v6, 23, v6
	v_lshrrev_b32_e32 v7, 4, v7
	s_delay_alu instid0(VALU_DEP_1) | instskip(NEXT) | instid1(VALU_DEP_1)
	v_dual_sub_nc_u32 v6, v7, v6 :: v_dual_ashrrev_i32 v7, 8, v8
	v_add_nc_u32_e32 v6, 0x3c000000, v6
	s_delay_alu instid0(VALU_DEP_1) | instskip(NEXT) | instid1(VALU_DEP_1)
	v_and_or_b32 v6, 0x7f800000, v7, v6
	v_cndmask_b32_e32 v5, 0, v6, vcc_lo
	s_delay_alu instid0(VALU_DEP_1) | instskip(NEXT) | instid1(VALU_DEP_1)
	v_and_or_b32 v4, 0x80000000, v4, v5
	v_cvt_f64_f32_e32 v[4:5], v4
.LBB6_581:
	s_mov_b32 s24, 0
.LBB6_582:
	s_delay_alu instid0(SALU_CYCLE_1)
	s_and_not1_b32 vcc_lo, exec_lo, s24
	s_cbranch_vccnz .LBB6_584
; %bb.583:
	global_load_u8 v4, v[2:3], off
	s_wait_loadcnt 0x0
	v_lshlrev_b32_e32 v5, 25, v4
	v_lshlrev_b16 v4, 8, v4
	s_delay_alu instid0(VALU_DEP_1) | instskip(SKIP_1) | instid1(VALU_DEP_2)
	v_and_or_b32 v7, 0x7f00, v4, 0.5
	v_bfe_i32 v4, v4, 0, 16
	v_dual_add_f32 v7, -0.5, v7 :: v_dual_lshrrev_b32 v6, 4, v5
	v_cmp_gt_u32_e32 vcc_lo, 0x8000000, v5
	s_delay_alu instid0(VALU_DEP_2) | instskip(NEXT) | instid1(VALU_DEP_1)
	v_or_b32_e32 v6, 0x70000000, v6
	v_mul_f32_e32 v6, 0x7800000, v6
	s_delay_alu instid0(VALU_DEP_1) | instskip(NEXT) | instid1(VALU_DEP_1)
	v_cndmask_b32_e32 v5, v6, v7, vcc_lo
	v_and_or_b32 v4, 0x80000000, v4, v5
	s_delay_alu instid0(VALU_DEP_1)
	v_cvt_f64_f32_e32 v[4:5], v4
.LBB6_584:
	s_mov_b32 s25, 0
	s_mov_b32 s24, -1
.LBB6_585:
	s_and_not1_b32 vcc_lo, exec_lo, s25
	s_cbranch_vccnz .LBB6_598
; %bb.586:
	s_cmp_gt_i32 s21, 14
	s_cbranch_scc0 .LBB6_589
; %bb.587:
	s_cmp_eq_u32 s21, 15
	s_cbranch_scc0 .LBB6_592
; %bb.588:
	global_load_u16 v4, v[2:3], off
	s_mov_b32 s24, -1
	s_mov_b32 s22, 0
	s_wait_loadcnt 0x0
	v_lshlrev_b32_e32 v4, 16, v4
	s_delay_alu instid0(VALU_DEP_1)
	v_cvt_f64_f32_e32 v[4:5], v4
	s_branch .LBB6_593
.LBB6_589:
	s_mov_b32 s25, -1
                                        ; implicit-def: $vgpr4_vgpr5
	s_branch .LBB6_594
.LBB6_590:
	s_or_saveexec_b32 s25, s25
	v_mov_b64_e32 v[4:5], 0x7ff8000020000000
	s_xor_b32 exec_lo, exec_lo, s25
	s_cbranch_execz .LBB6_571
.LBB6_591:
	v_cmp_ne_u16_e32 vcc_lo, 0, v6
	v_mov_b64_e32 v[4:5], 0
	s_and_not1_b32 s24, s24, exec_lo
	s_and_b32 s26, vcc_lo, exec_lo
	s_delay_alu instid0(SALU_CYCLE_1)
	s_or_b32 s24, s24, s26
	s_or_b32 exec_lo, exec_lo, s25
	s_and_saveexec_b32 s25, s24
	s_cbranch_execnz .LBB6_572
	s_branch .LBB6_573
.LBB6_592:
	s_mov_b32 s22, -1
                                        ; implicit-def: $vgpr4_vgpr5
.LBB6_593:
	s_mov_b32 s25, 0
.LBB6_594:
	s_delay_alu instid0(SALU_CYCLE_1)
	s_and_b32 vcc_lo, exec_lo, s25
	s_cbranch_vccz .LBB6_598
; %bb.595:
	s_cmp_eq_u32 s21, 11
	s_cbranch_scc0 .LBB6_597
; %bb.596:
	global_load_u8 v4, v[2:3], off
	s_mov_b32 s22, 0
	s_mov_b32 s24, -1
	s_wait_loadcnt 0x0
	v_cmp_ne_u16_e32 vcc_lo, 0, v4
	v_mov_b32_e32 v4, 0
	v_cndmask_b32_e64 v5, 0, 0x3ff00000, vcc_lo
	s_branch .LBB6_598
.LBB6_597:
	s_mov_b32 s22, -1
                                        ; implicit-def: $vgpr4_vgpr5
.LBB6_598:
	s_mov_b32 s21, 0
.LBB6_599:
	s_delay_alu instid0(SALU_CYCLE_1)
	s_and_b32 vcc_lo, exec_lo, s21
	s_cbranch_vccz .LBB6_648
; %bb.600:
	s_and_b32 s0, 0xffff, s0
	s_delay_alu instid0(SALU_CYCLE_1)
	s_cmp_lt_i32 s0, 5
	s_cbranch_scc1 .LBB6_605
; %bb.601:
	s_cmp_lt_i32 s0, 8
	s_cbranch_scc1 .LBB6_606
; %bb.602:
	;; [unrolled: 3-line block ×3, first 2 shown]
	s_cmp_gt_i32 s0, 9
	s_cbranch_scc0 .LBB6_608
; %bb.604:
	global_load_b64 v[4:5], v[2:3], off
	s_mov_b32 s21, 0
	s_branch .LBB6_609
.LBB6_605:
	s_mov_b32 s21, -1
                                        ; implicit-def: $vgpr4_vgpr5
	s_branch .LBB6_627
.LBB6_606:
	s_mov_b32 s21, -1
                                        ; implicit-def: $vgpr4_vgpr5
	s_branch .LBB6_615
.LBB6_607:
	s_mov_b32 s21, -1
                                        ; implicit-def: $vgpr4_vgpr5
	s_branch .LBB6_612
.LBB6_608:
	s_mov_b32 s21, -1
                                        ; implicit-def: $vgpr4_vgpr5
.LBB6_609:
	s_delay_alu instid0(SALU_CYCLE_1)
	s_and_not1_b32 vcc_lo, exec_lo, s21
	s_cbranch_vccnz .LBB6_611
; %bb.610:
	s_wait_loadcnt 0x0
	global_load_b32 v4, v[2:3], off
	s_wait_loadcnt 0x0
	v_cvt_f64_f32_e32 v[4:5], v4
.LBB6_611:
	s_mov_b32 s21, 0
.LBB6_612:
	s_delay_alu instid0(SALU_CYCLE_1)
	s_and_not1_b32 vcc_lo, exec_lo, s21
	s_cbranch_vccnz .LBB6_614
; %bb.613:
	s_wait_loadcnt 0x0
	global_load_b32 v4, v[2:3], off
	s_wait_loadcnt 0x0
	v_cvt_f32_f16_e32 v4, v4
	s_delay_alu instid0(VALU_DEP_1)
	v_cvt_f64_f32_e32 v[4:5], v4
.LBB6_614:
	s_mov_b32 s21, 0
.LBB6_615:
	s_delay_alu instid0(SALU_CYCLE_1)
	s_and_not1_b32 vcc_lo, exec_lo, s21
	s_cbranch_vccnz .LBB6_626
; %bb.616:
	s_cmp_lt_i32 s0, 6
	s_cbranch_scc1 .LBB6_619
; %bb.617:
	s_cmp_gt_i32 s0, 6
	s_cbranch_scc0 .LBB6_620
; %bb.618:
	s_wait_loadcnt 0x0
	global_load_b64 v[4:5], v[2:3], off
	s_mov_b32 s21, 0
	s_branch .LBB6_621
.LBB6_619:
	s_mov_b32 s21, -1
                                        ; implicit-def: $vgpr4_vgpr5
	s_branch .LBB6_624
.LBB6_620:
	s_mov_b32 s21, -1
                                        ; implicit-def: $vgpr4_vgpr5
.LBB6_621:
	s_delay_alu instid0(SALU_CYCLE_1)
	s_and_not1_b32 vcc_lo, exec_lo, s21
	s_cbranch_vccnz .LBB6_623
; %bb.622:
	s_wait_loadcnt 0x0
	global_load_b32 v4, v[2:3], off
	s_wait_loadcnt 0x0
	v_cvt_f64_f32_e32 v[4:5], v4
.LBB6_623:
	s_mov_b32 s21, 0
.LBB6_624:
	s_delay_alu instid0(SALU_CYCLE_1)
	s_and_not1_b32 vcc_lo, exec_lo, s21
	s_cbranch_vccnz .LBB6_626
; %bb.625:
	s_wait_loadcnt 0x0
	global_load_u16 v4, v[2:3], off
	s_wait_loadcnt 0x0
	v_cvt_f32_f16_e32 v4, v4
	s_delay_alu instid0(VALU_DEP_1)
	v_cvt_f64_f32_e32 v[4:5], v4
.LBB6_626:
	s_mov_b32 s21, 0
.LBB6_627:
	s_delay_alu instid0(SALU_CYCLE_1)
	s_and_not1_b32 vcc_lo, exec_lo, s21
	s_cbranch_vccnz .LBB6_647
; %bb.628:
	s_cmp_lt_i32 s0, 2
	s_cbranch_scc1 .LBB6_632
; %bb.629:
	s_cmp_lt_i32 s0, 3
	s_cbranch_scc1 .LBB6_633
; %bb.630:
	s_cmp_gt_i32 s0, 3
	s_cbranch_scc0 .LBB6_634
; %bb.631:
	s_wait_loadcnt 0x0
	global_load_b64 v[4:5], v[2:3], off
	s_mov_b32 s21, 0
	s_wait_loadcnt 0x0
	v_cvt_f64_i32_e32 v[6:7], v5
	v_cvt_f64_u32_e32 v[4:5], v4
	s_delay_alu instid0(VALU_DEP_2) | instskip(NEXT) | instid1(VALU_DEP_1)
	v_ldexp_f64 v[6:7], v[6:7], 32
	v_add_f64_e32 v[4:5], v[6:7], v[4:5]
	s_branch .LBB6_635
.LBB6_632:
	s_mov_b32 s21, -1
                                        ; implicit-def: $vgpr4_vgpr5
	s_branch .LBB6_641
.LBB6_633:
	s_mov_b32 s21, -1
                                        ; implicit-def: $vgpr4_vgpr5
	s_branch .LBB6_638
.LBB6_634:
	s_mov_b32 s21, -1
                                        ; implicit-def: $vgpr4_vgpr5
.LBB6_635:
	s_delay_alu instid0(SALU_CYCLE_1)
	s_and_not1_b32 vcc_lo, exec_lo, s21
	s_cbranch_vccnz .LBB6_637
; %bb.636:
	s_wait_loadcnt 0x0
	global_load_b32 v4, v[2:3], off
	s_wait_loadcnt 0x0
	v_cvt_f64_i32_e32 v[4:5], v4
.LBB6_637:
	s_mov_b32 s21, 0
.LBB6_638:
	s_delay_alu instid0(SALU_CYCLE_1)
	s_and_not1_b32 vcc_lo, exec_lo, s21
	s_cbranch_vccnz .LBB6_640
; %bb.639:
	s_wait_loadcnt 0x0
	global_load_i16 v4, v[2:3], off
	s_wait_loadcnt 0x0
	v_cvt_f64_i32_e32 v[4:5], v4
.LBB6_640:
	s_mov_b32 s21, 0
.LBB6_641:
	s_delay_alu instid0(SALU_CYCLE_1)
	s_and_not1_b32 vcc_lo, exec_lo, s21
	s_cbranch_vccnz .LBB6_647
; %bb.642:
	s_cmp_gt_i32 s0, 0
	s_mov_b32 s0, 0
	s_cbranch_scc0 .LBB6_644
; %bb.643:
	s_wait_loadcnt 0x0
	global_load_i8 v4, v[2:3], off
	s_wait_loadcnt 0x0
	v_cvt_f64_i32_e32 v[4:5], v4
	s_branch .LBB6_645
.LBB6_644:
	s_mov_b32 s0, -1
                                        ; implicit-def: $vgpr4_vgpr5
.LBB6_645:
	s_delay_alu instid0(SALU_CYCLE_1)
	s_and_not1_b32 vcc_lo, exec_lo, s0
	s_cbranch_vccnz .LBB6_647
; %bb.646:
	global_load_u8 v2, v[2:3], off
	s_wait_loadcnt 0x0
	v_cvt_f64_u32_e32 v[4:5], v2
.LBB6_647:
	s_mov_b32 s24, -1
.LBB6_648:
	s_delay_alu instid0(SALU_CYCLE_1)
	s_and_not1_b32 vcc_lo, exec_lo, s24
	s_cbranch_vccnz .LBB6_656
; %bb.649:
	s_wait_loadcnt 0x0
	s_delay_alu instid0(VALU_DEP_1) | instskip(SKIP_3) | instid1(SALU_CYCLE_1)
	v_mul_f64_e32 v[2:3], v[0:1], v[4:5]
	v_cmp_lt_f64_e32 vcc_lo, 0, v[0:1]
	v_mul_lo_u32 v4, v18, s8
	s_and_b32 s21, s11, 0xff
	s_cmp_lt_i32 s21, 11
	s_delay_alu instid0(VALU_DEP_1) | instskip(NEXT) | instid1(VALU_DEP_1)
	v_dual_ashrrev_i32 v5, 31, v4 :: v_dual_cndmask_b32 v1, v3, v1, vcc_lo
	v_add_nc_u64_e32 v[4:5], s[4:5], v[4:5]
	v_cndmask_b32_e32 v0, v2, v0, vcc_lo
	s_cbranch_scc1 .LBB6_657
; %bb.650:
	s_and_b32 s24, 0xffff, s21
	s_delay_alu instid0(SALU_CYCLE_1)
	s_cmp_gt_i32 s24, 25
	s_cbranch_scc0 .LBB6_658
; %bb.651:
	s_cmp_gt_i32 s24, 28
	s_cbranch_scc0 .LBB6_659
; %bb.652:
	s_cmp_gt_i32 s24, 43
	s_cbranch_scc0 .LBB6_660
; %bb.653:
	s_cmp_gt_i32 s24, 45
	s_cbranch_scc0 .LBB6_661
; %bb.654:
	s_mov_b32 s26, 0
	s_mov_b32 s0, -1
	s_cmp_eq_u32 s24, 46
	s_mov_b32 s25, 0
	s_cbranch_scc0 .LBB6_662
; %bb.655:
	v_cvt_f32_f64_e32 v2, v[0:1]
	s_mov_b32 s25, -1
	s_mov_b32 s0, 0
	s_delay_alu instid0(VALU_DEP_1) | instskip(SKIP_1) | instid1(VALU_DEP_2)
	v_bfe_u32 v3, v2, 16, 1
	v_cmp_o_f32_e32 vcc_lo, v2, v2
	v_add3_u32 v3, v2, v3, 0x7fff
	s_delay_alu instid0(VALU_DEP_1) | instskip(NEXT) | instid1(VALU_DEP_1)
	v_lshrrev_b32_e32 v3, 16, v3
	v_cndmask_b32_e32 v2, 0x7fc0, v3, vcc_lo
	global_store_b32 v[4:5], v2, off
	s_branch .LBB6_662
.LBB6_656:
	s_mov_b32 s24, 0
	s_mov_b32 s0, s15
	s_branch .LBB6_773
.LBB6_657:
	s_mov_b32 s24, -1
	s_mov_b32 s25, 0
	s_mov_b32 s0, s15
	s_branch .LBB6_731
.LBB6_658:
	s_mov_b32 s26, -1
	s_mov_b32 s25, 0
	s_mov_b32 s0, s15
	s_branch .LBB6_689
.LBB6_659:
	s_mov_b32 s26, -1
	s_mov_b32 s25, 0
	s_mov_b32 s0, s15
	s_branch .LBB6_672
.LBB6_660:
	s_mov_b32 s26, -1
	s_mov_b32 s25, 0
	s_mov_b32 s0, s15
	s_branch .LBB6_668
.LBB6_661:
	s_mov_b32 s26, -1
	s_mov_b32 s25, 0
	s_mov_b32 s0, s15
.LBB6_662:
	s_and_b32 vcc_lo, exec_lo, s26
	s_cbranch_vccz .LBB6_667
; %bb.663:
	s_cmp_eq_u32 s24, 44
	s_mov_b32 s0, -1
	s_cbranch_scc0 .LBB6_667
; %bb.664:
	s_wait_xcnt 0x0
	v_cvt_f32_f64_e32 v2, v[0:1]
	v_mov_b32_e32 v3, 0xff
	s_mov_b32 s25, exec_lo
	s_delay_alu instid0(VALU_DEP_2) | instskip(NEXT) | instid1(VALU_DEP_1)
	v_bfe_u32 v6, v2, 23, 8
	v_cmpx_ne_u32_e32 0xff, v6
	s_cbranch_execz .LBB6_666
; %bb.665:
	v_and_b32_e32 v3, 0x400000, v2
	v_and_or_b32 v6, 0x3fffff, v2, v6
	v_lshrrev_b32_e32 v2, 23, v2
	s_delay_alu instid0(VALU_DEP_3) | instskip(NEXT) | instid1(VALU_DEP_3)
	v_cmp_ne_u32_e32 vcc_lo, 0, v3
	v_cmp_ne_u32_e64 s0, 0, v6
	s_and_b32 s0, vcc_lo, s0
	s_delay_alu instid0(SALU_CYCLE_1) | instskip(NEXT) | instid1(VALU_DEP_1)
	v_cndmask_b32_e64 v3, 0, 1, s0
	v_add_nc_u32_e32 v3, v2, v3
.LBB6_666:
	s_or_b32 exec_lo, exec_lo, s25
	s_mov_b32 s25, -1
	s_mov_b32 s0, 0
	global_store_b8 v[4:5], v3, off
.LBB6_667:
	s_mov_b32 s26, 0
.LBB6_668:
	s_delay_alu instid0(SALU_CYCLE_1)
	s_and_b32 vcc_lo, exec_lo, s26
	s_cbranch_vccz .LBB6_671
; %bb.669:
	s_cmp_eq_u32 s24, 29
	s_mov_b32 s0, -1
	s_cbranch_scc0 .LBB6_671
; %bb.670:
	s_wait_xcnt 0x0
	v_trunc_f64_e32 v[2:3], v[0:1]
	s_mov_b32 s25, -1
	s_mov_b32 s0, 0
	s_mov_b32 s26, 0
	s_delay_alu instid0(VALU_DEP_1) | instskip(NEXT) | instid1(VALU_DEP_1)
	v_ldexp_f64 v[6:7], v[2:3], 0xffffffe0
	v_floor_f64_e32 v[6:7], v[6:7]
	s_delay_alu instid0(VALU_DEP_1) | instskip(SKIP_1) | instid1(VALU_DEP_2)
	v_fmamk_f64 v[2:3], v[6:7], 0xc1f00000, v[2:3]
	v_cvt_u32_f64_e32 v7, v[6:7]
	v_cvt_u32_f64_e32 v6, v[2:3]
	global_store_b64 v[4:5], v[6:7], off
	s_branch .LBB6_672
.LBB6_671:
	s_mov_b32 s26, 0
.LBB6_672:
	s_delay_alu instid0(SALU_CYCLE_1)
	s_and_b32 vcc_lo, exec_lo, s26
	s_cbranch_vccz .LBB6_688
; %bb.673:
	s_cmp_lt_i32 s24, 27
	s_mov_b32 s25, -1
	s_cbranch_scc1 .LBB6_679
; %bb.674:
	s_wait_xcnt 0x0
	v_cvt_u32_f64_e32 v2, v[0:1]
	s_cmp_gt_i32 s24, 27
	s_cbranch_scc0 .LBB6_676
; %bb.675:
	s_mov_b32 s25, 0
	global_store_b32 v[4:5], v2, off
.LBB6_676:
	s_and_not1_b32 vcc_lo, exec_lo, s25
	s_cbranch_vccnz .LBB6_678
; %bb.677:
	global_store_b16 v[4:5], v2, off
.LBB6_678:
	s_mov_b32 s25, 0
.LBB6_679:
	s_delay_alu instid0(SALU_CYCLE_1)
	s_and_not1_b32 vcc_lo, exec_lo, s25
	s_cbranch_vccnz .LBB6_687
; %bb.680:
	s_wait_xcnt 0x0
	v_cvt_f32_f64_e32 v2, v[0:1]
	v_mov_b32_e32 v6, 0x80
	s_mov_b32 s25, exec_lo
	s_delay_alu instid0(VALU_DEP_2) | instskip(NEXT) | instid1(VALU_DEP_1)
	v_and_b32_e32 v3, 0x7fffffff, v2
	v_cmpx_gt_u32_e32 0x43800000, v3
	s_cbranch_execz .LBB6_686
; %bb.681:
	v_cmp_lt_u32_e32 vcc_lo, 0x3bffffff, v3
	s_mov_b32 s26, 0
                                        ; implicit-def: $vgpr3
	s_and_saveexec_b32 s27, vcc_lo
	s_delay_alu instid0(SALU_CYCLE_1)
	s_xor_b32 s27, exec_lo, s27
	s_cbranch_execz .LBB6_789
; %bb.682:
	v_bfe_u32 v3, v2, 20, 1
	s_mov_b32 s26, exec_lo
	s_delay_alu instid0(VALU_DEP_1) | instskip(NEXT) | instid1(VALU_DEP_1)
	v_add3_u32 v3, v2, v3, 0x487ffff
	v_lshrrev_b32_e32 v3, 20, v3
	s_and_not1_saveexec_b32 s27, s27
	s_cbranch_execnz .LBB6_790
.LBB6_683:
	s_or_b32 exec_lo, exec_lo, s27
	v_mov_b32_e32 v6, 0
	s_and_saveexec_b32 s27, s26
.LBB6_684:
	v_lshrrev_b32_e32 v2, 24, v2
	s_delay_alu instid0(VALU_DEP_1)
	v_and_or_b32 v6, 0x80, v2, v3
.LBB6_685:
	s_or_b32 exec_lo, exec_lo, s27
.LBB6_686:
	s_delay_alu instid0(SALU_CYCLE_1)
	s_or_b32 exec_lo, exec_lo, s25
	global_store_b8 v[4:5], v6, off
.LBB6_687:
	s_mov_b32 s25, -1
.LBB6_688:
	s_mov_b32 s26, 0
.LBB6_689:
	s_delay_alu instid0(SALU_CYCLE_1)
	s_and_b32 vcc_lo, exec_lo, s26
	s_cbranch_vccz .LBB6_730
; %bb.690:
	s_cmp_gt_i32 s24, 22
	s_mov_b32 s26, -1
	s_cbranch_scc0 .LBB6_722
; %bb.691:
	s_cmp_lt_i32 s24, 24
	s_mov_b32 s25, -1
	s_cbranch_scc1 .LBB6_711
; %bb.692:
	s_cmp_gt_i32 s24, 24
	s_cbranch_scc0 .LBB6_700
; %bb.693:
	s_wait_xcnt 0x0
	v_cvt_f32_f64_e32 v2, v[0:1]
	v_mov_b32_e32 v6, 0x80
	s_mov_b32 s25, exec_lo
	s_delay_alu instid0(VALU_DEP_2) | instskip(NEXT) | instid1(VALU_DEP_1)
	v_and_b32_e32 v3, 0x7fffffff, v2
	v_cmpx_gt_u32_e32 0x47800000, v3
	s_cbranch_execz .LBB6_699
; %bb.694:
	v_cmp_lt_u32_e32 vcc_lo, 0x37ffffff, v3
	s_mov_b32 s26, 0
                                        ; implicit-def: $vgpr3
	s_and_saveexec_b32 s27, vcc_lo
	s_delay_alu instid0(SALU_CYCLE_1)
	s_xor_b32 s27, exec_lo, s27
	s_cbranch_execz .LBB6_921
; %bb.695:
	v_bfe_u32 v3, v2, 21, 1
	s_mov_b32 s26, exec_lo
	s_delay_alu instid0(VALU_DEP_1) | instskip(NEXT) | instid1(VALU_DEP_1)
	v_add3_u32 v3, v2, v3, 0x88fffff
	v_lshrrev_b32_e32 v3, 21, v3
	s_and_not1_saveexec_b32 s27, s27
	s_cbranch_execnz .LBB6_922
.LBB6_696:
	s_or_b32 exec_lo, exec_lo, s27
	v_mov_b32_e32 v6, 0
	s_and_saveexec_b32 s27, s26
.LBB6_697:
	v_lshrrev_b32_e32 v2, 24, v2
	s_delay_alu instid0(VALU_DEP_1)
	v_and_or_b32 v6, 0x80, v2, v3
.LBB6_698:
	s_or_b32 exec_lo, exec_lo, s27
.LBB6_699:
	s_delay_alu instid0(SALU_CYCLE_1)
	s_or_b32 exec_lo, exec_lo, s25
	s_mov_b32 s25, 0
	global_store_b8 v[4:5], v6, off
.LBB6_700:
	s_and_b32 vcc_lo, exec_lo, s25
	s_cbranch_vccz .LBB6_710
; %bb.701:
	s_wait_xcnt 0x0
	v_cvt_f32_f64_e32 v2, v[0:1]
	s_mov_b32 s25, exec_lo
                                        ; implicit-def: $vgpr3
	s_delay_alu instid0(VALU_DEP_1) | instskip(NEXT) | instid1(VALU_DEP_1)
	v_and_b32_e32 v6, 0x7fffffff, v2
	v_cmpx_gt_u32_e32 0x43f00000, v6
	s_xor_b32 s25, exec_lo, s25
	s_cbranch_execz .LBB6_707
; %bb.702:
	s_mov_b32 s26, exec_lo
                                        ; implicit-def: $vgpr3
	v_cmpx_lt_u32_e32 0x3c7fffff, v6
	s_xor_b32 s26, exec_lo, s26
; %bb.703:
	v_bfe_u32 v3, v2, 20, 1
	s_delay_alu instid0(VALU_DEP_1) | instskip(NEXT) | instid1(VALU_DEP_1)
	v_add3_u32 v3, v2, v3, 0x407ffff
	v_and_b32_e32 v6, 0xff00000, v3
	v_lshrrev_b32_e32 v3, 20, v3
	s_delay_alu instid0(VALU_DEP_2) | instskip(NEXT) | instid1(VALU_DEP_2)
	v_cmp_ne_u32_e32 vcc_lo, 0x7f00000, v6
	v_cndmask_b32_e32 v3, 0x7e, v3, vcc_lo
; %bb.704:
	s_and_not1_saveexec_b32 s26, s26
; %bb.705:
	v_add_f32_e64 v3, 0x46800000, |v2|
; %bb.706:
	s_or_b32 exec_lo, exec_lo, s26
                                        ; implicit-def: $vgpr6
.LBB6_707:
	s_and_not1_saveexec_b32 s25, s25
; %bb.708:
	v_mov_b32_e32 v3, 0x7f
	v_cmp_lt_u32_e32 vcc_lo, 0x7f800000, v6
	s_delay_alu instid0(VALU_DEP_2)
	v_cndmask_b32_e32 v3, 0x7e, v3, vcc_lo
; %bb.709:
	s_or_b32 exec_lo, exec_lo, s25
	v_lshrrev_b32_e32 v2, 24, v2
	s_delay_alu instid0(VALU_DEP_1)
	v_and_or_b32 v2, 0x80, v2, v3
	global_store_b8 v[4:5], v2, off
.LBB6_710:
	s_mov_b32 s25, 0
.LBB6_711:
	s_delay_alu instid0(SALU_CYCLE_1)
	s_and_not1_b32 vcc_lo, exec_lo, s25
	s_cbranch_vccnz .LBB6_721
; %bb.712:
	s_wait_xcnt 0x0
	v_cvt_f32_f64_e32 v2, v[0:1]
	s_mov_b32 s25, exec_lo
                                        ; implicit-def: $vgpr3
	s_delay_alu instid0(VALU_DEP_1) | instskip(NEXT) | instid1(VALU_DEP_1)
	v_and_b32_e32 v6, 0x7fffffff, v2
	v_cmpx_gt_u32_e32 0x47800000, v6
	s_xor_b32 s25, exec_lo, s25
	s_cbranch_execz .LBB6_718
; %bb.713:
	s_mov_b32 s26, exec_lo
                                        ; implicit-def: $vgpr3
	v_cmpx_lt_u32_e32 0x387fffff, v6
	s_xor_b32 s26, exec_lo, s26
; %bb.714:
	v_bfe_u32 v3, v2, 21, 1
	s_delay_alu instid0(VALU_DEP_1) | instskip(NEXT) | instid1(VALU_DEP_1)
	v_add3_u32 v3, v2, v3, 0x80fffff
	v_lshrrev_b32_e32 v3, 21, v3
; %bb.715:
	s_and_not1_saveexec_b32 s26, s26
; %bb.716:
	v_add_f32_e64 v3, 0x43000000, |v2|
; %bb.717:
	s_or_b32 exec_lo, exec_lo, s26
                                        ; implicit-def: $vgpr6
.LBB6_718:
	s_and_not1_saveexec_b32 s25, s25
; %bb.719:
	v_mov_b32_e32 v3, 0x7f
	v_cmp_lt_u32_e32 vcc_lo, 0x7f800000, v6
	s_delay_alu instid0(VALU_DEP_2)
	v_cndmask_b32_e32 v3, 0x7c, v3, vcc_lo
; %bb.720:
	s_or_b32 exec_lo, exec_lo, s25
	v_lshrrev_b32_e32 v2, 24, v2
	s_delay_alu instid0(VALU_DEP_1)
	v_and_or_b32 v2, 0x80, v2, v3
	global_store_b8 v[4:5], v2, off
.LBB6_721:
	s_mov_b32 s26, 0
	s_mov_b32 s25, -1
.LBB6_722:
	s_and_not1_b32 vcc_lo, exec_lo, s26
	s_cbranch_vccnz .LBB6_730
; %bb.723:
	s_cmp_gt_i32 s24, 14
	s_mov_b32 s26, -1
	s_cbranch_scc0 .LBB6_727
; %bb.724:
	s_cmp_eq_u32 s24, 15
	s_mov_b32 s0, -1
	s_cbranch_scc0 .LBB6_726
; %bb.725:
	s_wait_xcnt 0x0
	v_cvt_f32_f64_e32 v2, v[0:1]
	s_mov_b32 s25, -1
	s_mov_b32 s0, 0
	s_delay_alu instid0(VALU_DEP_1) | instskip(SKIP_1) | instid1(VALU_DEP_2)
	v_bfe_u32 v3, v2, 16, 1
	v_cmp_o_f32_e32 vcc_lo, v2, v2
	v_add3_u32 v3, v2, v3, 0x7fff
	s_delay_alu instid0(VALU_DEP_1) | instskip(NEXT) | instid1(VALU_DEP_1)
	v_lshrrev_b32_e32 v3, 16, v3
	v_cndmask_b32_e32 v2, 0x7fc0, v3, vcc_lo
	global_store_b16 v[4:5], v2, off
.LBB6_726:
	s_mov_b32 s26, 0
.LBB6_727:
	s_delay_alu instid0(SALU_CYCLE_1)
	s_and_b32 vcc_lo, exec_lo, s26
	s_cbranch_vccz .LBB6_730
; %bb.728:
	s_cmp_eq_u32 s24, 11
	s_mov_b32 s0, -1
	s_cbranch_scc0 .LBB6_730
; %bb.729:
	v_cmp_neq_f64_e32 vcc_lo, 0, v[0:1]
	s_mov_b32 s25, -1
	s_mov_b32 s0, 0
	s_wait_xcnt 0x0
	v_cndmask_b32_e64 v2, 0, 1, vcc_lo
	global_store_b8 v[4:5], v2, off
.LBB6_730:
	s_mov_b32 s24, 0
.LBB6_731:
	s_delay_alu instid0(SALU_CYCLE_1)
	s_and_b32 vcc_lo, exec_lo, s24
	s_cbranch_vccz .LBB6_770
; %bb.732:
	s_and_b32 s21, 0xffff, s21
	s_mov_b32 s24, -1
	s_cmp_lt_i32 s21, 5
	s_cbranch_scc1 .LBB6_753
; %bb.733:
	s_cmp_lt_i32 s21, 8
	s_cbranch_scc1 .LBB6_743
; %bb.734:
	s_cmp_lt_i32 s21, 9
	s_cbranch_scc1 .LBB6_740
; %bb.735:
	s_cmp_gt_i32 s21, 9
	s_cbranch_scc0 .LBB6_737
; %bb.736:
	s_wait_xcnt 0x0
	v_mov_b32_e32 v2, 0
	s_mov_b32 s24, 0
	s_delay_alu instid0(VALU_DEP_1)
	v_mov_b32_e32 v3, v2
	global_store_b128 v[4:5], v[0:3], off
.LBB6_737:
	s_and_not1_b32 vcc_lo, exec_lo, s24
	s_cbranch_vccnz .LBB6_739
; %bb.738:
	s_wait_xcnt 0x0
	v_cvt_f32_f64_e32 v2, v[0:1]
	v_mov_b32_e32 v3, 0
	global_store_b64 v[4:5], v[2:3], off
.LBB6_739:
	s_mov_b32 s24, 0
.LBB6_740:
	s_delay_alu instid0(SALU_CYCLE_1)
	s_and_not1_b32 vcc_lo, exec_lo, s24
	s_cbranch_vccnz .LBB6_742
; %bb.741:
	s_wait_xcnt 0x0
	v_and_or_b32 v2, 0x1ff, v1, v0
	v_lshrrev_b32_e32 v3, 8, v1
	v_bfe_u32 v6, v1, 20, 11
	s_delay_alu instid0(VALU_DEP_3) | instskip(NEXT) | instid1(VALU_DEP_2)
	v_cmp_ne_u32_e32 vcc_lo, 0, v2
	v_sub_nc_u32_e32 v7, 0x3f1, v6
	v_cndmask_b32_e64 v2, 0, 1, vcc_lo
	s_delay_alu instid0(VALU_DEP_1) | instskip(NEXT) | instid1(VALU_DEP_3)
	v_and_or_b32 v2, 0xffe, v3, v2
	v_med3_i32 v3, v7, 0, 13
	s_delay_alu instid0(VALU_DEP_2) | instskip(NEXT) | instid1(VALU_DEP_1)
	v_or_b32_e32 v7, 0x1000, v2
	v_lshrrev_b32_e32 v8, v3, v7
	s_delay_alu instid0(VALU_DEP_1) | instskip(NEXT) | instid1(VALU_DEP_1)
	v_lshlrev_b32_e32 v3, v3, v8
	v_cmp_ne_u32_e32 vcc_lo, v3, v7
	v_cndmask_b32_e64 v3, 0, 1, vcc_lo
	s_delay_alu instid0(VALU_DEP_1) | instskip(SKIP_1) | instid1(VALU_DEP_1)
	v_or_b32_e32 v3, v8, v3
	v_add_nc_u32_e32 v6, 0xfffffc10, v6
	v_lshl_or_b32 v7, v6, 12, v2
	v_cmp_gt_i32_e32 vcc_lo, 1, v6
	s_delay_alu instid0(VALU_DEP_2) | instskip(NEXT) | instid1(VALU_DEP_1)
	v_cndmask_b32_e32 v3, v7, v3, vcc_lo
	v_dual_lshrrev_b32 v3, 2, v3 :: v_dual_bitop2_b32 v7, 7, v3 bitop3:0x40
	s_delay_alu instid0(VALU_DEP_1) | instskip(SKIP_4) | instid1(VALU_DEP_2)
	v_cmp_lt_i32_e32 vcc_lo, 5, v7
	v_cndmask_b32_e64 v8, 0, 1, vcc_lo
	v_cmp_eq_u32_e32 vcc_lo, 3, v7
	v_cndmask_b32_e64 v7, 0, 1, vcc_lo
	v_cmp_ne_u32_e32 vcc_lo, 0, v2
	v_or_b32_e32 v7, v7, v8
	s_delay_alu instid0(VALU_DEP_1) | instskip(NEXT) | instid1(VALU_DEP_1)
	v_dual_mov_b32 v8, 0x7e00 :: v_dual_add_nc_u32 v3, v3, v7
	v_cndmask_b32_e32 v2, 0x7c00, v8, vcc_lo
	v_cmp_gt_i32_e32 vcc_lo, 31, v6
	v_lshrrev_b32_e32 v7, 16, v1
	s_delay_alu instid0(VALU_DEP_4) | instskip(SKIP_1) | instid1(VALU_DEP_2)
	v_cndmask_b32_e32 v3, 0x7c00, v3, vcc_lo
	v_cmp_eq_u32_e32 vcc_lo, 0x40f, v6
	v_cndmask_b32_e32 v2, v3, v2, vcc_lo
	s_delay_alu instid0(VALU_DEP_4) | instskip(NEXT) | instid1(VALU_DEP_1)
	v_and_b32_e32 v3, 0x8000, v7
	v_bitop3_b32 v2, v3, 0xffff, v2 bitop3:0xc8
	global_store_b32 v[4:5], v2, off
.LBB6_742:
	s_mov_b32 s24, 0
.LBB6_743:
	s_delay_alu instid0(SALU_CYCLE_1)
	s_and_not1_b32 vcc_lo, exec_lo, s24
	s_cbranch_vccnz .LBB6_752
; %bb.744:
	s_cmp_lt_i32 s21, 6
	s_mov_b32 s24, -1
	s_cbranch_scc1 .LBB6_750
; %bb.745:
	s_cmp_gt_i32 s21, 6
	s_cbranch_scc0 .LBB6_747
; %bb.746:
	s_mov_b32 s24, 0
	global_store_b64 v[4:5], v[0:1], off
.LBB6_747:
	s_and_not1_b32 vcc_lo, exec_lo, s24
	s_cbranch_vccnz .LBB6_749
; %bb.748:
	s_wait_xcnt 0x0
	v_cvt_f32_f64_e32 v2, v[0:1]
	global_store_b32 v[4:5], v2, off
.LBB6_749:
	s_mov_b32 s24, 0
.LBB6_750:
	s_delay_alu instid0(SALU_CYCLE_1)
	s_and_not1_b32 vcc_lo, exec_lo, s24
	s_cbranch_vccnz .LBB6_752
; %bb.751:
	s_wait_xcnt 0x0
	v_and_or_b32 v2, 0x1ff, v1, v0
	v_lshrrev_b32_e32 v3, 8, v1
	v_bfe_u32 v6, v1, 20, 11
	s_delay_alu instid0(VALU_DEP_3) | instskip(NEXT) | instid1(VALU_DEP_2)
	v_cmp_ne_u32_e32 vcc_lo, 0, v2
	v_sub_nc_u32_e32 v7, 0x3f1, v6
	v_cndmask_b32_e64 v2, 0, 1, vcc_lo
	s_delay_alu instid0(VALU_DEP_1) | instskip(NEXT) | instid1(VALU_DEP_3)
	v_and_or_b32 v2, 0xffe, v3, v2
	v_med3_i32 v3, v7, 0, 13
	s_delay_alu instid0(VALU_DEP_2) | instskip(NEXT) | instid1(VALU_DEP_1)
	v_or_b32_e32 v7, 0x1000, v2
	v_lshrrev_b32_e32 v8, v3, v7
	s_delay_alu instid0(VALU_DEP_1) | instskip(NEXT) | instid1(VALU_DEP_1)
	v_lshlrev_b32_e32 v3, v3, v8
	v_cmp_ne_u32_e32 vcc_lo, v3, v7
	v_cndmask_b32_e64 v3, 0, 1, vcc_lo
	s_delay_alu instid0(VALU_DEP_1) | instskip(SKIP_1) | instid1(VALU_DEP_1)
	v_or_b32_e32 v3, v8, v3
	v_add_nc_u32_e32 v6, 0xfffffc10, v6
	v_lshl_or_b32 v7, v6, 12, v2
	v_cmp_gt_i32_e32 vcc_lo, 1, v6
	s_delay_alu instid0(VALU_DEP_2) | instskip(NEXT) | instid1(VALU_DEP_1)
	v_cndmask_b32_e32 v3, v7, v3, vcc_lo
	v_dual_lshrrev_b32 v3, 2, v3 :: v_dual_bitop2_b32 v7, 7, v3 bitop3:0x40
	s_delay_alu instid0(VALU_DEP_1) | instskip(SKIP_4) | instid1(VALU_DEP_2)
	v_cmp_lt_i32_e32 vcc_lo, 5, v7
	v_cndmask_b32_e64 v8, 0, 1, vcc_lo
	v_cmp_eq_u32_e32 vcc_lo, 3, v7
	v_cndmask_b32_e64 v7, 0, 1, vcc_lo
	v_cmp_ne_u32_e32 vcc_lo, 0, v2
	v_or_b32_e32 v7, v7, v8
	s_delay_alu instid0(VALU_DEP_1) | instskip(NEXT) | instid1(VALU_DEP_1)
	v_dual_mov_b32 v8, 0x7e00 :: v_dual_add_nc_u32 v3, v3, v7
	v_cndmask_b32_e32 v2, 0x7c00, v8, vcc_lo
	v_cmp_gt_i32_e32 vcc_lo, 31, v6
	s_delay_alu instid0(VALU_DEP_3) | instskip(SKIP_1) | instid1(VALU_DEP_2)
	v_cndmask_b32_e32 v3, 0x7c00, v3, vcc_lo
	v_cmp_eq_u32_e32 vcc_lo, 0x40f, v6
	v_dual_cndmask_b32 v2, v3, v2 :: v_dual_lshrrev_b32 v3, 16, v1
	s_delay_alu instid0(VALU_DEP_1)
	v_and_or_b32 v2, 0x8000, v3, v2
	global_store_b16 v[4:5], v2, off
.LBB6_752:
	s_mov_b32 s24, 0
.LBB6_753:
	s_delay_alu instid0(SALU_CYCLE_1)
	s_and_not1_b32 vcc_lo, exec_lo, s24
	s_cbranch_vccnz .LBB6_769
; %bb.754:
	s_cmp_lt_i32 s21, 2
	s_mov_b32 s24, -1
	s_cbranch_scc1 .LBB6_764
; %bb.755:
	s_cmp_lt_i32 s21, 3
	s_cbranch_scc1 .LBB6_761
; %bb.756:
	s_cmp_gt_i32 s21, 3
	s_cbranch_scc0 .LBB6_758
; %bb.757:
	s_wait_xcnt 0x0
	v_trunc_f64_e32 v[2:3], v[0:1]
	s_mov_b32 s24, 0
	s_delay_alu instid0(VALU_DEP_1) | instskip(NEXT) | instid1(VALU_DEP_1)
	v_ldexp_f64 v[6:7], v[2:3], 0xffffffe0
	v_floor_f64_e32 v[6:7], v[6:7]
	s_delay_alu instid0(VALU_DEP_1) | instskip(SKIP_1) | instid1(VALU_DEP_2)
	v_fmamk_f64 v[2:3], v[6:7], 0xc1f00000, v[2:3]
	v_cvt_i32_f64_e32 v7, v[6:7]
	v_cvt_u32_f64_e32 v6, v[2:3]
	global_store_b64 v[4:5], v[6:7], off
.LBB6_758:
	s_and_not1_b32 vcc_lo, exec_lo, s24
	s_cbranch_vccnz .LBB6_760
; %bb.759:
	s_wait_xcnt 0x0
	v_cvt_i32_f64_e32 v2, v[0:1]
	global_store_b32 v[4:5], v2, off
.LBB6_760:
	s_mov_b32 s24, 0
.LBB6_761:
	s_delay_alu instid0(SALU_CYCLE_1)
	s_and_not1_b32 vcc_lo, exec_lo, s24
	s_cbranch_vccnz .LBB6_763
; %bb.762:
	s_wait_xcnt 0x0
	v_cvt_i32_f64_e32 v2, v[0:1]
	global_store_b16 v[4:5], v2, off
.LBB6_763:
	s_mov_b32 s24, 0
.LBB6_764:
	s_delay_alu instid0(SALU_CYCLE_1)
	s_and_not1_b32 vcc_lo, exec_lo, s24
	s_cbranch_vccnz .LBB6_769
; %bb.765:
	s_cmp_gt_i32 s21, 0
	s_mov_b32 s21, -1
	s_cbranch_scc0 .LBB6_767
; %bb.766:
	s_wait_xcnt 0x0
	v_cvt_i32_f64_e32 v2, v[0:1]
	s_mov_b32 s21, 0
	global_store_b8 v[4:5], v2, off
.LBB6_767:
	s_and_not1_b32 vcc_lo, exec_lo, s21
	s_cbranch_vccnz .LBB6_769
; %bb.768:
	s_wait_xcnt 0x0
	v_trunc_f64_e32 v[0:1], v[0:1]
	s_delay_alu instid0(VALU_DEP_1) | instskip(NEXT) | instid1(VALU_DEP_1)
	v_ldexp_f64 v[2:3], v[0:1], 0xffffffe0
	v_floor_f64_e32 v[2:3], v[2:3]
	s_delay_alu instid0(VALU_DEP_1) | instskip(NEXT) | instid1(VALU_DEP_1)
	v_fmamk_f64 v[0:1], v[2:3], 0xc1f00000, v[0:1]
	v_cvt_u32_f64_e32 v0, v[0:1]
	global_store_b8 v[4:5], v0, off
.LBB6_769:
	s_mov_b32 s25, -1
.LBB6_770:
	s_delay_alu instid0(SALU_CYCLE_1)
	s_and_not1_b32 vcc_lo, exec_lo, s25
	s_cbranch_vccnz .LBB6_772
; %bb.771:
	v_add_nc_u32_e32 v18, 0x80, v18
	s_mov_b32 s24, -1
	s_branch .LBB6_774
.LBB6_772:
	s_mov_b32 s24, 0
.LBB6_773:
                                        ; implicit-def: $vgpr18
.LBB6_774:
	s_and_not1_b32 s21, s15, exec_lo
	s_and_b32 s0, s0, exec_lo
	s_and_b32 s22, s22, exec_lo
	s_or_b32 s21, s21, s0
	s_and_not1_b32 s0, s17, exec_lo
	s_and_not1_b32 s25, s18, exec_lo
	s_and_b32 s20, s20, exec_lo
	s_or_b32 s22, s0, s22
	s_or_b32 s20, s25, s20
	s_or_not1_b32 s25, s24, exec_lo
.LBB6_775:
	s_wait_xcnt 0x0
	s_or_b32 exec_lo, exec_lo, s23
	s_mov_b32 s24, 0
	s_mov_b32 s26, 0
	;; [unrolled: 1-line block ×3, first 2 shown]
                                        ; implicit-def: $sgpr0
                                        ; implicit-def: $vgpr0_vgpr1
                                        ; implicit-def: $vgpr2_vgpr3
	s_and_saveexec_b32 s23, s25
	s_cbranch_execz .LBB6_1250
; %bb.776:
	s_mov_b32 s31, -1
	s_mov_b32 s25, s20
	s_mov_b32 s26, s22
	;; [unrolled: 1-line block ×3, first 2 shown]
	s_mov_b32 s24, exec_lo
	v_cmpx_gt_i32_e64 s16, v18
	s_cbranch_execz .LBB6_1166
; %bb.777:
	s_wait_loadcnt 0x0
	v_mul_lo_u32 v0, v18, s9
	s_and_b32 s0, s13, 0xff
	s_delay_alu instid0(SALU_CYCLE_1) | instskip(NEXT) | instid1(VALU_DEP_1)
	s_cmp_lt_i32 s0, 11
	v_ashrrev_i32_e32 v1, 31, v0
	s_delay_alu instid0(VALU_DEP_1)
	v_add_nc_u64_e32 v[2:3], s[6:7], v[0:1]
	s_cbranch_scc1 .LBB6_784
; %bb.778:
	s_and_b32 s26, 0xffff, s0
	s_delay_alu instid0(SALU_CYCLE_1)
	s_cmp_gt_i32 s26, 25
	s_cbranch_scc0 .LBB6_785
; %bb.779:
	s_cmp_gt_i32 s26, 28
	s_cbranch_scc0 .LBB6_786
; %bb.780:
	;; [unrolled: 3-line block ×4, first 2 shown]
	s_cmp_eq_u32 s26, 46
	s_mov_b32 s28, 0
	s_cbranch_scc0 .LBB6_791
; %bb.783:
	global_load_b32 v0, v[2:3], off
	s_mov_b32 s27, -1
	s_mov_b32 s25, 0
	s_wait_loadcnt 0x0
	v_lshlrev_b32_e32 v0, 16, v0
	s_delay_alu instid0(VALU_DEP_1)
	v_cvt_f64_f32_e32 v[0:1], v0
	s_branch .LBB6_793
.LBB6_784:
	s_mov_b32 s26, -1
	s_mov_b32 s27, 0
	s_mov_b32 s25, s20
                                        ; implicit-def: $vgpr0_vgpr1
	s_branch .LBB6_858
.LBB6_785:
	s_mov_b32 s28, -1
	s_mov_b32 s27, 0
	s_mov_b32 s25, s20
                                        ; implicit-def: $vgpr0_vgpr1
	s_branch .LBB6_822
.LBB6_786:
	s_mov_b32 s28, -1
	s_mov_b32 s27, 0
	s_mov_b32 s25, s20
                                        ; implicit-def: $vgpr0_vgpr1
	s_branch .LBB6_803
.LBB6_787:
	s_mov_b32 s28, -1
	s_mov_b32 s27, 0
	s_mov_b32 s25, s20
                                        ; implicit-def: $vgpr0_vgpr1
	s_branch .LBB6_798
.LBB6_788:
	s_mov_b32 s28, -1
	s_mov_b32 s27, 0
	s_mov_b32 s25, s20
	s_branch .LBB6_792
.LBB6_789:
	s_and_not1_saveexec_b32 s27, s27
	s_cbranch_execz .LBB6_683
.LBB6_790:
	v_add_f32_e64 v3, 0x46000000, |v2|
	s_and_not1_b32 s26, s26, exec_lo
	s_delay_alu instid0(VALU_DEP_1) | instskip(NEXT) | instid1(VALU_DEP_1)
	v_and_b32_e32 v3, 0xff, v3
	v_cmp_ne_u32_e32 vcc_lo, 0, v3
	s_and_b32 s28, vcc_lo, exec_lo
	s_delay_alu instid0(SALU_CYCLE_1)
	s_or_b32 s26, s26, s28
	s_or_b32 exec_lo, exec_lo, s27
	v_mov_b32_e32 v6, 0
	s_and_saveexec_b32 s27, s26
	s_cbranch_execnz .LBB6_684
	s_branch .LBB6_685
.LBB6_791:
	s_mov_b32 s25, -1
	s_mov_b32 s27, 0
.LBB6_792:
                                        ; implicit-def: $vgpr0_vgpr1
.LBB6_793:
	s_and_b32 vcc_lo, exec_lo, s28
	s_cbranch_vccz .LBB6_797
; %bb.794:
	s_cmp_eq_u32 s26, 44
	s_cbranch_scc0 .LBB6_796
; %bb.795:
	global_load_u8 v4, v[2:3], off
	s_mov_b32 s25, 0
	s_mov_b32 s27, -1
	s_wait_loadcnt 0x0
	v_cmp_ne_u32_e32 vcc_lo, 0xff, v4
	v_lshlrev_b32_e32 v0, 23, v4
	s_delay_alu instid0(VALU_DEP_1) | instskip(NEXT) | instid1(VALU_DEP_1)
	v_cvt_f64_f32_e32 v[0:1], v0
	v_cndmask_b32_e32 v0, 0x20000000, v0, vcc_lo
	s_delay_alu instid0(VALU_DEP_2) | instskip(SKIP_1) | instid1(VALU_DEP_2)
	v_cndmask_b32_e32 v1, 0x7ff80000, v1, vcc_lo
	v_cmp_ne_u32_e32 vcc_lo, 0, v4
	v_cndmask_b32_e32 v1, 0x38000000, v1, vcc_lo
	s_delay_alu instid0(VALU_DEP_4)
	v_cndmask_b32_e32 v0, 0, v0, vcc_lo
	s_branch .LBB6_797
.LBB6_796:
	s_mov_b32 s25, -1
                                        ; implicit-def: $vgpr0_vgpr1
.LBB6_797:
	s_mov_b32 s28, 0
.LBB6_798:
	s_delay_alu instid0(SALU_CYCLE_1)
	s_and_b32 vcc_lo, exec_lo, s28
	s_cbranch_vccz .LBB6_802
; %bb.799:
	s_cmp_eq_u32 s26, 29
	s_cbranch_scc0 .LBB6_801
; %bb.800:
	global_load_b64 v[0:1], v[2:3], off
	s_mov_b32 s27, -1
	s_mov_b32 s25, 0
	s_mov_b32 s28, 0
	s_wait_loadcnt 0x0
	v_cvt_f64_u32_e32 v[4:5], v1
	v_cvt_f64_u32_e32 v[0:1], v0
	s_delay_alu instid0(VALU_DEP_2) | instskip(NEXT) | instid1(VALU_DEP_1)
	v_ldexp_f64 v[4:5], v[4:5], 32
	v_add_f64_e32 v[0:1], v[4:5], v[0:1]
	s_branch .LBB6_803
.LBB6_801:
	s_mov_b32 s25, -1
                                        ; implicit-def: $vgpr0_vgpr1
.LBB6_802:
	s_mov_b32 s28, 0
.LBB6_803:
	s_delay_alu instid0(SALU_CYCLE_1)
	s_and_b32 vcc_lo, exec_lo, s28
	s_cbranch_vccz .LBB6_821
; %bb.804:
	s_cmp_lt_i32 s26, 27
	s_cbranch_scc1 .LBB6_807
; %bb.805:
	s_cmp_gt_i32 s26, 27
	s_cbranch_scc0 .LBB6_808
; %bb.806:
	global_load_b32 v0, v[2:3], off
	s_mov_b32 s27, 0
	s_wait_loadcnt 0x0
	v_cvt_f64_u32_e32 v[0:1], v0
	s_branch .LBB6_809
.LBB6_807:
	s_mov_b32 s27, -1
                                        ; implicit-def: $vgpr0_vgpr1
	s_branch .LBB6_812
.LBB6_808:
	s_mov_b32 s27, -1
                                        ; implicit-def: $vgpr0_vgpr1
.LBB6_809:
	s_delay_alu instid0(SALU_CYCLE_1)
	s_and_not1_b32 vcc_lo, exec_lo, s27
	s_cbranch_vccnz .LBB6_811
; %bb.810:
	global_load_u16 v0, v[2:3], off
	s_wait_loadcnt 0x0
	v_cvt_f64_u32_e32 v[0:1], v0
.LBB6_811:
	s_mov_b32 s27, 0
.LBB6_812:
	s_delay_alu instid0(SALU_CYCLE_1)
	s_and_not1_b32 vcc_lo, exec_lo, s27
	s_cbranch_vccnz .LBB6_820
; %bb.813:
	global_load_u8 v4, v[2:3], off
	s_mov_b32 s27, 0
	s_mov_b32 s28, exec_lo
	s_wait_loadcnt 0x0
	v_cmpx_lt_i16_e32 0x7f, v4
	s_xor_b32 s28, exec_lo, s28
	s_cbranch_execz .LBB6_834
; %bb.814:
	s_mov_b32 s27, -1
	s_mov_b32 s29, exec_lo
	v_cmpx_eq_u16_e32 0x80, v4
; %bb.815:
	s_xor_b32 s27, exec_lo, -1
; %bb.816:
	s_or_b32 exec_lo, exec_lo, s29
	s_delay_alu instid0(SALU_CYCLE_1)
	s_and_b32 s27, s27, exec_lo
	s_or_saveexec_b32 s28, s28
	v_mov_b64_e32 v[0:1], 0x7ff8000020000000
	s_xor_b32 exec_lo, exec_lo, s28
	s_cbranch_execnz .LBB6_835
.LBB6_817:
	s_or_b32 exec_lo, exec_lo, s28
	s_and_saveexec_b32 s28, s27
	s_cbranch_execz .LBB6_819
.LBB6_818:
	v_and_b32_e32 v0, 0xffff, v4
	s_delay_alu instid0(VALU_DEP_1) | instskip(SKIP_1) | instid1(VALU_DEP_2)
	v_and_b32_e32 v1, 7, v0
	v_bfe_u32 v7, v0, 3, 4
	v_clz_i32_u32_e32 v5, v1
	s_delay_alu instid0(VALU_DEP_2) | instskip(NEXT) | instid1(VALU_DEP_2)
	v_cmp_eq_u32_e32 vcc_lo, 0, v7
	v_min_u32_e32 v5, 32, v5
	s_delay_alu instid0(VALU_DEP_1) | instskip(NEXT) | instid1(VALU_DEP_1)
	v_subrev_nc_u32_e32 v6, 28, v5
	v_dual_lshlrev_b32 v0, v6, v0 :: v_dual_sub_nc_u32 v5, 29, v5
	s_delay_alu instid0(VALU_DEP_1) | instskip(NEXT) | instid1(VALU_DEP_2)
	v_and_b32_e32 v0, 7, v0
	v_dual_cndmask_b32 v5, v7, v5 :: v_dual_lshlrev_b32 v4, 24, v4
	s_delay_alu instid0(VALU_DEP_2) | instskip(NEXT) | instid1(VALU_DEP_2)
	v_cndmask_b32_e32 v0, v1, v0, vcc_lo
	v_and_b32_e32 v1, 0x80000000, v4
	s_delay_alu instid0(VALU_DEP_3) | instskip(NEXT) | instid1(VALU_DEP_3)
	v_lshl_add_u32 v4, v5, 23, 0x3b800000
	v_lshlrev_b32_e32 v0, 20, v0
	s_delay_alu instid0(VALU_DEP_1) | instskip(NEXT) | instid1(VALU_DEP_1)
	v_or3_b32 v0, v1, v4, v0
	v_cvt_f64_f32_e32 v[0:1], v0
.LBB6_819:
	s_or_b32 exec_lo, exec_lo, s28
.LBB6_820:
	s_mov_b32 s27, -1
.LBB6_821:
	s_mov_b32 s28, 0
.LBB6_822:
	s_delay_alu instid0(SALU_CYCLE_1)
	s_and_b32 vcc_lo, exec_lo, s28
	s_cbranch_vccz .LBB6_857
; %bb.823:
	s_cmp_gt_i32 s26, 22
	s_cbranch_scc0 .LBB6_833
; %bb.824:
	s_cmp_lt_i32 s26, 24
	s_cbranch_scc1 .LBB6_836
; %bb.825:
	s_cmp_gt_i32 s26, 24
	s_cbranch_scc0 .LBB6_837
; %bb.826:
	global_load_u8 v4, v[2:3], off
	s_mov_b32 s27, 0
	s_mov_b32 s28, exec_lo
	s_wait_loadcnt 0x0
	v_cmpx_lt_i16_e32 0x7f, v4
	s_xor_b32 s28, exec_lo, s28
	s_cbranch_execz .LBB6_849
; %bb.827:
	s_mov_b32 s27, -1
	s_mov_b32 s29, exec_lo
	v_cmpx_eq_u16_e32 0x80, v4
; %bb.828:
	s_xor_b32 s27, exec_lo, -1
; %bb.829:
	s_or_b32 exec_lo, exec_lo, s29
	s_delay_alu instid0(SALU_CYCLE_1)
	s_and_b32 s27, s27, exec_lo
	s_or_saveexec_b32 s28, s28
	v_mov_b64_e32 v[0:1], 0x7ff8000020000000
	s_xor_b32 exec_lo, exec_lo, s28
	s_cbranch_execnz .LBB6_850
.LBB6_830:
	s_or_b32 exec_lo, exec_lo, s28
	s_and_saveexec_b32 s28, s27
	s_cbranch_execz .LBB6_832
.LBB6_831:
	v_and_b32_e32 v0, 0xffff, v4
	s_delay_alu instid0(VALU_DEP_1) | instskip(SKIP_1) | instid1(VALU_DEP_2)
	v_and_b32_e32 v1, 3, v0
	v_bfe_u32 v7, v0, 2, 5
	v_clz_i32_u32_e32 v5, v1
	s_delay_alu instid0(VALU_DEP_2) | instskip(NEXT) | instid1(VALU_DEP_2)
	v_cmp_eq_u32_e32 vcc_lo, 0, v7
	v_min_u32_e32 v5, 32, v5
	s_delay_alu instid0(VALU_DEP_1) | instskip(NEXT) | instid1(VALU_DEP_1)
	v_subrev_nc_u32_e32 v6, 29, v5
	v_dual_lshlrev_b32 v0, v6, v0 :: v_dual_sub_nc_u32 v5, 30, v5
	s_delay_alu instid0(VALU_DEP_1) | instskip(NEXT) | instid1(VALU_DEP_2)
	v_and_b32_e32 v0, 3, v0
	v_dual_cndmask_b32 v5, v7, v5 :: v_dual_lshlrev_b32 v4, 24, v4
	s_delay_alu instid0(VALU_DEP_2) | instskip(NEXT) | instid1(VALU_DEP_2)
	v_cndmask_b32_e32 v0, v1, v0, vcc_lo
	v_and_b32_e32 v1, 0x80000000, v4
	s_delay_alu instid0(VALU_DEP_3) | instskip(NEXT) | instid1(VALU_DEP_3)
	v_lshl_add_u32 v4, v5, 23, 0x37800000
	v_lshlrev_b32_e32 v0, 21, v0
	s_delay_alu instid0(VALU_DEP_1) | instskip(NEXT) | instid1(VALU_DEP_1)
	v_or3_b32 v0, v1, v4, v0
	v_cvt_f64_f32_e32 v[0:1], v0
.LBB6_832:
	s_or_b32 exec_lo, exec_lo, s28
	s_mov_b32 s27, 0
	s_branch .LBB6_838
.LBB6_833:
	s_mov_b32 s28, -1
                                        ; implicit-def: $vgpr0_vgpr1
	s_branch .LBB6_844
.LBB6_834:
	s_or_saveexec_b32 s28, s28
	v_mov_b64_e32 v[0:1], 0x7ff8000020000000
	s_xor_b32 exec_lo, exec_lo, s28
	s_cbranch_execz .LBB6_817
.LBB6_835:
	v_cmp_ne_u16_e32 vcc_lo, 0, v4
	v_mov_b64_e32 v[0:1], 0
	s_and_not1_b32 s27, s27, exec_lo
	s_and_b32 s29, vcc_lo, exec_lo
	s_delay_alu instid0(SALU_CYCLE_1)
	s_or_b32 s27, s27, s29
	s_or_b32 exec_lo, exec_lo, s28
	s_and_saveexec_b32 s28, s27
	s_cbranch_execnz .LBB6_818
	s_branch .LBB6_819
.LBB6_836:
	s_mov_b32 s27, -1
                                        ; implicit-def: $vgpr0_vgpr1
	s_branch .LBB6_841
.LBB6_837:
	s_mov_b32 s27, -1
                                        ; implicit-def: $vgpr0_vgpr1
.LBB6_838:
	s_delay_alu instid0(SALU_CYCLE_1)
	s_and_b32 vcc_lo, exec_lo, s27
	s_cbranch_vccz .LBB6_840
; %bb.839:
	global_load_u8 v0, v[2:3], off
	s_wait_loadcnt 0x0
	v_lshlrev_b32_e32 v0, 24, v0
	s_delay_alu instid0(VALU_DEP_1) | instskip(NEXT) | instid1(VALU_DEP_1)
	v_and_b32_e32 v1, 0x7f000000, v0
	v_clz_i32_u32_e32 v4, v1
	v_cmp_ne_u32_e32 vcc_lo, 0, v1
	v_add_nc_u32_e32 v6, 0x1000000, v1
	s_delay_alu instid0(VALU_DEP_3) | instskip(NEXT) | instid1(VALU_DEP_1)
	v_min_u32_e32 v4, 32, v4
	v_sub_nc_u32_e64 v4, v4, 4 clamp
	s_delay_alu instid0(VALU_DEP_1) | instskip(NEXT) | instid1(VALU_DEP_1)
	v_dual_lshlrev_b32 v5, v4, v1 :: v_dual_lshlrev_b32 v4, 23, v4
	v_lshrrev_b32_e32 v5, 4, v5
	s_delay_alu instid0(VALU_DEP_1) | instskip(NEXT) | instid1(VALU_DEP_1)
	v_dual_sub_nc_u32 v4, v5, v4 :: v_dual_ashrrev_i32 v5, 8, v6
	v_add_nc_u32_e32 v4, 0x3c000000, v4
	s_delay_alu instid0(VALU_DEP_1) | instskip(NEXT) | instid1(VALU_DEP_1)
	v_and_or_b32 v4, 0x7f800000, v5, v4
	v_cndmask_b32_e32 v1, 0, v4, vcc_lo
	s_delay_alu instid0(VALU_DEP_1) | instskip(NEXT) | instid1(VALU_DEP_1)
	v_and_or_b32 v0, 0x80000000, v0, v1
	v_cvt_f64_f32_e32 v[0:1], v0
.LBB6_840:
	s_mov_b32 s27, 0
.LBB6_841:
	s_delay_alu instid0(SALU_CYCLE_1)
	s_and_not1_b32 vcc_lo, exec_lo, s27
	s_cbranch_vccnz .LBB6_843
; %bb.842:
	global_load_u8 v0, v[2:3], off
	s_wait_loadcnt 0x0
	v_lshlrev_b32_e32 v1, 25, v0
	v_lshlrev_b16 v0, 8, v0
	s_delay_alu instid0(VALU_DEP_1) | instskip(SKIP_1) | instid1(VALU_DEP_2)
	v_and_or_b32 v5, 0x7f00, v0, 0.5
	v_bfe_i32 v0, v0, 0, 16
	v_add_f32_e32 v5, -0.5, v5
	v_lshrrev_b32_e32 v4, 4, v1
	v_cmp_gt_u32_e32 vcc_lo, 0x8000000, v1
	s_delay_alu instid0(VALU_DEP_2) | instskip(NEXT) | instid1(VALU_DEP_1)
	v_or_b32_e32 v4, 0x70000000, v4
	v_mul_f32_e32 v4, 0x7800000, v4
	s_delay_alu instid0(VALU_DEP_1) | instskip(NEXT) | instid1(VALU_DEP_1)
	v_cndmask_b32_e32 v1, v4, v5, vcc_lo
	v_and_or_b32 v0, 0x80000000, v0, v1
	s_delay_alu instid0(VALU_DEP_1)
	v_cvt_f64_f32_e32 v[0:1], v0
.LBB6_843:
	s_mov_b32 s28, 0
	s_mov_b32 s27, -1
.LBB6_844:
	s_and_not1_b32 vcc_lo, exec_lo, s28
	s_cbranch_vccnz .LBB6_857
; %bb.845:
	s_cmp_gt_i32 s26, 14
	s_cbranch_scc0 .LBB6_848
; %bb.846:
	s_cmp_eq_u32 s26, 15
	s_cbranch_scc0 .LBB6_851
; %bb.847:
	global_load_u16 v0, v[2:3], off
	s_mov_b32 s27, -1
	s_mov_b32 s25, 0
	s_wait_loadcnt 0x0
	v_lshlrev_b32_e32 v0, 16, v0
	s_delay_alu instid0(VALU_DEP_1)
	v_cvt_f64_f32_e32 v[0:1], v0
	s_branch .LBB6_852
.LBB6_848:
	s_mov_b32 s28, -1
                                        ; implicit-def: $vgpr0_vgpr1
	s_branch .LBB6_853
.LBB6_849:
	s_or_saveexec_b32 s28, s28
	v_mov_b64_e32 v[0:1], 0x7ff8000020000000
	s_xor_b32 exec_lo, exec_lo, s28
	s_cbranch_execz .LBB6_830
.LBB6_850:
	v_cmp_ne_u16_e32 vcc_lo, 0, v4
	v_mov_b64_e32 v[0:1], 0
	s_and_not1_b32 s27, s27, exec_lo
	s_and_b32 s29, vcc_lo, exec_lo
	s_delay_alu instid0(SALU_CYCLE_1)
	s_or_b32 s27, s27, s29
	s_or_b32 exec_lo, exec_lo, s28
	s_and_saveexec_b32 s28, s27
	s_cbranch_execnz .LBB6_831
	s_branch .LBB6_832
.LBB6_851:
	s_mov_b32 s25, -1
                                        ; implicit-def: $vgpr0_vgpr1
.LBB6_852:
	s_mov_b32 s28, 0
.LBB6_853:
	s_delay_alu instid0(SALU_CYCLE_1)
	s_and_b32 vcc_lo, exec_lo, s28
	s_cbranch_vccz .LBB6_857
; %bb.854:
	s_cmp_eq_u32 s26, 11
	s_cbranch_scc0 .LBB6_856
; %bb.855:
	global_load_u8 v0, v[2:3], off
	s_mov_b32 s25, 0
	s_mov_b32 s27, -1
	s_wait_loadcnt 0x0
	v_cmp_ne_u16_e32 vcc_lo, 0, v0
	v_mov_b32_e32 v0, 0
	v_cndmask_b32_e64 v1, 0, 0x3ff00000, vcc_lo
	s_branch .LBB6_857
.LBB6_856:
	s_mov_b32 s25, -1
                                        ; implicit-def: $vgpr0_vgpr1
.LBB6_857:
	s_mov_b32 s26, 0
.LBB6_858:
	s_delay_alu instid0(SALU_CYCLE_1)
	s_and_b32 vcc_lo, exec_lo, s26
	s_cbranch_vccz .LBB6_907
; %bb.859:
	s_and_b32 s0, 0xffff, s0
	s_delay_alu instid0(SALU_CYCLE_1)
	s_cmp_lt_i32 s0, 5
	s_cbranch_scc1 .LBB6_864
; %bb.860:
	s_cmp_lt_i32 s0, 8
	s_cbranch_scc1 .LBB6_865
; %bb.861:
	;; [unrolled: 3-line block ×3, first 2 shown]
	s_cmp_gt_i32 s0, 9
	s_cbranch_scc0 .LBB6_867
; %bb.863:
	global_load_b64 v[0:1], v[2:3], off
	s_mov_b32 s26, 0
	s_branch .LBB6_868
.LBB6_864:
	s_mov_b32 s26, -1
                                        ; implicit-def: $vgpr0_vgpr1
	s_branch .LBB6_886
.LBB6_865:
	s_mov_b32 s26, -1
                                        ; implicit-def: $vgpr0_vgpr1
	s_branch .LBB6_874
.LBB6_866:
	s_mov_b32 s26, -1
                                        ; implicit-def: $vgpr0_vgpr1
	s_branch .LBB6_871
.LBB6_867:
	s_mov_b32 s26, -1
                                        ; implicit-def: $vgpr0_vgpr1
.LBB6_868:
	s_delay_alu instid0(SALU_CYCLE_1)
	s_and_not1_b32 vcc_lo, exec_lo, s26
	s_cbranch_vccnz .LBB6_870
; %bb.869:
	s_wait_loadcnt 0x0
	global_load_b32 v0, v[2:3], off
	s_wait_loadcnt 0x0
	v_cvt_f64_f32_e32 v[0:1], v0
.LBB6_870:
	s_mov_b32 s26, 0
.LBB6_871:
	s_delay_alu instid0(SALU_CYCLE_1)
	s_and_not1_b32 vcc_lo, exec_lo, s26
	s_cbranch_vccnz .LBB6_873
; %bb.872:
	s_wait_loadcnt 0x0
	global_load_b32 v0, v[2:3], off
	s_wait_loadcnt 0x0
	v_cvt_f32_f16_e32 v0, v0
	s_delay_alu instid0(VALU_DEP_1)
	v_cvt_f64_f32_e32 v[0:1], v0
.LBB6_873:
	s_mov_b32 s26, 0
.LBB6_874:
	s_delay_alu instid0(SALU_CYCLE_1)
	s_and_not1_b32 vcc_lo, exec_lo, s26
	s_cbranch_vccnz .LBB6_885
; %bb.875:
	s_cmp_lt_i32 s0, 6
	s_cbranch_scc1 .LBB6_878
; %bb.876:
	s_cmp_gt_i32 s0, 6
	s_cbranch_scc0 .LBB6_879
; %bb.877:
	s_wait_loadcnt 0x0
	global_load_b64 v[0:1], v[2:3], off
	s_mov_b32 s26, 0
	s_branch .LBB6_880
.LBB6_878:
	s_mov_b32 s26, -1
                                        ; implicit-def: $vgpr0_vgpr1
	s_branch .LBB6_883
.LBB6_879:
	s_mov_b32 s26, -1
                                        ; implicit-def: $vgpr0_vgpr1
.LBB6_880:
	s_delay_alu instid0(SALU_CYCLE_1)
	s_and_not1_b32 vcc_lo, exec_lo, s26
	s_cbranch_vccnz .LBB6_882
; %bb.881:
	s_wait_loadcnt 0x0
	global_load_b32 v0, v[2:3], off
	s_wait_loadcnt 0x0
	v_cvt_f64_f32_e32 v[0:1], v0
.LBB6_882:
	s_mov_b32 s26, 0
.LBB6_883:
	s_delay_alu instid0(SALU_CYCLE_1)
	s_and_not1_b32 vcc_lo, exec_lo, s26
	s_cbranch_vccnz .LBB6_885
; %bb.884:
	s_wait_loadcnt 0x0
	global_load_u16 v0, v[2:3], off
	s_wait_loadcnt 0x0
	v_cvt_f32_f16_e32 v0, v0
	s_delay_alu instid0(VALU_DEP_1)
	v_cvt_f64_f32_e32 v[0:1], v0
.LBB6_885:
	s_mov_b32 s26, 0
.LBB6_886:
	s_delay_alu instid0(SALU_CYCLE_1)
	s_and_not1_b32 vcc_lo, exec_lo, s26
	s_cbranch_vccnz .LBB6_906
; %bb.887:
	s_cmp_lt_i32 s0, 2
	s_cbranch_scc1 .LBB6_891
; %bb.888:
	s_cmp_lt_i32 s0, 3
	s_cbranch_scc1 .LBB6_892
; %bb.889:
	s_cmp_gt_i32 s0, 3
	s_cbranch_scc0 .LBB6_893
; %bb.890:
	s_wait_loadcnt 0x0
	global_load_b64 v[0:1], v[2:3], off
	s_mov_b32 s26, 0
	s_wait_loadcnt 0x0
	v_cvt_f64_i32_e32 v[4:5], v1
	v_cvt_f64_u32_e32 v[0:1], v0
	s_delay_alu instid0(VALU_DEP_2) | instskip(NEXT) | instid1(VALU_DEP_1)
	v_ldexp_f64 v[4:5], v[4:5], 32
	v_add_f64_e32 v[0:1], v[4:5], v[0:1]
	s_branch .LBB6_894
.LBB6_891:
	s_mov_b32 s26, -1
                                        ; implicit-def: $vgpr0_vgpr1
	s_branch .LBB6_900
.LBB6_892:
	s_mov_b32 s26, -1
                                        ; implicit-def: $vgpr0_vgpr1
	s_branch .LBB6_897
.LBB6_893:
	s_mov_b32 s26, -1
                                        ; implicit-def: $vgpr0_vgpr1
.LBB6_894:
	s_delay_alu instid0(SALU_CYCLE_1)
	s_and_not1_b32 vcc_lo, exec_lo, s26
	s_cbranch_vccnz .LBB6_896
; %bb.895:
	s_wait_loadcnt 0x0
	global_load_b32 v0, v[2:3], off
	s_wait_loadcnt 0x0
	v_cvt_f64_i32_e32 v[0:1], v0
.LBB6_896:
	s_mov_b32 s26, 0
.LBB6_897:
	s_delay_alu instid0(SALU_CYCLE_1)
	s_and_not1_b32 vcc_lo, exec_lo, s26
	s_cbranch_vccnz .LBB6_899
; %bb.898:
	s_wait_loadcnt 0x0
	global_load_i16 v0, v[2:3], off
	s_wait_loadcnt 0x0
	v_cvt_f64_i32_e32 v[0:1], v0
.LBB6_899:
	s_mov_b32 s26, 0
.LBB6_900:
	s_delay_alu instid0(SALU_CYCLE_1)
	s_and_not1_b32 vcc_lo, exec_lo, s26
	s_cbranch_vccnz .LBB6_906
; %bb.901:
	s_cmp_gt_i32 s0, 0
	s_mov_b32 s0, 0
	s_cbranch_scc0 .LBB6_903
; %bb.902:
	s_wait_loadcnt 0x0
	global_load_i8 v0, v[2:3], off
	s_wait_loadcnt 0x0
	v_cvt_f64_i32_e32 v[0:1], v0
	s_branch .LBB6_904
.LBB6_903:
	s_mov_b32 s0, -1
                                        ; implicit-def: $vgpr0_vgpr1
.LBB6_904:
	s_delay_alu instid0(SALU_CYCLE_1)
	s_and_not1_b32 vcc_lo, exec_lo, s0
	s_cbranch_vccnz .LBB6_906
; %bb.905:
	s_wait_loadcnt 0x0
	global_load_u8 v0, v[2:3], off
	s_wait_loadcnt 0x0
	v_cvt_f64_u32_e32 v[0:1], v0
.LBB6_906:
	s_mov_b32 s27, -1
.LBB6_907:
	s_delay_alu instid0(SALU_CYCLE_1)
	s_and_not1_b32 vcc_lo, exec_lo, s27
	s_cbranch_vccnz .LBB6_915
; %bb.908:
	s_wait_xcnt 0x0
	v_mul_lo_u32 v2, v18, s10
	s_and_b32 s0, s1, 0xff
	s_delay_alu instid0(SALU_CYCLE_1) | instskip(NEXT) | instid1(VALU_DEP_1)
	s_cmp_lt_i32 s0, 11
	v_ashrrev_i32_e32 v3, 31, v2
	s_delay_alu instid0(VALU_DEP_1)
	v_add_nc_u64_e32 v[2:3], s[2:3], v[2:3]
	s_cbranch_scc1 .LBB6_916
; %bb.909:
	s_and_b32 s27, 0xffff, s0
	s_delay_alu instid0(SALU_CYCLE_1)
	s_cmp_gt_i32 s27, 25
	s_cbranch_scc0 .LBB6_917
; %bb.910:
	s_cmp_gt_i32 s27, 28
	s_cbranch_scc0 .LBB6_918
; %bb.911:
	;; [unrolled: 3-line block ×4, first 2 shown]
	s_cmp_eq_u32 s27, 46
	s_mov_b32 s29, 0
	s_cbranch_scc0 .LBB6_923
; %bb.914:
	global_load_b32 v4, v[2:3], off
	s_mov_b32 s28, -1
	s_mov_b32 s26, 0
	s_wait_loadcnt 0x0
	v_lshlrev_b32_e32 v4, 16, v4
	s_delay_alu instid0(VALU_DEP_1)
	v_cvt_f64_f32_e32 v[4:5], v4
	s_branch .LBB6_925
.LBB6_915:
	s_mov_b32 s28, 0
	s_mov_b32 s0, s21
	;; [unrolled: 1-line block ×3, first 2 shown]
	s_branch .LBB6_1164
.LBB6_916:
	s_mov_b32 s27, -1
	s_mov_b32 s28, 0
	s_mov_b32 s26, s22
                                        ; implicit-def: $vgpr4_vgpr5
	s_branch .LBB6_990
.LBB6_917:
	s_mov_b32 s29, -1
	s_mov_b32 s28, 0
	s_mov_b32 s26, s22
                                        ; implicit-def: $vgpr4_vgpr5
	s_branch .LBB6_954
.LBB6_918:
	s_mov_b32 s29, -1
	s_mov_b32 s28, 0
	s_mov_b32 s26, s22
                                        ; implicit-def: $vgpr4_vgpr5
	s_branch .LBB6_935
.LBB6_919:
	s_mov_b32 s29, -1
	s_mov_b32 s28, 0
	s_mov_b32 s26, s22
                                        ; implicit-def: $vgpr4_vgpr5
	s_branch .LBB6_930
.LBB6_920:
	s_mov_b32 s29, -1
	s_mov_b32 s28, 0
	s_mov_b32 s26, s22
	s_branch .LBB6_924
.LBB6_921:
	s_and_not1_saveexec_b32 s27, s27
	s_cbranch_execz .LBB6_696
.LBB6_922:
	v_add_f32_e64 v3, 0x42800000, |v2|
	s_and_not1_b32 s26, s26, exec_lo
	s_delay_alu instid0(VALU_DEP_1) | instskip(NEXT) | instid1(VALU_DEP_1)
	v_and_b32_e32 v3, 0xff, v3
	v_cmp_ne_u32_e32 vcc_lo, 0, v3
	s_and_b32 s28, vcc_lo, exec_lo
	s_delay_alu instid0(SALU_CYCLE_1)
	s_or_b32 s26, s26, s28
	s_or_b32 exec_lo, exec_lo, s27
	v_mov_b32_e32 v6, 0
	s_and_saveexec_b32 s27, s26
	s_cbranch_execnz .LBB6_697
	s_branch .LBB6_698
.LBB6_923:
	s_mov_b32 s26, -1
	s_mov_b32 s28, 0
.LBB6_924:
                                        ; implicit-def: $vgpr4_vgpr5
.LBB6_925:
	s_and_b32 vcc_lo, exec_lo, s29
	s_cbranch_vccz .LBB6_929
; %bb.926:
	s_cmp_eq_u32 s27, 44
	s_cbranch_scc0 .LBB6_928
; %bb.927:
	global_load_u8 v6, v[2:3], off
	s_mov_b32 s26, 0
	s_mov_b32 s28, -1
	s_wait_loadcnt 0x0
	v_cmp_ne_u32_e32 vcc_lo, 0xff, v6
	v_lshlrev_b32_e32 v4, 23, v6
	s_delay_alu instid0(VALU_DEP_1) | instskip(NEXT) | instid1(VALU_DEP_1)
	v_cvt_f64_f32_e32 v[4:5], v4
	v_cndmask_b32_e32 v4, 0x20000000, v4, vcc_lo
	s_delay_alu instid0(VALU_DEP_2) | instskip(SKIP_1) | instid1(VALU_DEP_2)
	v_cndmask_b32_e32 v5, 0x7ff80000, v5, vcc_lo
	v_cmp_ne_u32_e32 vcc_lo, 0, v6
	v_cndmask_b32_e32 v5, 0x38000000, v5, vcc_lo
	s_delay_alu instid0(VALU_DEP_4)
	v_cndmask_b32_e32 v4, 0, v4, vcc_lo
	s_branch .LBB6_929
.LBB6_928:
	s_mov_b32 s26, -1
                                        ; implicit-def: $vgpr4_vgpr5
.LBB6_929:
	s_mov_b32 s29, 0
.LBB6_930:
	s_delay_alu instid0(SALU_CYCLE_1)
	s_and_b32 vcc_lo, exec_lo, s29
	s_cbranch_vccz .LBB6_934
; %bb.931:
	s_cmp_eq_u32 s27, 29
	s_cbranch_scc0 .LBB6_933
; %bb.932:
	global_load_b64 v[4:5], v[2:3], off
	s_mov_b32 s28, -1
	s_mov_b32 s26, 0
	s_mov_b32 s29, 0
	s_wait_loadcnt 0x0
	v_cvt_f64_u32_e32 v[6:7], v5
	v_cvt_f64_u32_e32 v[4:5], v4
	s_delay_alu instid0(VALU_DEP_2) | instskip(NEXT) | instid1(VALU_DEP_1)
	v_ldexp_f64 v[6:7], v[6:7], 32
	v_add_f64_e32 v[4:5], v[6:7], v[4:5]
	s_branch .LBB6_935
.LBB6_933:
	s_mov_b32 s26, -1
                                        ; implicit-def: $vgpr4_vgpr5
.LBB6_934:
	s_mov_b32 s29, 0
.LBB6_935:
	s_delay_alu instid0(SALU_CYCLE_1)
	s_and_b32 vcc_lo, exec_lo, s29
	s_cbranch_vccz .LBB6_953
; %bb.936:
	s_cmp_lt_i32 s27, 27
	s_cbranch_scc1 .LBB6_939
; %bb.937:
	s_cmp_gt_i32 s27, 27
	s_cbranch_scc0 .LBB6_940
; %bb.938:
	global_load_b32 v4, v[2:3], off
	s_mov_b32 s28, 0
	s_wait_loadcnt 0x0
	v_cvt_f64_u32_e32 v[4:5], v4
	s_branch .LBB6_941
.LBB6_939:
	s_mov_b32 s28, -1
                                        ; implicit-def: $vgpr4_vgpr5
	s_branch .LBB6_944
.LBB6_940:
	s_mov_b32 s28, -1
                                        ; implicit-def: $vgpr4_vgpr5
.LBB6_941:
	s_delay_alu instid0(SALU_CYCLE_1)
	s_and_not1_b32 vcc_lo, exec_lo, s28
	s_cbranch_vccnz .LBB6_943
; %bb.942:
	global_load_u16 v4, v[2:3], off
	s_wait_loadcnt 0x0
	v_cvt_f64_u32_e32 v[4:5], v4
.LBB6_943:
	s_mov_b32 s28, 0
.LBB6_944:
	s_delay_alu instid0(SALU_CYCLE_1)
	s_and_not1_b32 vcc_lo, exec_lo, s28
	s_cbranch_vccnz .LBB6_952
; %bb.945:
	global_load_u8 v6, v[2:3], off
	s_mov_b32 s28, 0
	s_mov_b32 s29, exec_lo
	s_wait_loadcnt 0x0
	v_cmpx_lt_i16_e32 0x7f, v6
	s_xor_b32 s29, exec_lo, s29
	s_cbranch_execz .LBB6_966
; %bb.946:
	s_mov_b32 s28, -1
	s_mov_b32 s30, exec_lo
	v_cmpx_eq_u16_e32 0x80, v6
; %bb.947:
	s_xor_b32 s28, exec_lo, -1
; %bb.948:
	s_or_b32 exec_lo, exec_lo, s30
	s_delay_alu instid0(SALU_CYCLE_1)
	s_and_b32 s28, s28, exec_lo
	s_or_saveexec_b32 s29, s29
	v_mov_b64_e32 v[4:5], 0x7ff8000020000000
	s_xor_b32 exec_lo, exec_lo, s29
	s_cbranch_execnz .LBB6_967
.LBB6_949:
	s_or_b32 exec_lo, exec_lo, s29
	s_and_saveexec_b32 s29, s28
	s_cbranch_execz .LBB6_951
.LBB6_950:
	v_and_b32_e32 v4, 0xffff, v6
	s_delay_alu instid0(VALU_DEP_1) | instskip(SKIP_1) | instid1(VALU_DEP_2)
	v_and_b32_e32 v5, 7, v4
	v_bfe_u32 v9, v4, 3, 4
	v_clz_i32_u32_e32 v7, v5
	s_delay_alu instid0(VALU_DEP_2) | instskip(NEXT) | instid1(VALU_DEP_2)
	v_cmp_eq_u32_e32 vcc_lo, 0, v9
	v_min_u32_e32 v7, 32, v7
	s_delay_alu instid0(VALU_DEP_1) | instskip(NEXT) | instid1(VALU_DEP_1)
	v_subrev_nc_u32_e32 v8, 28, v7
	v_dual_lshlrev_b32 v4, v8, v4 :: v_dual_sub_nc_u32 v7, 29, v7
	s_delay_alu instid0(VALU_DEP_1) | instskip(NEXT) | instid1(VALU_DEP_2)
	v_dual_lshlrev_b32 v6, 24, v6 :: v_dual_bitop2_b32 v4, 7, v4 bitop3:0x40
	v_cndmask_b32_e32 v7, v9, v7, vcc_lo
	s_delay_alu instid0(VALU_DEP_2) | instskip(NEXT) | instid1(VALU_DEP_3)
	v_cndmask_b32_e32 v4, v5, v4, vcc_lo
	v_and_b32_e32 v5, 0x80000000, v6
	s_delay_alu instid0(VALU_DEP_3) | instskip(NEXT) | instid1(VALU_DEP_3)
	v_lshl_add_u32 v6, v7, 23, 0x3b800000
	v_lshlrev_b32_e32 v4, 20, v4
	s_delay_alu instid0(VALU_DEP_1) | instskip(NEXT) | instid1(VALU_DEP_1)
	v_or3_b32 v4, v5, v6, v4
	v_cvt_f64_f32_e32 v[4:5], v4
.LBB6_951:
	s_or_b32 exec_lo, exec_lo, s29
.LBB6_952:
	s_mov_b32 s28, -1
.LBB6_953:
	s_mov_b32 s29, 0
.LBB6_954:
	s_delay_alu instid0(SALU_CYCLE_1)
	s_and_b32 vcc_lo, exec_lo, s29
	s_cbranch_vccz .LBB6_989
; %bb.955:
	s_cmp_gt_i32 s27, 22
	s_cbranch_scc0 .LBB6_965
; %bb.956:
	s_cmp_lt_i32 s27, 24
	s_cbranch_scc1 .LBB6_968
; %bb.957:
	s_cmp_gt_i32 s27, 24
	s_cbranch_scc0 .LBB6_969
; %bb.958:
	global_load_u8 v6, v[2:3], off
	s_mov_b32 s28, 0
	s_mov_b32 s29, exec_lo
	s_wait_loadcnt 0x0
	v_cmpx_lt_i16_e32 0x7f, v6
	s_xor_b32 s29, exec_lo, s29
	s_cbranch_execz .LBB6_981
; %bb.959:
	s_mov_b32 s28, -1
	s_mov_b32 s30, exec_lo
	v_cmpx_eq_u16_e32 0x80, v6
; %bb.960:
	s_xor_b32 s28, exec_lo, -1
; %bb.961:
	s_or_b32 exec_lo, exec_lo, s30
	s_delay_alu instid0(SALU_CYCLE_1)
	s_and_b32 s28, s28, exec_lo
	s_or_saveexec_b32 s29, s29
	v_mov_b64_e32 v[4:5], 0x7ff8000020000000
	s_xor_b32 exec_lo, exec_lo, s29
	s_cbranch_execnz .LBB6_982
.LBB6_962:
	s_or_b32 exec_lo, exec_lo, s29
	s_and_saveexec_b32 s29, s28
	s_cbranch_execz .LBB6_964
.LBB6_963:
	v_and_b32_e32 v4, 0xffff, v6
	s_delay_alu instid0(VALU_DEP_1) | instskip(SKIP_1) | instid1(VALU_DEP_2)
	v_and_b32_e32 v5, 3, v4
	v_bfe_u32 v9, v4, 2, 5
	v_clz_i32_u32_e32 v7, v5
	s_delay_alu instid0(VALU_DEP_2) | instskip(NEXT) | instid1(VALU_DEP_2)
	v_cmp_eq_u32_e32 vcc_lo, 0, v9
	v_min_u32_e32 v7, 32, v7
	s_delay_alu instid0(VALU_DEP_1) | instskip(NEXT) | instid1(VALU_DEP_1)
	v_subrev_nc_u32_e32 v8, 29, v7
	v_dual_lshlrev_b32 v4, v8, v4 :: v_dual_sub_nc_u32 v7, 30, v7
	s_delay_alu instid0(VALU_DEP_1) | instskip(NEXT) | instid1(VALU_DEP_2)
	v_dual_lshlrev_b32 v6, 24, v6 :: v_dual_bitop2_b32 v4, 3, v4 bitop3:0x40
	v_cndmask_b32_e32 v7, v9, v7, vcc_lo
	s_delay_alu instid0(VALU_DEP_2) | instskip(NEXT) | instid1(VALU_DEP_3)
	v_cndmask_b32_e32 v4, v5, v4, vcc_lo
	v_and_b32_e32 v5, 0x80000000, v6
	s_delay_alu instid0(VALU_DEP_3) | instskip(NEXT) | instid1(VALU_DEP_3)
	v_lshl_add_u32 v6, v7, 23, 0x37800000
	v_lshlrev_b32_e32 v4, 21, v4
	s_delay_alu instid0(VALU_DEP_1) | instskip(NEXT) | instid1(VALU_DEP_1)
	v_or3_b32 v4, v5, v6, v4
	v_cvt_f64_f32_e32 v[4:5], v4
.LBB6_964:
	s_or_b32 exec_lo, exec_lo, s29
	s_mov_b32 s28, 0
	s_branch .LBB6_970
.LBB6_965:
	s_mov_b32 s29, -1
                                        ; implicit-def: $vgpr4_vgpr5
	s_branch .LBB6_976
.LBB6_966:
	s_or_saveexec_b32 s29, s29
	v_mov_b64_e32 v[4:5], 0x7ff8000020000000
	s_xor_b32 exec_lo, exec_lo, s29
	s_cbranch_execz .LBB6_949
.LBB6_967:
	v_cmp_ne_u16_e32 vcc_lo, 0, v6
	v_mov_b64_e32 v[4:5], 0
	s_and_not1_b32 s28, s28, exec_lo
	s_and_b32 s30, vcc_lo, exec_lo
	s_delay_alu instid0(SALU_CYCLE_1)
	s_or_b32 s28, s28, s30
	s_or_b32 exec_lo, exec_lo, s29
	s_and_saveexec_b32 s29, s28
	s_cbranch_execnz .LBB6_950
	s_branch .LBB6_951
.LBB6_968:
	s_mov_b32 s28, -1
                                        ; implicit-def: $vgpr4_vgpr5
	s_branch .LBB6_973
.LBB6_969:
	s_mov_b32 s28, -1
                                        ; implicit-def: $vgpr4_vgpr5
.LBB6_970:
	s_delay_alu instid0(SALU_CYCLE_1)
	s_and_b32 vcc_lo, exec_lo, s28
	s_cbranch_vccz .LBB6_972
; %bb.971:
	global_load_u8 v4, v[2:3], off
	s_wait_loadcnt 0x0
	v_lshlrev_b32_e32 v4, 24, v4
	s_delay_alu instid0(VALU_DEP_1) | instskip(NEXT) | instid1(VALU_DEP_1)
	v_and_b32_e32 v5, 0x7f000000, v4
	v_clz_i32_u32_e32 v6, v5
	v_cmp_ne_u32_e32 vcc_lo, 0, v5
	v_add_nc_u32_e32 v8, 0x1000000, v5
	s_delay_alu instid0(VALU_DEP_3) | instskip(NEXT) | instid1(VALU_DEP_1)
	v_min_u32_e32 v6, 32, v6
	v_sub_nc_u32_e64 v6, v6, 4 clamp
	s_delay_alu instid0(VALU_DEP_1) | instskip(NEXT) | instid1(VALU_DEP_1)
	v_dual_lshlrev_b32 v7, v6, v5 :: v_dual_lshlrev_b32 v6, 23, v6
	v_lshrrev_b32_e32 v7, 4, v7
	s_delay_alu instid0(VALU_DEP_1) | instskip(NEXT) | instid1(VALU_DEP_1)
	v_dual_sub_nc_u32 v6, v7, v6 :: v_dual_ashrrev_i32 v7, 8, v8
	v_add_nc_u32_e32 v6, 0x3c000000, v6
	s_delay_alu instid0(VALU_DEP_1) | instskip(NEXT) | instid1(VALU_DEP_1)
	v_and_or_b32 v6, 0x7f800000, v7, v6
	v_cndmask_b32_e32 v5, 0, v6, vcc_lo
	s_delay_alu instid0(VALU_DEP_1) | instskip(NEXT) | instid1(VALU_DEP_1)
	v_and_or_b32 v4, 0x80000000, v4, v5
	v_cvt_f64_f32_e32 v[4:5], v4
.LBB6_972:
	s_mov_b32 s28, 0
.LBB6_973:
	s_delay_alu instid0(SALU_CYCLE_1)
	s_and_not1_b32 vcc_lo, exec_lo, s28
	s_cbranch_vccnz .LBB6_975
; %bb.974:
	global_load_u8 v4, v[2:3], off
	s_wait_loadcnt 0x0
	v_lshlrev_b32_e32 v5, 25, v4
	v_lshlrev_b16 v4, 8, v4
	s_delay_alu instid0(VALU_DEP_1) | instskip(SKIP_1) | instid1(VALU_DEP_2)
	v_and_or_b32 v7, 0x7f00, v4, 0.5
	v_bfe_i32 v4, v4, 0, 16
	v_dual_add_f32 v7, -0.5, v7 :: v_dual_lshrrev_b32 v6, 4, v5
	v_cmp_gt_u32_e32 vcc_lo, 0x8000000, v5
	s_delay_alu instid0(VALU_DEP_2) | instskip(NEXT) | instid1(VALU_DEP_1)
	v_or_b32_e32 v6, 0x70000000, v6
	v_mul_f32_e32 v6, 0x7800000, v6
	s_delay_alu instid0(VALU_DEP_1) | instskip(NEXT) | instid1(VALU_DEP_1)
	v_cndmask_b32_e32 v5, v6, v7, vcc_lo
	v_and_or_b32 v4, 0x80000000, v4, v5
	s_delay_alu instid0(VALU_DEP_1)
	v_cvt_f64_f32_e32 v[4:5], v4
.LBB6_975:
	s_mov_b32 s29, 0
	s_mov_b32 s28, -1
.LBB6_976:
	s_and_not1_b32 vcc_lo, exec_lo, s29
	s_cbranch_vccnz .LBB6_989
; %bb.977:
	s_cmp_gt_i32 s27, 14
	s_cbranch_scc0 .LBB6_980
; %bb.978:
	s_cmp_eq_u32 s27, 15
	s_cbranch_scc0 .LBB6_983
; %bb.979:
	global_load_u16 v4, v[2:3], off
	s_mov_b32 s28, -1
	s_mov_b32 s26, 0
	s_wait_loadcnt 0x0
	v_lshlrev_b32_e32 v4, 16, v4
	s_delay_alu instid0(VALU_DEP_1)
	v_cvt_f64_f32_e32 v[4:5], v4
	s_branch .LBB6_984
.LBB6_980:
	s_mov_b32 s29, -1
                                        ; implicit-def: $vgpr4_vgpr5
	s_branch .LBB6_985
.LBB6_981:
	s_or_saveexec_b32 s29, s29
	v_mov_b64_e32 v[4:5], 0x7ff8000020000000
	s_xor_b32 exec_lo, exec_lo, s29
	s_cbranch_execz .LBB6_962
.LBB6_982:
	v_cmp_ne_u16_e32 vcc_lo, 0, v6
	v_mov_b64_e32 v[4:5], 0
	s_and_not1_b32 s28, s28, exec_lo
	s_and_b32 s30, vcc_lo, exec_lo
	s_delay_alu instid0(SALU_CYCLE_1)
	s_or_b32 s28, s28, s30
	s_or_b32 exec_lo, exec_lo, s29
	s_and_saveexec_b32 s29, s28
	s_cbranch_execnz .LBB6_963
	s_branch .LBB6_964
.LBB6_983:
	s_mov_b32 s26, -1
                                        ; implicit-def: $vgpr4_vgpr5
.LBB6_984:
	s_mov_b32 s29, 0
.LBB6_985:
	s_delay_alu instid0(SALU_CYCLE_1)
	s_and_b32 vcc_lo, exec_lo, s29
	s_cbranch_vccz .LBB6_989
; %bb.986:
	s_cmp_eq_u32 s27, 11
	s_cbranch_scc0 .LBB6_988
; %bb.987:
	global_load_u8 v4, v[2:3], off
	s_mov_b32 s26, 0
	s_mov_b32 s28, -1
	s_wait_loadcnt 0x0
	v_cmp_ne_u16_e32 vcc_lo, 0, v4
	v_mov_b32_e32 v4, 0
	v_cndmask_b32_e64 v5, 0, 0x3ff00000, vcc_lo
	s_branch .LBB6_989
.LBB6_988:
	s_mov_b32 s26, -1
                                        ; implicit-def: $vgpr4_vgpr5
.LBB6_989:
	s_mov_b32 s27, 0
.LBB6_990:
	s_delay_alu instid0(SALU_CYCLE_1)
	s_and_b32 vcc_lo, exec_lo, s27
	s_cbranch_vccz .LBB6_1039
; %bb.991:
	s_and_b32 s0, 0xffff, s0
	s_delay_alu instid0(SALU_CYCLE_1)
	s_cmp_lt_i32 s0, 5
	s_cbranch_scc1 .LBB6_996
; %bb.992:
	s_cmp_lt_i32 s0, 8
	s_cbranch_scc1 .LBB6_997
; %bb.993:
	s_cmp_lt_i32 s0, 9
	s_cbranch_scc1 .LBB6_998
; %bb.994:
	s_cmp_gt_i32 s0, 9
	s_cbranch_scc0 .LBB6_999
; %bb.995:
	global_load_b64 v[4:5], v[2:3], off
	s_mov_b32 s27, 0
	s_branch .LBB6_1000
.LBB6_996:
	s_mov_b32 s27, -1
                                        ; implicit-def: $vgpr4_vgpr5
	s_branch .LBB6_1018
.LBB6_997:
	s_mov_b32 s27, -1
                                        ; implicit-def: $vgpr4_vgpr5
	s_branch .LBB6_1006
.LBB6_998:
	s_mov_b32 s27, -1
                                        ; implicit-def: $vgpr4_vgpr5
	s_branch .LBB6_1003
.LBB6_999:
	s_mov_b32 s27, -1
                                        ; implicit-def: $vgpr4_vgpr5
.LBB6_1000:
	s_delay_alu instid0(SALU_CYCLE_1)
	s_and_not1_b32 vcc_lo, exec_lo, s27
	s_cbranch_vccnz .LBB6_1002
; %bb.1001:
	s_wait_loadcnt 0x0
	global_load_b32 v4, v[2:3], off
	s_wait_loadcnt 0x0
	v_cvt_f64_f32_e32 v[4:5], v4
.LBB6_1002:
	s_mov_b32 s27, 0
.LBB6_1003:
	s_delay_alu instid0(SALU_CYCLE_1)
	s_and_not1_b32 vcc_lo, exec_lo, s27
	s_cbranch_vccnz .LBB6_1005
; %bb.1004:
	s_wait_loadcnt 0x0
	global_load_b32 v4, v[2:3], off
	s_wait_loadcnt 0x0
	v_cvt_f32_f16_e32 v4, v4
	s_delay_alu instid0(VALU_DEP_1)
	v_cvt_f64_f32_e32 v[4:5], v4
.LBB6_1005:
	s_mov_b32 s27, 0
.LBB6_1006:
	s_delay_alu instid0(SALU_CYCLE_1)
	s_and_not1_b32 vcc_lo, exec_lo, s27
	s_cbranch_vccnz .LBB6_1017
; %bb.1007:
	s_cmp_lt_i32 s0, 6
	s_cbranch_scc1 .LBB6_1010
; %bb.1008:
	s_cmp_gt_i32 s0, 6
	s_cbranch_scc0 .LBB6_1011
; %bb.1009:
	s_wait_loadcnt 0x0
	global_load_b64 v[4:5], v[2:3], off
	s_mov_b32 s27, 0
	s_branch .LBB6_1012
.LBB6_1010:
	s_mov_b32 s27, -1
                                        ; implicit-def: $vgpr4_vgpr5
	s_branch .LBB6_1015
.LBB6_1011:
	s_mov_b32 s27, -1
                                        ; implicit-def: $vgpr4_vgpr5
.LBB6_1012:
	s_delay_alu instid0(SALU_CYCLE_1)
	s_and_not1_b32 vcc_lo, exec_lo, s27
	s_cbranch_vccnz .LBB6_1014
; %bb.1013:
	s_wait_loadcnt 0x0
	global_load_b32 v4, v[2:3], off
	s_wait_loadcnt 0x0
	v_cvt_f64_f32_e32 v[4:5], v4
.LBB6_1014:
	s_mov_b32 s27, 0
.LBB6_1015:
	s_delay_alu instid0(SALU_CYCLE_1)
	s_and_not1_b32 vcc_lo, exec_lo, s27
	s_cbranch_vccnz .LBB6_1017
; %bb.1016:
	s_wait_loadcnt 0x0
	global_load_u16 v4, v[2:3], off
	s_wait_loadcnt 0x0
	v_cvt_f32_f16_e32 v4, v4
	s_delay_alu instid0(VALU_DEP_1)
	v_cvt_f64_f32_e32 v[4:5], v4
.LBB6_1017:
	s_mov_b32 s27, 0
.LBB6_1018:
	s_delay_alu instid0(SALU_CYCLE_1)
	s_and_not1_b32 vcc_lo, exec_lo, s27
	s_cbranch_vccnz .LBB6_1038
; %bb.1019:
	s_cmp_lt_i32 s0, 2
	s_cbranch_scc1 .LBB6_1023
; %bb.1020:
	s_cmp_lt_i32 s0, 3
	s_cbranch_scc1 .LBB6_1024
; %bb.1021:
	s_cmp_gt_i32 s0, 3
	s_cbranch_scc0 .LBB6_1025
; %bb.1022:
	s_wait_loadcnt 0x0
	global_load_b64 v[4:5], v[2:3], off
	s_mov_b32 s27, 0
	s_wait_loadcnt 0x0
	v_cvt_f64_i32_e32 v[6:7], v5
	v_cvt_f64_u32_e32 v[4:5], v4
	s_delay_alu instid0(VALU_DEP_2) | instskip(NEXT) | instid1(VALU_DEP_1)
	v_ldexp_f64 v[6:7], v[6:7], 32
	v_add_f64_e32 v[4:5], v[6:7], v[4:5]
	s_branch .LBB6_1026
.LBB6_1023:
	s_mov_b32 s27, -1
                                        ; implicit-def: $vgpr4_vgpr5
	s_branch .LBB6_1032
.LBB6_1024:
	s_mov_b32 s27, -1
                                        ; implicit-def: $vgpr4_vgpr5
	s_branch .LBB6_1029
.LBB6_1025:
	s_mov_b32 s27, -1
                                        ; implicit-def: $vgpr4_vgpr5
.LBB6_1026:
	s_delay_alu instid0(SALU_CYCLE_1)
	s_and_not1_b32 vcc_lo, exec_lo, s27
	s_cbranch_vccnz .LBB6_1028
; %bb.1027:
	s_wait_loadcnt 0x0
	global_load_b32 v4, v[2:3], off
	s_wait_loadcnt 0x0
	v_cvt_f64_i32_e32 v[4:5], v4
.LBB6_1028:
	s_mov_b32 s27, 0
.LBB6_1029:
	s_delay_alu instid0(SALU_CYCLE_1)
	s_and_not1_b32 vcc_lo, exec_lo, s27
	s_cbranch_vccnz .LBB6_1031
; %bb.1030:
	s_wait_loadcnt 0x0
	global_load_i16 v4, v[2:3], off
	s_wait_loadcnt 0x0
	v_cvt_f64_i32_e32 v[4:5], v4
.LBB6_1031:
	s_mov_b32 s27, 0
.LBB6_1032:
	s_delay_alu instid0(SALU_CYCLE_1)
	s_and_not1_b32 vcc_lo, exec_lo, s27
	s_cbranch_vccnz .LBB6_1038
; %bb.1033:
	s_cmp_gt_i32 s0, 0
	s_mov_b32 s0, 0
	s_cbranch_scc0 .LBB6_1035
; %bb.1034:
	s_wait_loadcnt 0x0
	global_load_i8 v4, v[2:3], off
	s_wait_loadcnt 0x0
	v_cvt_f64_i32_e32 v[4:5], v4
	s_branch .LBB6_1036
.LBB6_1035:
	s_mov_b32 s0, -1
                                        ; implicit-def: $vgpr4_vgpr5
.LBB6_1036:
	s_delay_alu instid0(SALU_CYCLE_1)
	s_and_not1_b32 vcc_lo, exec_lo, s0
	s_cbranch_vccnz .LBB6_1038
; %bb.1037:
	global_load_u8 v2, v[2:3], off
	s_wait_loadcnt 0x0
	v_cvt_f64_u32_e32 v[4:5], v2
.LBB6_1038:
	s_mov_b32 s28, -1
.LBB6_1039:
	s_delay_alu instid0(SALU_CYCLE_1)
	s_and_not1_b32 vcc_lo, exec_lo, s28
	s_cbranch_vccnz .LBB6_1047
; %bb.1040:
	s_wait_loadcnt 0x0
	s_delay_alu instid0(VALU_DEP_1) | instskip(SKIP_3) | instid1(SALU_CYCLE_1)
	v_mul_f64_e32 v[2:3], v[0:1], v[4:5]
	v_cmp_lt_f64_e32 vcc_lo, 0, v[0:1]
	v_mul_lo_u32 v4, v18, s8
	s_and_b32 s27, s11, 0xff
	s_cmp_lt_i32 s27, 11
	s_delay_alu instid0(VALU_DEP_1) | instskip(NEXT) | instid1(VALU_DEP_1)
	v_dual_ashrrev_i32 v5, 31, v4 :: v_dual_cndmask_b32 v1, v3, v1, vcc_lo
	v_add_nc_u64_e32 v[4:5], s[4:5], v[4:5]
	v_cndmask_b32_e32 v0, v2, v0, vcc_lo
	s_cbranch_scc1 .LBB6_1048
; %bb.1041:
	s_and_b32 s28, 0xffff, s27
	s_delay_alu instid0(SALU_CYCLE_1)
	s_cmp_gt_i32 s28, 25
	s_cbranch_scc0 .LBB6_1049
; %bb.1042:
	s_cmp_gt_i32 s28, 28
	s_cbranch_scc0 .LBB6_1050
; %bb.1043:
	;; [unrolled: 3-line block ×4, first 2 shown]
	s_mov_b32 s30, 0
	s_mov_b32 s0, -1
	s_cmp_eq_u32 s28, 46
	s_mov_b32 s29, 0
	s_cbranch_scc0 .LBB6_1053
; %bb.1046:
	v_cvt_f32_f64_e32 v2, v[0:1]
	s_mov_b32 s29, -1
	s_mov_b32 s0, 0
	s_delay_alu instid0(VALU_DEP_1) | instskip(SKIP_1) | instid1(VALU_DEP_2)
	v_bfe_u32 v3, v2, 16, 1
	v_cmp_o_f32_e32 vcc_lo, v2, v2
	v_add3_u32 v3, v2, v3, 0x7fff
	s_delay_alu instid0(VALU_DEP_1) | instskip(NEXT) | instid1(VALU_DEP_1)
	v_lshrrev_b32_e32 v3, 16, v3
	v_cndmask_b32_e32 v2, 0x7fc0, v3, vcc_lo
	global_store_b32 v[4:5], v2, off
	s_branch .LBB6_1053
.LBB6_1047:
	s_mov_b32 s28, 0
	s_mov_b32 s0, s21
	s_branch .LBB6_1164
.LBB6_1048:
	s_mov_b32 s28, -1
	s_mov_b32 s29, 0
	s_mov_b32 s0, s21
	s_branch .LBB6_1122
.LBB6_1049:
	s_mov_b32 s30, -1
	s_mov_b32 s29, 0
	s_mov_b32 s0, s21
	s_branch .LBB6_1080
.LBB6_1050:
	s_mov_b32 s30, -1
	s_mov_b32 s29, 0
	s_mov_b32 s0, s21
	s_branch .LBB6_1063
.LBB6_1051:
	s_mov_b32 s30, -1
	s_mov_b32 s29, 0
	s_mov_b32 s0, s21
	s_branch .LBB6_1059
.LBB6_1052:
	s_mov_b32 s30, -1
	s_mov_b32 s29, 0
	s_mov_b32 s0, s21
.LBB6_1053:
	s_and_b32 vcc_lo, exec_lo, s30
	s_cbranch_vccz .LBB6_1058
; %bb.1054:
	s_cmp_eq_u32 s28, 44
	s_mov_b32 s0, -1
	s_cbranch_scc0 .LBB6_1058
; %bb.1055:
	s_wait_xcnt 0x0
	v_cvt_f32_f64_e32 v2, v[0:1]
	v_mov_b32_e32 v3, 0xff
	s_mov_b32 s29, exec_lo
	s_delay_alu instid0(VALU_DEP_2) | instskip(NEXT) | instid1(VALU_DEP_1)
	v_bfe_u32 v6, v2, 23, 8
	v_cmpx_ne_u32_e32 0xff, v6
	s_cbranch_execz .LBB6_1057
; %bb.1056:
	v_and_b32_e32 v3, 0x400000, v2
	v_and_or_b32 v6, 0x3fffff, v2, v6
	v_lshrrev_b32_e32 v2, 23, v2
	s_delay_alu instid0(VALU_DEP_3) | instskip(NEXT) | instid1(VALU_DEP_3)
	v_cmp_ne_u32_e32 vcc_lo, 0, v3
	v_cmp_ne_u32_e64 s0, 0, v6
	s_and_b32 s0, vcc_lo, s0
	s_delay_alu instid0(SALU_CYCLE_1) | instskip(NEXT) | instid1(VALU_DEP_1)
	v_cndmask_b32_e64 v3, 0, 1, s0
	v_add_nc_u32_e32 v3, v2, v3
.LBB6_1057:
	s_or_b32 exec_lo, exec_lo, s29
	s_mov_b32 s29, -1
	s_mov_b32 s0, 0
	global_store_b8 v[4:5], v3, off
.LBB6_1058:
	s_mov_b32 s30, 0
.LBB6_1059:
	s_delay_alu instid0(SALU_CYCLE_1)
	s_and_b32 vcc_lo, exec_lo, s30
	s_cbranch_vccz .LBB6_1062
; %bb.1060:
	s_cmp_eq_u32 s28, 29
	s_mov_b32 s0, -1
	s_cbranch_scc0 .LBB6_1062
; %bb.1061:
	s_wait_xcnt 0x0
	v_trunc_f64_e32 v[2:3], v[0:1]
	s_mov_b32 s29, -1
	s_mov_b32 s0, 0
	s_mov_b32 s30, 0
	s_delay_alu instid0(VALU_DEP_1) | instskip(NEXT) | instid1(VALU_DEP_1)
	v_ldexp_f64 v[6:7], v[2:3], 0xffffffe0
	v_floor_f64_e32 v[6:7], v[6:7]
	s_delay_alu instid0(VALU_DEP_1) | instskip(SKIP_1) | instid1(VALU_DEP_2)
	v_fmamk_f64 v[2:3], v[6:7], 0xc1f00000, v[2:3]
	v_cvt_u32_f64_e32 v7, v[6:7]
	v_cvt_u32_f64_e32 v6, v[2:3]
	global_store_b64 v[4:5], v[6:7], off
	s_branch .LBB6_1063
.LBB6_1062:
	s_mov_b32 s30, 0
.LBB6_1063:
	s_delay_alu instid0(SALU_CYCLE_1)
	s_and_b32 vcc_lo, exec_lo, s30
	s_cbranch_vccz .LBB6_1079
; %bb.1064:
	s_cmp_lt_i32 s28, 27
	s_mov_b32 s29, -1
	s_cbranch_scc1 .LBB6_1070
; %bb.1065:
	s_wait_xcnt 0x0
	v_cvt_u32_f64_e32 v2, v[0:1]
	s_cmp_gt_i32 s28, 27
	s_cbranch_scc0 .LBB6_1067
; %bb.1066:
	s_mov_b32 s29, 0
	global_store_b32 v[4:5], v2, off
.LBB6_1067:
	s_and_not1_b32 vcc_lo, exec_lo, s29
	s_cbranch_vccnz .LBB6_1069
; %bb.1068:
	global_store_b16 v[4:5], v2, off
.LBB6_1069:
	s_mov_b32 s29, 0
.LBB6_1070:
	s_delay_alu instid0(SALU_CYCLE_1)
	s_and_not1_b32 vcc_lo, exec_lo, s29
	s_cbranch_vccnz .LBB6_1078
; %bb.1071:
	s_wait_xcnt 0x0
	v_cvt_f32_f64_e32 v2, v[0:1]
	v_mov_b32_e32 v6, 0x80
	s_mov_b32 s29, exec_lo
	s_delay_alu instid0(VALU_DEP_2) | instskip(NEXT) | instid1(VALU_DEP_1)
	v_and_b32_e32 v3, 0x7fffffff, v2
	v_cmpx_gt_u32_e32 0x43800000, v3
	s_cbranch_execz .LBB6_1077
; %bb.1072:
	v_cmp_lt_u32_e32 vcc_lo, 0x3bffffff, v3
	s_mov_b32 s30, 0
                                        ; implicit-def: $vgpr3
	s_and_saveexec_b32 s31, vcc_lo
	s_delay_alu instid0(SALU_CYCLE_1)
	s_xor_b32 s31, exec_lo, s31
	s_cbranch_execz .LBB6_1180
; %bb.1073:
	v_bfe_u32 v3, v2, 20, 1
	s_mov_b32 s30, exec_lo
	s_delay_alu instid0(VALU_DEP_1) | instskip(NEXT) | instid1(VALU_DEP_1)
	v_add3_u32 v3, v2, v3, 0x487ffff
	v_lshrrev_b32_e32 v3, 20, v3
	s_and_not1_saveexec_b32 s31, s31
	s_cbranch_execnz .LBB6_1181
.LBB6_1074:
	s_or_b32 exec_lo, exec_lo, s31
	v_mov_b32_e32 v6, 0
	s_and_saveexec_b32 s31, s30
.LBB6_1075:
	v_lshrrev_b32_e32 v2, 24, v2
	s_delay_alu instid0(VALU_DEP_1)
	v_and_or_b32 v6, 0x80, v2, v3
.LBB6_1076:
	s_or_b32 exec_lo, exec_lo, s31
.LBB6_1077:
	s_delay_alu instid0(SALU_CYCLE_1)
	s_or_b32 exec_lo, exec_lo, s29
	global_store_b8 v[4:5], v6, off
.LBB6_1078:
	s_mov_b32 s29, -1
.LBB6_1079:
	s_mov_b32 s30, 0
.LBB6_1080:
	s_delay_alu instid0(SALU_CYCLE_1)
	s_and_b32 vcc_lo, exec_lo, s30
	s_cbranch_vccz .LBB6_1121
; %bb.1081:
	s_cmp_gt_i32 s28, 22
	s_mov_b32 s30, -1
	s_cbranch_scc0 .LBB6_1113
; %bb.1082:
	s_cmp_lt_i32 s28, 24
	s_mov_b32 s29, -1
	s_cbranch_scc1 .LBB6_1102
; %bb.1083:
	s_cmp_gt_i32 s28, 24
	s_cbranch_scc0 .LBB6_1091
; %bb.1084:
	s_wait_xcnt 0x0
	v_cvt_f32_f64_e32 v2, v[0:1]
	v_mov_b32_e32 v6, 0x80
	s_mov_b32 s29, exec_lo
	s_delay_alu instid0(VALU_DEP_2) | instskip(NEXT) | instid1(VALU_DEP_1)
	v_and_b32_e32 v3, 0x7fffffff, v2
	v_cmpx_gt_u32_e32 0x47800000, v3
	s_cbranch_execz .LBB6_1090
; %bb.1085:
	v_cmp_lt_u32_e32 vcc_lo, 0x37ffffff, v3
	s_mov_b32 s30, 0
                                        ; implicit-def: $vgpr3
	s_and_saveexec_b32 s31, vcc_lo
	s_delay_alu instid0(SALU_CYCLE_1)
	s_xor_b32 s31, exec_lo, s31
	s_cbranch_execz .LBB6_2208
; %bb.1086:
	v_bfe_u32 v3, v2, 21, 1
	s_mov_b32 s30, exec_lo
	s_delay_alu instid0(VALU_DEP_1) | instskip(NEXT) | instid1(VALU_DEP_1)
	v_add3_u32 v3, v2, v3, 0x88fffff
	v_lshrrev_b32_e32 v3, 21, v3
	s_and_not1_saveexec_b32 s31, s31
	s_cbranch_execnz .LBB6_2209
.LBB6_1087:
	s_or_b32 exec_lo, exec_lo, s31
	v_mov_b32_e32 v6, 0
	s_and_saveexec_b32 s31, s30
.LBB6_1088:
	v_lshrrev_b32_e32 v2, 24, v2
	s_delay_alu instid0(VALU_DEP_1)
	v_and_or_b32 v6, 0x80, v2, v3
.LBB6_1089:
	s_or_b32 exec_lo, exec_lo, s31
.LBB6_1090:
	s_delay_alu instid0(SALU_CYCLE_1)
	s_or_b32 exec_lo, exec_lo, s29
	s_mov_b32 s29, 0
	global_store_b8 v[4:5], v6, off
.LBB6_1091:
	s_and_b32 vcc_lo, exec_lo, s29
	s_cbranch_vccz .LBB6_1101
; %bb.1092:
	s_wait_xcnt 0x0
	v_cvt_f32_f64_e32 v2, v[0:1]
	s_mov_b32 s29, exec_lo
                                        ; implicit-def: $vgpr3
	s_delay_alu instid0(VALU_DEP_1) | instskip(NEXT) | instid1(VALU_DEP_1)
	v_and_b32_e32 v6, 0x7fffffff, v2
	v_cmpx_gt_u32_e32 0x43f00000, v6
	s_xor_b32 s29, exec_lo, s29
	s_cbranch_execz .LBB6_1098
; %bb.1093:
	s_mov_b32 s30, exec_lo
                                        ; implicit-def: $vgpr3
	v_cmpx_lt_u32_e32 0x3c7fffff, v6
	s_xor_b32 s30, exec_lo, s30
; %bb.1094:
	v_bfe_u32 v3, v2, 20, 1
	s_delay_alu instid0(VALU_DEP_1) | instskip(NEXT) | instid1(VALU_DEP_1)
	v_add3_u32 v3, v2, v3, 0x407ffff
	v_and_b32_e32 v6, 0xff00000, v3
	v_lshrrev_b32_e32 v3, 20, v3
	s_delay_alu instid0(VALU_DEP_2) | instskip(NEXT) | instid1(VALU_DEP_2)
	v_cmp_ne_u32_e32 vcc_lo, 0x7f00000, v6
	v_cndmask_b32_e32 v3, 0x7e, v3, vcc_lo
; %bb.1095:
	s_and_not1_saveexec_b32 s30, s30
; %bb.1096:
	v_add_f32_e64 v3, 0x46800000, |v2|
; %bb.1097:
	s_or_b32 exec_lo, exec_lo, s30
                                        ; implicit-def: $vgpr6
.LBB6_1098:
	s_and_not1_saveexec_b32 s29, s29
; %bb.1099:
	v_mov_b32_e32 v3, 0x7f
	v_cmp_lt_u32_e32 vcc_lo, 0x7f800000, v6
	s_delay_alu instid0(VALU_DEP_2)
	v_cndmask_b32_e32 v3, 0x7e, v3, vcc_lo
; %bb.1100:
	s_or_b32 exec_lo, exec_lo, s29
	v_lshrrev_b32_e32 v2, 24, v2
	s_delay_alu instid0(VALU_DEP_1)
	v_and_or_b32 v2, 0x80, v2, v3
	global_store_b8 v[4:5], v2, off
.LBB6_1101:
	s_mov_b32 s29, 0
.LBB6_1102:
	s_delay_alu instid0(SALU_CYCLE_1)
	s_and_not1_b32 vcc_lo, exec_lo, s29
	s_cbranch_vccnz .LBB6_1112
; %bb.1103:
	s_wait_xcnt 0x0
	v_cvt_f32_f64_e32 v2, v[0:1]
	s_mov_b32 s29, exec_lo
                                        ; implicit-def: $vgpr3
	s_delay_alu instid0(VALU_DEP_1) | instskip(NEXT) | instid1(VALU_DEP_1)
	v_and_b32_e32 v6, 0x7fffffff, v2
	v_cmpx_gt_u32_e32 0x47800000, v6
	s_xor_b32 s29, exec_lo, s29
	s_cbranch_execz .LBB6_1109
; %bb.1104:
	s_mov_b32 s30, exec_lo
                                        ; implicit-def: $vgpr3
	v_cmpx_lt_u32_e32 0x387fffff, v6
	s_xor_b32 s30, exec_lo, s30
; %bb.1105:
	v_bfe_u32 v3, v2, 21, 1
	s_delay_alu instid0(VALU_DEP_1) | instskip(NEXT) | instid1(VALU_DEP_1)
	v_add3_u32 v3, v2, v3, 0x80fffff
	v_lshrrev_b32_e32 v3, 21, v3
; %bb.1106:
	s_and_not1_saveexec_b32 s30, s30
; %bb.1107:
	v_add_f32_e64 v3, 0x43000000, |v2|
; %bb.1108:
	s_or_b32 exec_lo, exec_lo, s30
                                        ; implicit-def: $vgpr6
.LBB6_1109:
	s_and_not1_saveexec_b32 s29, s29
; %bb.1110:
	v_mov_b32_e32 v3, 0x7f
	v_cmp_lt_u32_e32 vcc_lo, 0x7f800000, v6
	s_delay_alu instid0(VALU_DEP_2)
	v_cndmask_b32_e32 v3, 0x7c, v3, vcc_lo
; %bb.1111:
	s_or_b32 exec_lo, exec_lo, s29
	v_lshrrev_b32_e32 v2, 24, v2
	s_delay_alu instid0(VALU_DEP_1)
	v_and_or_b32 v2, 0x80, v2, v3
	global_store_b8 v[4:5], v2, off
.LBB6_1112:
	s_mov_b32 s30, 0
	s_mov_b32 s29, -1
.LBB6_1113:
	s_and_not1_b32 vcc_lo, exec_lo, s30
	s_cbranch_vccnz .LBB6_1121
; %bb.1114:
	s_cmp_gt_i32 s28, 14
	s_mov_b32 s30, -1
	s_cbranch_scc0 .LBB6_1118
; %bb.1115:
	s_cmp_eq_u32 s28, 15
	s_mov_b32 s0, -1
	s_cbranch_scc0 .LBB6_1117
; %bb.1116:
	s_wait_xcnt 0x0
	v_cvt_f32_f64_e32 v2, v[0:1]
	s_mov_b32 s29, -1
	s_mov_b32 s0, 0
	s_delay_alu instid0(VALU_DEP_1) | instskip(SKIP_1) | instid1(VALU_DEP_2)
	v_bfe_u32 v3, v2, 16, 1
	v_cmp_o_f32_e32 vcc_lo, v2, v2
	v_add3_u32 v3, v2, v3, 0x7fff
	s_delay_alu instid0(VALU_DEP_1) | instskip(NEXT) | instid1(VALU_DEP_1)
	v_lshrrev_b32_e32 v3, 16, v3
	v_cndmask_b32_e32 v2, 0x7fc0, v3, vcc_lo
	global_store_b16 v[4:5], v2, off
.LBB6_1117:
	s_mov_b32 s30, 0
.LBB6_1118:
	s_delay_alu instid0(SALU_CYCLE_1)
	s_and_b32 vcc_lo, exec_lo, s30
	s_cbranch_vccz .LBB6_1121
; %bb.1119:
	s_cmp_eq_u32 s28, 11
	s_mov_b32 s0, -1
	s_cbranch_scc0 .LBB6_1121
; %bb.1120:
	v_cmp_neq_f64_e32 vcc_lo, 0, v[0:1]
	s_mov_b32 s29, -1
	s_mov_b32 s0, 0
	s_wait_xcnt 0x0
	v_cndmask_b32_e64 v2, 0, 1, vcc_lo
	global_store_b8 v[4:5], v2, off
.LBB6_1121:
	s_mov_b32 s28, 0
.LBB6_1122:
	s_delay_alu instid0(SALU_CYCLE_1)
	s_and_b32 vcc_lo, exec_lo, s28
	s_cbranch_vccz .LBB6_1161
; %bb.1123:
	s_and_b32 s27, 0xffff, s27
	s_mov_b32 s28, -1
	s_cmp_lt_i32 s27, 5
	s_cbranch_scc1 .LBB6_1144
; %bb.1124:
	s_cmp_lt_i32 s27, 8
	s_cbranch_scc1 .LBB6_1134
; %bb.1125:
	;; [unrolled: 3-line block ×3, first 2 shown]
	s_cmp_gt_i32 s27, 9
	s_cbranch_scc0 .LBB6_1128
; %bb.1127:
	s_wait_xcnt 0x0
	v_mov_b32_e32 v2, 0
	s_mov_b32 s28, 0
	s_delay_alu instid0(VALU_DEP_1)
	v_mov_b32_e32 v3, v2
	global_store_b128 v[4:5], v[0:3], off
.LBB6_1128:
	s_and_not1_b32 vcc_lo, exec_lo, s28
	s_cbranch_vccnz .LBB6_1130
; %bb.1129:
	s_wait_xcnt 0x0
	v_cvt_f32_f64_e32 v2, v[0:1]
	v_mov_b32_e32 v3, 0
	global_store_b64 v[4:5], v[2:3], off
.LBB6_1130:
	s_mov_b32 s28, 0
.LBB6_1131:
	s_delay_alu instid0(SALU_CYCLE_1)
	s_and_not1_b32 vcc_lo, exec_lo, s28
	s_cbranch_vccnz .LBB6_1133
; %bb.1132:
	s_wait_xcnt 0x0
	v_and_or_b32 v2, 0x1ff, v1, v0
	v_lshrrev_b32_e32 v3, 8, v1
	v_bfe_u32 v6, v1, 20, 11
	s_delay_alu instid0(VALU_DEP_3) | instskip(NEXT) | instid1(VALU_DEP_2)
	v_cmp_ne_u32_e32 vcc_lo, 0, v2
	v_sub_nc_u32_e32 v7, 0x3f1, v6
	v_cndmask_b32_e64 v2, 0, 1, vcc_lo
	s_delay_alu instid0(VALU_DEP_1) | instskip(NEXT) | instid1(VALU_DEP_3)
	v_and_or_b32 v2, 0xffe, v3, v2
	v_med3_i32 v3, v7, 0, 13
	s_delay_alu instid0(VALU_DEP_2) | instskip(NEXT) | instid1(VALU_DEP_1)
	v_or_b32_e32 v7, 0x1000, v2
	v_lshrrev_b32_e32 v8, v3, v7
	s_delay_alu instid0(VALU_DEP_1) | instskip(NEXT) | instid1(VALU_DEP_1)
	v_lshlrev_b32_e32 v3, v3, v8
	v_cmp_ne_u32_e32 vcc_lo, v3, v7
	v_cndmask_b32_e64 v3, 0, 1, vcc_lo
	s_delay_alu instid0(VALU_DEP_1) | instskip(SKIP_1) | instid1(VALU_DEP_1)
	v_or_b32_e32 v3, v8, v3
	v_add_nc_u32_e32 v6, 0xfffffc10, v6
	v_lshl_or_b32 v7, v6, 12, v2
	v_cmp_gt_i32_e32 vcc_lo, 1, v6
	s_delay_alu instid0(VALU_DEP_2) | instskip(NEXT) | instid1(VALU_DEP_1)
	v_cndmask_b32_e32 v3, v7, v3, vcc_lo
	v_dual_lshrrev_b32 v3, 2, v3 :: v_dual_bitop2_b32 v7, 7, v3 bitop3:0x40
	s_delay_alu instid0(VALU_DEP_1) | instskip(SKIP_4) | instid1(VALU_DEP_2)
	v_cmp_lt_i32_e32 vcc_lo, 5, v7
	v_cndmask_b32_e64 v8, 0, 1, vcc_lo
	v_cmp_eq_u32_e32 vcc_lo, 3, v7
	v_cndmask_b32_e64 v7, 0, 1, vcc_lo
	v_cmp_ne_u32_e32 vcc_lo, 0, v2
	v_or_b32_e32 v7, v7, v8
	s_delay_alu instid0(VALU_DEP_1) | instskip(NEXT) | instid1(VALU_DEP_1)
	v_dual_mov_b32 v8, 0x7e00 :: v_dual_add_nc_u32 v3, v3, v7
	v_cndmask_b32_e32 v2, 0x7c00, v8, vcc_lo
	v_cmp_gt_i32_e32 vcc_lo, 31, v6
	v_lshrrev_b32_e32 v7, 16, v1
	s_delay_alu instid0(VALU_DEP_4) | instskip(SKIP_1) | instid1(VALU_DEP_2)
	v_cndmask_b32_e32 v3, 0x7c00, v3, vcc_lo
	v_cmp_eq_u32_e32 vcc_lo, 0x40f, v6
	v_cndmask_b32_e32 v2, v3, v2, vcc_lo
	s_delay_alu instid0(VALU_DEP_4) | instskip(NEXT) | instid1(VALU_DEP_1)
	v_and_b32_e32 v3, 0x8000, v7
	v_bitop3_b32 v2, v3, 0xffff, v2 bitop3:0xc8
	global_store_b32 v[4:5], v2, off
.LBB6_1133:
	s_mov_b32 s28, 0
.LBB6_1134:
	s_delay_alu instid0(SALU_CYCLE_1)
	s_and_not1_b32 vcc_lo, exec_lo, s28
	s_cbranch_vccnz .LBB6_1143
; %bb.1135:
	s_cmp_lt_i32 s27, 6
	s_mov_b32 s28, -1
	s_cbranch_scc1 .LBB6_1141
; %bb.1136:
	s_cmp_gt_i32 s27, 6
	s_cbranch_scc0 .LBB6_1138
; %bb.1137:
	s_mov_b32 s28, 0
	global_store_b64 v[4:5], v[0:1], off
.LBB6_1138:
	s_and_not1_b32 vcc_lo, exec_lo, s28
	s_cbranch_vccnz .LBB6_1140
; %bb.1139:
	s_wait_xcnt 0x0
	v_cvt_f32_f64_e32 v2, v[0:1]
	global_store_b32 v[4:5], v2, off
.LBB6_1140:
	s_mov_b32 s28, 0
.LBB6_1141:
	s_delay_alu instid0(SALU_CYCLE_1)
	s_and_not1_b32 vcc_lo, exec_lo, s28
	s_cbranch_vccnz .LBB6_1143
; %bb.1142:
	s_wait_xcnt 0x0
	v_and_or_b32 v2, 0x1ff, v1, v0
	v_lshrrev_b32_e32 v3, 8, v1
	v_bfe_u32 v6, v1, 20, 11
	s_delay_alu instid0(VALU_DEP_3) | instskip(NEXT) | instid1(VALU_DEP_2)
	v_cmp_ne_u32_e32 vcc_lo, 0, v2
	v_sub_nc_u32_e32 v7, 0x3f1, v6
	v_cndmask_b32_e64 v2, 0, 1, vcc_lo
	s_delay_alu instid0(VALU_DEP_1) | instskip(NEXT) | instid1(VALU_DEP_3)
	v_and_or_b32 v2, 0xffe, v3, v2
	v_med3_i32 v3, v7, 0, 13
	s_delay_alu instid0(VALU_DEP_2) | instskip(NEXT) | instid1(VALU_DEP_1)
	v_or_b32_e32 v7, 0x1000, v2
	v_lshrrev_b32_e32 v8, v3, v7
	s_delay_alu instid0(VALU_DEP_1) | instskip(NEXT) | instid1(VALU_DEP_1)
	v_lshlrev_b32_e32 v3, v3, v8
	v_cmp_ne_u32_e32 vcc_lo, v3, v7
	v_cndmask_b32_e64 v3, 0, 1, vcc_lo
	s_delay_alu instid0(VALU_DEP_1) | instskip(SKIP_1) | instid1(VALU_DEP_1)
	v_or_b32_e32 v3, v8, v3
	v_add_nc_u32_e32 v6, 0xfffffc10, v6
	v_lshl_or_b32 v7, v6, 12, v2
	v_cmp_gt_i32_e32 vcc_lo, 1, v6
	s_delay_alu instid0(VALU_DEP_2) | instskip(NEXT) | instid1(VALU_DEP_1)
	v_cndmask_b32_e32 v3, v7, v3, vcc_lo
	v_dual_lshrrev_b32 v3, 2, v3 :: v_dual_bitop2_b32 v7, 7, v3 bitop3:0x40
	s_delay_alu instid0(VALU_DEP_1) | instskip(SKIP_4) | instid1(VALU_DEP_2)
	v_cmp_lt_i32_e32 vcc_lo, 5, v7
	v_cndmask_b32_e64 v8, 0, 1, vcc_lo
	v_cmp_eq_u32_e32 vcc_lo, 3, v7
	v_cndmask_b32_e64 v7, 0, 1, vcc_lo
	v_cmp_ne_u32_e32 vcc_lo, 0, v2
	v_or_b32_e32 v7, v7, v8
	s_delay_alu instid0(VALU_DEP_1) | instskip(NEXT) | instid1(VALU_DEP_1)
	v_dual_mov_b32 v8, 0x7e00 :: v_dual_add_nc_u32 v3, v3, v7
	v_cndmask_b32_e32 v2, 0x7c00, v8, vcc_lo
	v_cmp_gt_i32_e32 vcc_lo, 31, v6
	s_delay_alu instid0(VALU_DEP_3) | instskip(SKIP_1) | instid1(VALU_DEP_2)
	v_cndmask_b32_e32 v3, 0x7c00, v3, vcc_lo
	v_cmp_eq_u32_e32 vcc_lo, 0x40f, v6
	v_dual_cndmask_b32 v2, v3, v2 :: v_dual_lshrrev_b32 v3, 16, v1
	s_delay_alu instid0(VALU_DEP_1)
	v_and_or_b32 v2, 0x8000, v3, v2
	global_store_b16 v[4:5], v2, off
.LBB6_1143:
	s_mov_b32 s28, 0
.LBB6_1144:
	s_delay_alu instid0(SALU_CYCLE_1)
	s_and_not1_b32 vcc_lo, exec_lo, s28
	s_cbranch_vccnz .LBB6_1160
; %bb.1145:
	s_cmp_lt_i32 s27, 2
	s_mov_b32 s28, -1
	s_cbranch_scc1 .LBB6_1155
; %bb.1146:
	s_cmp_lt_i32 s27, 3
	s_cbranch_scc1 .LBB6_1152
; %bb.1147:
	s_cmp_gt_i32 s27, 3
	s_cbranch_scc0 .LBB6_1149
; %bb.1148:
	s_wait_xcnt 0x0
	v_trunc_f64_e32 v[2:3], v[0:1]
	s_mov_b32 s28, 0
	s_delay_alu instid0(VALU_DEP_1) | instskip(NEXT) | instid1(VALU_DEP_1)
	v_ldexp_f64 v[6:7], v[2:3], 0xffffffe0
	v_floor_f64_e32 v[6:7], v[6:7]
	s_delay_alu instid0(VALU_DEP_1) | instskip(SKIP_1) | instid1(VALU_DEP_2)
	v_fmamk_f64 v[2:3], v[6:7], 0xc1f00000, v[2:3]
	v_cvt_i32_f64_e32 v7, v[6:7]
	v_cvt_u32_f64_e32 v6, v[2:3]
	global_store_b64 v[4:5], v[6:7], off
.LBB6_1149:
	s_and_not1_b32 vcc_lo, exec_lo, s28
	s_cbranch_vccnz .LBB6_1151
; %bb.1150:
	s_wait_xcnt 0x0
	v_cvt_i32_f64_e32 v2, v[0:1]
	global_store_b32 v[4:5], v2, off
.LBB6_1151:
	s_mov_b32 s28, 0
.LBB6_1152:
	s_delay_alu instid0(SALU_CYCLE_1)
	s_and_not1_b32 vcc_lo, exec_lo, s28
	s_cbranch_vccnz .LBB6_1154
; %bb.1153:
	s_wait_xcnt 0x0
	v_cvt_i32_f64_e32 v2, v[0:1]
	global_store_b16 v[4:5], v2, off
.LBB6_1154:
	s_mov_b32 s28, 0
.LBB6_1155:
	s_delay_alu instid0(SALU_CYCLE_1)
	s_and_not1_b32 vcc_lo, exec_lo, s28
	s_cbranch_vccnz .LBB6_1160
; %bb.1156:
	s_cmp_gt_i32 s27, 0
	s_mov_b32 s27, -1
	s_cbranch_scc0 .LBB6_1158
; %bb.1157:
	s_wait_xcnt 0x0
	v_cvt_i32_f64_e32 v2, v[0:1]
	s_mov_b32 s27, 0
	global_store_b8 v[4:5], v2, off
.LBB6_1158:
	s_and_not1_b32 vcc_lo, exec_lo, s27
	s_cbranch_vccnz .LBB6_1160
; %bb.1159:
	s_wait_xcnt 0x0
	v_trunc_f64_e32 v[0:1], v[0:1]
	s_delay_alu instid0(VALU_DEP_1) | instskip(NEXT) | instid1(VALU_DEP_1)
	v_ldexp_f64 v[2:3], v[0:1], 0xffffffe0
	v_floor_f64_e32 v[2:3], v[2:3]
	s_delay_alu instid0(VALU_DEP_1) | instskip(NEXT) | instid1(VALU_DEP_1)
	v_fmamk_f64 v[0:1], v[2:3], 0xc1f00000, v[0:1]
	v_cvt_u32_f64_e32 v0, v[0:1]
	global_store_b8 v[4:5], v0, off
.LBB6_1160:
	s_mov_b32 s29, -1
.LBB6_1161:
	s_delay_alu instid0(SALU_CYCLE_1)
	s_and_not1_b32 vcc_lo, exec_lo, s29
	s_cbranch_vccnz .LBB6_1163
; %bb.1162:
	v_add_nc_u32_e32 v18, 0x80, v18
	s_mov_b32 s28, -1
	s_branch .LBB6_1165
.LBB6_1163:
	s_mov_b32 s28, 0
.LBB6_1164:
                                        ; implicit-def: $vgpr18
.LBB6_1165:
	s_and_not1_b32 s27, s21, exec_lo
	s_and_b32 s0, s0, exec_lo
	s_and_b32 s26, s26, exec_lo
	s_or_b32 s27, s27, s0
	s_and_not1_b32 s0, s22, exec_lo
	s_and_not1_b32 s29, s20, exec_lo
	s_and_b32 s25, s25, exec_lo
	s_or_b32 s26, s0, s26
	s_or_b32 s25, s29, s25
	s_or_not1_b32 s31, s28, exec_lo
.LBB6_1166:
	s_wait_xcnt 0x0
	s_or_b32 exec_lo, exec_lo, s24
	s_mov_b32 s28, 0
	s_mov_b32 s29, 0
	;; [unrolled: 1-line block ×3, first 2 shown]
                                        ; implicit-def: $sgpr0
                                        ; implicit-def: $vgpr0_vgpr1
                                        ; implicit-def: $vgpr2_vgpr3
	s_and_saveexec_b32 s24, s31
	s_cbranch_execz .LBB6_1249
; %bb.1167:
	v_cmp_gt_i32_e32 vcc_lo, s16, v18
	s_mov_b32 s33, s25
	s_mov_b32 s31, 0
	;; [unrolled: 1-line block ×3, first 2 shown]
                                        ; implicit-def: $sgpr0
                                        ; implicit-def: $vgpr0_vgpr1
                                        ; implicit-def: $vgpr2_vgpr3
	s_and_saveexec_b32 s16, vcc_lo
	s_cbranch_execz .LBB6_1248
; %bb.1168:
	s_wait_loadcnt 0x0
	v_mul_lo_u32 v0, v18, s9
	s_and_b32 s0, s13, 0xff
	s_delay_alu instid0(SALU_CYCLE_1) | instskip(NEXT) | instid1(VALU_DEP_1)
	s_cmp_lt_i32 s0, 11
	v_ashrrev_i32_e32 v1, 31, v0
	s_delay_alu instid0(VALU_DEP_1)
	v_add_nc_u64_e32 v[0:1], s[6:7], v[0:1]
	s_cbranch_scc1 .LBB6_1175
; %bb.1169:
	s_and_b32 s28, 0xffff, s0
	s_delay_alu instid0(SALU_CYCLE_1)
	s_cmp_gt_i32 s28, 25
	s_cbranch_scc0 .LBB6_1176
; %bb.1170:
	s_cmp_gt_i32 s28, 28
	s_cbranch_scc0 .LBB6_1177
; %bb.1171:
	;; [unrolled: 3-line block ×4, first 2 shown]
	s_cmp_eq_u32 s28, 46
	s_mov_b32 s33, 0
	s_cbranch_scc0 .LBB6_1182
; %bb.1174:
	global_load_b32 v2, v[0:1], off
	s_mov_b32 s31, -1
	s_wait_loadcnt 0x0
	v_lshlrev_b32_e32 v2, 16, v2
	s_delay_alu instid0(VALU_DEP_1)
	v_cvt_f64_f32_e32 v[2:3], v2
	s_branch .LBB6_1184
.LBB6_1175:
	s_mov_b32 s28, -1
	s_mov_b32 s29, s25
                                        ; implicit-def: $vgpr2_vgpr3
	s_branch .LBB6_1247
.LBB6_1176:
	s_mov_b32 s33, -1
	s_mov_b32 s29, s25
                                        ; implicit-def: $vgpr2_vgpr3
	s_branch .LBB6_1213
.LBB6_1177:
	s_mov_b32 s33, -1
	s_mov_b32 s29, s25
                                        ; implicit-def: $vgpr2_vgpr3
	s_branch .LBB6_1194
.LBB6_1178:
	s_mov_b32 s33, -1
	s_mov_b32 s29, s25
                                        ; implicit-def: $vgpr2_vgpr3
	s_branch .LBB6_1189
.LBB6_1179:
	s_mov_b32 s33, -1
	s_mov_b32 s29, s25
	s_branch .LBB6_1183
.LBB6_1180:
	s_and_not1_saveexec_b32 s31, s31
	s_cbranch_execz .LBB6_1074
.LBB6_1181:
	v_add_f32_e64 v3, 0x46000000, |v2|
	s_and_not1_b32 s30, s30, exec_lo
	s_delay_alu instid0(VALU_DEP_1) | instskip(NEXT) | instid1(VALU_DEP_1)
	v_and_b32_e32 v3, 0xff, v3
	v_cmp_ne_u32_e32 vcc_lo, 0, v3
	s_and_b32 s33, vcc_lo, exec_lo
	s_delay_alu instid0(SALU_CYCLE_1)
	s_or_b32 s30, s30, s33
	s_or_b32 exec_lo, exec_lo, s31
	v_mov_b32_e32 v6, 0
	s_and_saveexec_b32 s31, s30
	s_cbranch_execnz .LBB6_1075
	s_branch .LBB6_1076
.LBB6_1182:
	s_mov_b32 s29, -1
.LBB6_1183:
                                        ; implicit-def: $vgpr2_vgpr3
.LBB6_1184:
	s_and_b32 vcc_lo, exec_lo, s33
	s_cbranch_vccz .LBB6_1188
; %bb.1185:
	s_cmp_eq_u32 s28, 44
	s_cbranch_scc0 .LBB6_1187
; %bb.1186:
	global_load_u8 v4, v[0:1], off
	s_mov_b32 s29, 0
	s_mov_b32 s31, -1
	s_wait_loadcnt 0x0
	v_cmp_ne_u32_e32 vcc_lo, 0xff, v4
	v_lshlrev_b32_e32 v2, 23, v4
	s_delay_alu instid0(VALU_DEP_1) | instskip(NEXT) | instid1(VALU_DEP_1)
	v_cvt_f64_f32_e32 v[2:3], v2
	v_cndmask_b32_e32 v2, 0x20000000, v2, vcc_lo
	s_delay_alu instid0(VALU_DEP_2) | instskip(SKIP_1) | instid1(VALU_DEP_2)
	v_cndmask_b32_e32 v3, 0x7ff80000, v3, vcc_lo
	v_cmp_ne_u32_e32 vcc_lo, 0, v4
	v_cndmask_b32_e32 v3, 0x38000000, v3, vcc_lo
	s_delay_alu instid0(VALU_DEP_4)
	v_cndmask_b32_e32 v2, 0, v2, vcc_lo
	s_branch .LBB6_1188
.LBB6_1187:
	s_mov_b32 s29, -1
                                        ; implicit-def: $vgpr2_vgpr3
.LBB6_1188:
	s_mov_b32 s33, 0
.LBB6_1189:
	s_delay_alu instid0(SALU_CYCLE_1)
	s_and_b32 vcc_lo, exec_lo, s33
	s_cbranch_vccz .LBB6_1193
; %bb.1190:
	s_cmp_eq_u32 s28, 29
	s_cbranch_scc0 .LBB6_1192
; %bb.1191:
	global_load_b64 v[2:3], v[0:1], off
	s_mov_b32 s29, 0
	s_mov_b32 s31, -1
	s_mov_b32 s33, 0
	s_wait_loadcnt 0x0
	v_cvt_f64_u32_e32 v[4:5], v3
	v_cvt_f64_u32_e32 v[2:3], v2
	s_delay_alu instid0(VALU_DEP_2) | instskip(NEXT) | instid1(VALU_DEP_1)
	v_ldexp_f64 v[4:5], v[4:5], 32
	v_add_f64_e32 v[2:3], v[4:5], v[2:3]
	s_branch .LBB6_1194
.LBB6_1192:
	s_mov_b32 s29, -1
                                        ; implicit-def: $vgpr2_vgpr3
.LBB6_1193:
	s_mov_b32 s33, 0
.LBB6_1194:
	s_delay_alu instid0(SALU_CYCLE_1)
	s_and_b32 vcc_lo, exec_lo, s33
	s_cbranch_vccz .LBB6_1212
; %bb.1195:
	s_cmp_lt_i32 s28, 27
	s_cbranch_scc1 .LBB6_1198
; %bb.1196:
	s_cmp_gt_i32 s28, 27
	s_cbranch_scc0 .LBB6_1199
; %bb.1197:
	global_load_b32 v2, v[0:1], off
	s_mov_b32 s31, 0
	s_wait_loadcnt 0x0
	v_cvt_f64_u32_e32 v[2:3], v2
	s_branch .LBB6_1200
.LBB6_1198:
	s_mov_b32 s31, -1
                                        ; implicit-def: $vgpr2_vgpr3
	s_branch .LBB6_1203
.LBB6_1199:
	s_mov_b32 s31, -1
                                        ; implicit-def: $vgpr2_vgpr3
.LBB6_1200:
	s_delay_alu instid0(SALU_CYCLE_1)
	s_and_not1_b32 vcc_lo, exec_lo, s31
	s_cbranch_vccnz .LBB6_1202
; %bb.1201:
	global_load_u16 v2, v[0:1], off
	s_wait_loadcnt 0x0
	v_cvt_f64_u32_e32 v[2:3], v2
.LBB6_1202:
	s_mov_b32 s31, 0
.LBB6_1203:
	s_delay_alu instid0(SALU_CYCLE_1)
	s_and_not1_b32 vcc_lo, exec_lo, s31
	s_cbranch_vccnz .LBB6_1211
; %bb.1204:
	global_load_u8 v4, v[0:1], off
	s_mov_b32 s31, 0
	s_mov_b32 s33, exec_lo
	s_wait_loadcnt 0x0
	v_cmpx_lt_i16_e32 0x7f, v4
	s_xor_b32 s33, exec_lo, s33
	s_cbranch_execz .LBB6_1225
; %bb.1205:
	s_mov_b32 s31, -1
	s_mov_b32 s34, exec_lo
	v_cmpx_eq_u16_e32 0x80, v4
; %bb.1206:
	s_xor_b32 s31, exec_lo, -1
; %bb.1207:
	s_or_b32 exec_lo, exec_lo, s34
	s_delay_alu instid0(SALU_CYCLE_1)
	s_and_b32 s31, s31, exec_lo
	s_or_saveexec_b32 s33, s33
	v_mov_b64_e32 v[2:3], 0x7ff8000020000000
	s_xor_b32 exec_lo, exec_lo, s33
	s_cbranch_execnz .LBB6_1226
.LBB6_1208:
	s_or_b32 exec_lo, exec_lo, s33
	s_and_saveexec_b32 s33, s31
	s_cbranch_execz .LBB6_1210
.LBB6_1209:
	v_and_b32_e32 v2, 0xffff, v4
	s_delay_alu instid0(VALU_DEP_1) | instskip(SKIP_1) | instid1(VALU_DEP_2)
	v_and_b32_e32 v3, 7, v2
	v_bfe_u32 v7, v2, 3, 4
	v_clz_i32_u32_e32 v5, v3
	s_delay_alu instid0(VALU_DEP_2) | instskip(NEXT) | instid1(VALU_DEP_2)
	v_cmp_eq_u32_e32 vcc_lo, 0, v7
	v_min_u32_e32 v5, 32, v5
	s_delay_alu instid0(VALU_DEP_1) | instskip(NEXT) | instid1(VALU_DEP_1)
	v_subrev_nc_u32_e32 v6, 28, v5
	v_dual_lshlrev_b32 v2, v6, v2 :: v_dual_sub_nc_u32 v5, 29, v5
	s_delay_alu instid0(VALU_DEP_1) | instskip(NEXT) | instid1(VALU_DEP_2)
	v_dual_lshlrev_b32 v4, 24, v4 :: v_dual_bitop2_b32 v2, 7, v2 bitop3:0x40
	v_cndmask_b32_e32 v5, v7, v5, vcc_lo
	s_delay_alu instid0(VALU_DEP_2) | instskip(NEXT) | instid1(VALU_DEP_3)
	v_cndmask_b32_e32 v2, v3, v2, vcc_lo
	v_and_b32_e32 v3, 0x80000000, v4
	s_delay_alu instid0(VALU_DEP_3) | instskip(NEXT) | instid1(VALU_DEP_3)
	v_lshl_add_u32 v4, v5, 23, 0x3b800000
	v_lshlrev_b32_e32 v2, 20, v2
	s_delay_alu instid0(VALU_DEP_1) | instskip(NEXT) | instid1(VALU_DEP_1)
	v_or3_b32 v2, v3, v4, v2
	v_cvt_f64_f32_e32 v[2:3], v2
.LBB6_1210:
	s_or_b32 exec_lo, exec_lo, s33
.LBB6_1211:
	s_mov_b32 s31, -1
.LBB6_1212:
	s_mov_b32 s33, 0
.LBB6_1213:
	s_delay_alu instid0(SALU_CYCLE_1)
	s_and_b32 vcc_lo, exec_lo, s33
	s_cbranch_vccz .LBB6_1246
; %bb.1214:
	s_cmp_gt_i32 s28, 22
	s_cbranch_scc0 .LBB6_1224
; %bb.1215:
	s_cmp_lt_i32 s28, 24
	s_cbranch_scc1 .LBB6_1227
; %bb.1216:
	s_cmp_gt_i32 s28, 24
	s_cbranch_scc0 .LBB6_1228
; %bb.1217:
	global_load_u8 v4, v[0:1], off
	s_mov_b32 s31, exec_lo
	s_wait_loadcnt 0x0
	v_cmpx_lt_i16_e32 0x7f, v4
	s_xor_b32 s31, exec_lo, s31
	s_cbranch_execz .LBB6_1240
; %bb.1218:
	s_mov_b32 s30, -1
	s_mov_b32 s33, exec_lo
	v_cmpx_eq_u16_e32 0x80, v4
; %bb.1219:
	s_xor_b32 s30, exec_lo, -1
; %bb.1220:
	s_or_b32 exec_lo, exec_lo, s33
	s_delay_alu instid0(SALU_CYCLE_1)
	s_and_b32 s30, s30, exec_lo
	s_or_saveexec_b32 s31, s31
	v_mov_b64_e32 v[2:3], 0x7ff8000020000000
	s_xor_b32 exec_lo, exec_lo, s31
	s_cbranch_execnz .LBB6_1241
.LBB6_1221:
	s_or_b32 exec_lo, exec_lo, s31
	s_and_saveexec_b32 s31, s30
	s_cbranch_execz .LBB6_1223
.LBB6_1222:
	v_and_b32_e32 v2, 0xffff, v4
	s_delay_alu instid0(VALU_DEP_1) | instskip(SKIP_1) | instid1(VALU_DEP_2)
	v_and_b32_e32 v3, 3, v2
	v_bfe_u32 v7, v2, 2, 5
	v_clz_i32_u32_e32 v5, v3
	s_delay_alu instid0(VALU_DEP_2) | instskip(NEXT) | instid1(VALU_DEP_2)
	v_cmp_eq_u32_e32 vcc_lo, 0, v7
	v_min_u32_e32 v5, 32, v5
	s_delay_alu instid0(VALU_DEP_1) | instskip(NEXT) | instid1(VALU_DEP_1)
	v_subrev_nc_u32_e32 v6, 29, v5
	v_dual_lshlrev_b32 v2, v6, v2 :: v_dual_sub_nc_u32 v5, 30, v5
	s_delay_alu instid0(VALU_DEP_1) | instskip(NEXT) | instid1(VALU_DEP_2)
	v_dual_lshlrev_b32 v4, 24, v4 :: v_dual_bitop2_b32 v2, 3, v2 bitop3:0x40
	v_cndmask_b32_e32 v5, v7, v5, vcc_lo
	s_delay_alu instid0(VALU_DEP_2) | instskip(NEXT) | instid1(VALU_DEP_3)
	v_cndmask_b32_e32 v2, v3, v2, vcc_lo
	v_and_b32_e32 v3, 0x80000000, v4
	s_delay_alu instid0(VALU_DEP_3) | instskip(NEXT) | instid1(VALU_DEP_3)
	v_lshl_add_u32 v4, v5, 23, 0x37800000
	v_lshlrev_b32_e32 v2, 21, v2
	s_delay_alu instid0(VALU_DEP_1) | instskip(NEXT) | instid1(VALU_DEP_1)
	v_or3_b32 v2, v3, v4, v2
	v_cvt_f64_f32_e32 v[2:3], v2
.LBB6_1223:
	s_or_b32 exec_lo, exec_lo, s31
	s_mov_b32 s30, 0
	s_branch .LBB6_1229
.LBB6_1224:
	s_mov_b32 s30, -1
                                        ; implicit-def: $vgpr2_vgpr3
	s_branch .LBB6_1235
.LBB6_1225:
	s_or_saveexec_b32 s33, s33
	v_mov_b64_e32 v[2:3], 0x7ff8000020000000
	s_xor_b32 exec_lo, exec_lo, s33
	s_cbranch_execz .LBB6_1208
.LBB6_1226:
	v_cmp_ne_u16_e32 vcc_lo, 0, v4
	v_mov_b64_e32 v[2:3], 0
	s_and_not1_b32 s31, s31, exec_lo
	s_and_b32 s34, vcc_lo, exec_lo
	s_delay_alu instid0(SALU_CYCLE_1)
	s_or_b32 s31, s31, s34
	s_or_b32 exec_lo, exec_lo, s33
	s_and_saveexec_b32 s33, s31
	s_cbranch_execnz .LBB6_1209
	s_branch .LBB6_1210
.LBB6_1227:
	s_mov_b32 s30, -1
                                        ; implicit-def: $vgpr2_vgpr3
	s_branch .LBB6_1232
.LBB6_1228:
	s_mov_b32 s30, -1
                                        ; implicit-def: $vgpr2_vgpr3
.LBB6_1229:
	s_delay_alu instid0(SALU_CYCLE_1)
	s_and_b32 vcc_lo, exec_lo, s30
	s_cbranch_vccz .LBB6_1231
; %bb.1230:
	global_load_u8 v2, v[0:1], off
	s_wait_loadcnt 0x0
	v_lshlrev_b32_e32 v2, 24, v2
	s_delay_alu instid0(VALU_DEP_1) | instskip(NEXT) | instid1(VALU_DEP_1)
	v_and_b32_e32 v3, 0x7f000000, v2
	v_clz_i32_u32_e32 v4, v3
	v_cmp_ne_u32_e32 vcc_lo, 0, v3
	v_add_nc_u32_e32 v6, 0x1000000, v3
	s_delay_alu instid0(VALU_DEP_3) | instskip(NEXT) | instid1(VALU_DEP_1)
	v_min_u32_e32 v4, 32, v4
	v_sub_nc_u32_e64 v4, v4, 4 clamp
	s_delay_alu instid0(VALU_DEP_1) | instskip(NEXT) | instid1(VALU_DEP_1)
	v_dual_lshlrev_b32 v5, v4, v3 :: v_dual_lshlrev_b32 v4, 23, v4
	v_lshrrev_b32_e32 v5, 4, v5
	s_delay_alu instid0(VALU_DEP_1) | instskip(NEXT) | instid1(VALU_DEP_1)
	v_dual_sub_nc_u32 v4, v5, v4 :: v_dual_ashrrev_i32 v5, 8, v6
	v_add_nc_u32_e32 v4, 0x3c000000, v4
	s_delay_alu instid0(VALU_DEP_1) | instskip(NEXT) | instid1(VALU_DEP_1)
	v_and_or_b32 v4, 0x7f800000, v5, v4
	v_cndmask_b32_e32 v3, 0, v4, vcc_lo
	s_delay_alu instid0(VALU_DEP_1) | instskip(NEXT) | instid1(VALU_DEP_1)
	v_and_or_b32 v2, 0x80000000, v2, v3
	v_cvt_f64_f32_e32 v[2:3], v2
.LBB6_1231:
	s_mov_b32 s30, 0
.LBB6_1232:
	s_delay_alu instid0(SALU_CYCLE_1)
	s_and_not1_b32 vcc_lo, exec_lo, s30
	s_cbranch_vccnz .LBB6_1234
; %bb.1233:
	global_load_u8 v2, v[0:1], off
	s_wait_loadcnt 0x0
	v_lshlrev_b32_e32 v3, 25, v2
	v_lshlrev_b16 v2, 8, v2
	s_delay_alu instid0(VALU_DEP_1) | instskip(SKIP_1) | instid1(VALU_DEP_2)
	v_and_or_b32 v5, 0x7f00, v2, 0.5
	v_bfe_i32 v2, v2, 0, 16
	v_dual_add_f32 v5, -0.5, v5 :: v_dual_lshrrev_b32 v4, 4, v3
	v_cmp_gt_u32_e32 vcc_lo, 0x8000000, v3
	s_delay_alu instid0(VALU_DEP_2) | instskip(NEXT) | instid1(VALU_DEP_1)
	v_or_b32_e32 v4, 0x70000000, v4
	v_mul_f32_e32 v4, 0x7800000, v4
	s_delay_alu instid0(VALU_DEP_1) | instskip(NEXT) | instid1(VALU_DEP_1)
	v_cndmask_b32_e32 v3, v4, v5, vcc_lo
	v_and_or_b32 v2, 0x80000000, v2, v3
	s_delay_alu instid0(VALU_DEP_1)
	v_cvt_f64_f32_e32 v[2:3], v2
.LBB6_1234:
	s_mov_b32 s30, 0
	s_mov_b32 s31, -1
.LBB6_1235:
	s_and_not1_b32 vcc_lo, exec_lo, s30
	s_mov_b32 s30, 0
	s_cbranch_vccnz .LBB6_1246
; %bb.1236:
	s_cmp_gt_i32 s28, 14
	s_cbranch_scc0 .LBB6_1239
; %bb.1237:
	s_cmp_eq_u32 s28, 15
	s_cbranch_scc0 .LBB6_1242
; %bb.1238:
	global_load_u16 v2, v[0:1], off
	s_mov_b32 s29, 0
	s_mov_b32 s31, -1
	s_wait_loadcnt 0x0
	v_lshlrev_b32_e32 v2, 16, v2
	s_delay_alu instid0(VALU_DEP_1)
	v_cvt_f64_f32_e32 v[2:3], v2
	s_branch .LBB6_1244
.LBB6_1239:
	s_mov_b32 s30, -1
	s_branch .LBB6_1243
.LBB6_1240:
	s_or_saveexec_b32 s31, s31
	v_mov_b64_e32 v[2:3], 0x7ff8000020000000
	s_xor_b32 exec_lo, exec_lo, s31
	s_cbranch_execz .LBB6_1221
.LBB6_1241:
	v_cmp_ne_u16_e32 vcc_lo, 0, v4
	v_mov_b64_e32 v[2:3], 0
	s_and_not1_b32 s30, s30, exec_lo
	s_and_b32 s33, vcc_lo, exec_lo
	s_delay_alu instid0(SALU_CYCLE_1)
	s_or_b32 s30, s30, s33
	s_or_b32 exec_lo, exec_lo, s31
	s_and_saveexec_b32 s31, s30
	s_cbranch_execnz .LBB6_1222
	s_branch .LBB6_1223
.LBB6_1242:
	s_mov_b32 s29, -1
.LBB6_1243:
                                        ; implicit-def: $vgpr2_vgpr3
.LBB6_1244:
	s_and_b32 vcc_lo, exec_lo, s30
	s_mov_b32 s30, 0
	s_cbranch_vccz .LBB6_1246
; %bb.1245:
	s_cmp_lg_u32 s28, 11
	s_mov_b32 s30, -1
	s_cselect_b32 s28, -1, 0
	s_and_not1_b32 s29, s29, exec_lo
	s_and_b32 s28, s28, exec_lo
	s_delay_alu instid0(SALU_CYCLE_1)
	s_or_b32 s29, s29, s28
.LBB6_1246:
	s_mov_b32 s28, 0
.LBB6_1247:
	s_and_not1_b32 s33, s25, exec_lo
	s_and_b32 s29, s29, exec_lo
	s_and_b32 s34, s31, exec_lo
	s_and_b32 s31, s28, exec_lo
	s_and_b32 s28, s30, exec_lo
	s_or_b32 s33, s33, s29
.LBB6_1248:
	s_wait_xcnt 0x0
	s_or_b32 exec_lo, exec_lo, s16
	s_delay_alu instid0(SALU_CYCLE_1)
	s_and_not1_b32 s16, s25, exec_lo
	s_and_b32 s25, s33, exec_lo
	s_and_b32 s30, s34, exec_lo
	;; [unrolled: 1-line block ×4, first 2 shown]
	s_or_b32 s25, s16, s25
.LBB6_1249:
	s_or_b32 exec_lo, exec_lo, s24
	s_delay_alu instid0(SALU_CYCLE_1)
	s_and_not1_b32 s16, s21, exec_lo
	s_and_b32 s21, s27, exec_lo
	s_and_not1_b32 s22, s22, exec_lo
	s_and_b32 s24, s26, exec_lo
	s_or_b32 s21, s16, s21
	s_and_not1_b32 s16, s20, exec_lo
	s_and_b32 s20, s25, exec_lo
	s_or_b32 s22, s22, s24
	s_and_b32 s27, s30, exec_lo
	s_and_b32 s26, s29, exec_lo
	s_and_b32 s24, s28, exec_lo
	s_or_b32 s20, s16, s20
.LBB6_1250:
	s_or_b32 exec_lo, exec_lo, s23
	s_delay_alu instid0(SALU_CYCLE_1)
	s_and_not1_b32 s15, s15, exec_lo
	s_and_b32 s16, s21, exec_lo
	s_and_not1_b32 s17, s17, exec_lo
	s_and_b32 s21, s22, exec_lo
	s_or_b32 s15, s15, s16
	s_and_not1_b32 s16, s18, exec_lo
	s_and_b32 s18, s20, exec_lo
	s_or_b32 s17, s17, s21
	s_and_b32 s21, s27, exec_lo
	s_and_b32 s22, s26, exec_lo
	;; [unrolled: 1-line block ×3, first 2 shown]
	s_or_b32 s18, s16, s18
	s_or_b32 exec_lo, exec_lo, s19
	s_mov_b32 s16, 0
	s_and_saveexec_b32 s19, s18
	s_cbranch_execz .LBB6_392
.LBB6_1251:
	s_mov_b32 s16, exec_lo
	s_and_not1_b32 s20, s20, exec_lo
	s_trap 2
	s_or_b32 exec_lo, exec_lo, s19
	s_and_saveexec_b32 s18, s20
	s_delay_alu instid0(SALU_CYCLE_1)
	s_xor_b32 s18, exec_lo, s18
	s_cbranch_execnz .LBB6_393
.LBB6_1252:
	s_or_b32 exec_lo, exec_lo, s18
	s_and_saveexec_b32 s18, s22
	s_cbranch_execz .LBB6_1298
.LBB6_1253:
	s_sext_i32_i16 s19, s0
	s_delay_alu instid0(SALU_CYCLE_1)
	s_cmp_lt_i32 s19, 5
	s_cbranch_scc1 .LBB6_1258
; %bb.1254:
	s_cmp_lt_i32 s19, 8
	s_cbranch_scc1 .LBB6_1259
; %bb.1255:
	;; [unrolled: 3-line block ×3, first 2 shown]
	s_cmp_gt_i32 s19, 9
	s_cbranch_scc0 .LBB6_1261
; %bb.1257:
	s_wait_loadcnt 0x0
	global_load_b64 v[2:3], v[0:1], off
	s_mov_b32 s19, 0
	s_branch .LBB6_1262
.LBB6_1258:
                                        ; implicit-def: $vgpr2_vgpr3
	s_branch .LBB6_1279
.LBB6_1259:
                                        ; implicit-def: $vgpr2_vgpr3
	s_branch .LBB6_1268
.LBB6_1260:
	s_mov_b32 s19, -1
                                        ; implicit-def: $vgpr2_vgpr3
	s_branch .LBB6_1265
.LBB6_1261:
	s_mov_b32 s19, -1
                                        ; implicit-def: $vgpr2_vgpr3
.LBB6_1262:
	s_delay_alu instid0(SALU_CYCLE_1)
	s_and_not1_b32 vcc_lo, exec_lo, s19
	s_cbranch_vccnz .LBB6_1264
; %bb.1263:
	s_wait_loadcnt 0x0
	global_load_b32 v2, v[0:1], off
	s_wait_loadcnt 0x0
	v_cvt_f64_f32_e32 v[2:3], v2
.LBB6_1264:
	s_mov_b32 s19, 0
.LBB6_1265:
	s_delay_alu instid0(SALU_CYCLE_1)
	s_and_not1_b32 vcc_lo, exec_lo, s19
	s_cbranch_vccnz .LBB6_1267
; %bb.1266:
	s_wait_loadcnt 0x0
	global_load_b32 v2, v[0:1], off
	s_wait_loadcnt 0x0
	v_cvt_f32_f16_e32 v2, v2
	s_delay_alu instid0(VALU_DEP_1)
	v_cvt_f64_f32_e32 v[2:3], v2
.LBB6_1267:
	s_cbranch_execnz .LBB6_1278
.LBB6_1268:
	s_sext_i32_i16 s19, s0
	s_delay_alu instid0(SALU_CYCLE_1)
	s_cmp_lt_i32 s19, 6
	s_cbranch_scc1 .LBB6_1271
; %bb.1269:
	s_cmp_gt_i32 s19, 6
	s_cbranch_scc0 .LBB6_1272
; %bb.1270:
	s_wait_loadcnt 0x0
	global_load_b64 v[2:3], v[0:1], off
	s_mov_b32 s19, 0
	s_branch .LBB6_1273
.LBB6_1271:
	s_mov_b32 s19, -1
                                        ; implicit-def: $vgpr2_vgpr3
	s_branch .LBB6_1276
.LBB6_1272:
	s_mov_b32 s19, -1
                                        ; implicit-def: $vgpr2_vgpr3
.LBB6_1273:
	s_delay_alu instid0(SALU_CYCLE_1)
	s_and_not1_b32 vcc_lo, exec_lo, s19
	s_cbranch_vccnz .LBB6_1275
; %bb.1274:
	s_wait_loadcnt 0x0
	global_load_b32 v2, v[0:1], off
	s_wait_loadcnt 0x0
	v_cvt_f64_f32_e32 v[2:3], v2
.LBB6_1275:
	s_mov_b32 s19, 0
.LBB6_1276:
	s_delay_alu instid0(SALU_CYCLE_1)
	s_and_not1_b32 vcc_lo, exec_lo, s19
	s_cbranch_vccnz .LBB6_1278
; %bb.1277:
	s_wait_loadcnt 0x0
	global_load_u16 v2, v[0:1], off
	s_wait_loadcnt 0x0
	v_cvt_f32_f16_e32 v2, v2
	s_delay_alu instid0(VALU_DEP_1)
	v_cvt_f64_f32_e32 v[2:3], v2
.LBB6_1278:
	s_cbranch_execnz .LBB6_1297
.LBB6_1279:
	s_sext_i32_i16 s19, s0
	s_delay_alu instid0(SALU_CYCLE_1)
	s_cmp_lt_i32 s19, 2
	s_cbranch_scc1 .LBB6_1283
; %bb.1280:
	s_cmp_lt_i32 s19, 3
	s_cbranch_scc1 .LBB6_1284
; %bb.1281:
	s_cmp_gt_i32 s19, 3
	s_cbranch_scc0 .LBB6_1285
; %bb.1282:
	s_wait_loadcnt 0x0
	global_load_b64 v[2:3], v[0:1], off
	s_mov_b32 s19, 0
	s_wait_loadcnt 0x0
	v_cvt_f64_i32_e32 v[4:5], v3
	v_cvt_f64_u32_e32 v[2:3], v2
	s_delay_alu instid0(VALU_DEP_2) | instskip(NEXT) | instid1(VALU_DEP_1)
	v_ldexp_f64 v[4:5], v[4:5], 32
	v_add_f64_e32 v[2:3], v[4:5], v[2:3]
	s_branch .LBB6_1286
.LBB6_1283:
                                        ; implicit-def: $vgpr2_vgpr3
	s_branch .LBB6_1292
.LBB6_1284:
	s_mov_b32 s19, -1
                                        ; implicit-def: $vgpr2_vgpr3
	s_branch .LBB6_1289
.LBB6_1285:
	s_mov_b32 s19, -1
                                        ; implicit-def: $vgpr2_vgpr3
.LBB6_1286:
	s_delay_alu instid0(SALU_CYCLE_1)
	s_and_not1_b32 vcc_lo, exec_lo, s19
	s_cbranch_vccnz .LBB6_1288
; %bb.1287:
	s_wait_loadcnt 0x0
	global_load_b32 v2, v[0:1], off
	s_wait_loadcnt 0x0
	v_cvt_f64_i32_e32 v[2:3], v2
.LBB6_1288:
	s_mov_b32 s19, 0
.LBB6_1289:
	s_delay_alu instid0(SALU_CYCLE_1)
	s_and_not1_b32 vcc_lo, exec_lo, s19
	s_cbranch_vccnz .LBB6_1291
; %bb.1290:
	s_wait_loadcnt 0x0
	global_load_i16 v2, v[0:1], off
	s_wait_loadcnt 0x0
	v_cvt_f64_i32_e32 v[2:3], v2
.LBB6_1291:
	s_cbranch_execnz .LBB6_1297
.LBB6_1292:
	s_sext_i32_i16 s0, s0
	s_delay_alu instid0(SALU_CYCLE_1)
	s_cmp_gt_i32 s0, 0
	s_mov_b32 s0, 0
	s_cbranch_scc0 .LBB6_1294
; %bb.1293:
	s_wait_loadcnt 0x0
	global_load_i8 v2, v[0:1], off
	s_wait_loadcnt 0x0
	v_cvt_f64_i32_e32 v[2:3], v2
	s_branch .LBB6_1295
.LBB6_1294:
	s_mov_b32 s0, -1
                                        ; implicit-def: $vgpr2_vgpr3
.LBB6_1295:
	s_delay_alu instid0(SALU_CYCLE_1)
	s_and_not1_b32 vcc_lo, exec_lo, s0
	s_cbranch_vccnz .LBB6_1297
; %bb.1296:
	s_wait_loadcnt 0x0
	global_load_u8 v0, v[0:1], off
	s_wait_loadcnt 0x0
	v_cvt_f64_u32_e32 v[2:3], v0
.LBB6_1297:
	s_or_b32 s21, s21, exec_lo
.LBB6_1298:
	s_wait_xcnt 0x0
	s_or_b32 exec_lo, exec_lo, s18
	s_mov_b32 s20, 0
	s_mov_b32 s22, 0
	;; [unrolled: 1-line block ×3, first 2 shown]
                                        ; implicit-def: $sgpr0
                                        ; implicit-def: $vgpr0_vgpr1
                                        ; implicit-def: $vgpr6_vgpr7
	s_and_saveexec_b32 s18, s21
	s_cbranch_execz .LBB6_1306
; %bb.1299:
	s_wait_loadcnt 0x0
	v_mul_lo_u32 v0, v18, s10
	s_and_b32 s0, s1, 0xff
	s_delay_alu instid0(SALU_CYCLE_1) | instskip(NEXT) | instid1(VALU_DEP_1)
	s_cmp_lt_i32 s0, 11
	v_ashrrev_i32_e32 v1, 31, v0
	s_delay_alu instid0(VALU_DEP_1)
	v_add_nc_u64_e32 v[0:1], s[2:3], v[0:1]
	s_cbranch_scc1 .LBB6_1309
; %bb.1300:
	s_and_b32 s19, 0xffff, s0
	s_mov_b32 s21, 0
	s_cmp_gt_i32 s19, 25
	s_cbranch_scc0 .LBB6_1310
; %bb.1301:
	s_cmp_gt_i32 s19, 28
	s_cbranch_scc0 .LBB6_1311
; %bb.1302:
	;; [unrolled: 3-line block ×4, first 2 shown]
	s_cmp_eq_u32 s19, 46
	s_mov_b32 s23, 0
	s_cbranch_scc0 .LBB6_1314
; %bb.1305:
	global_load_b32 v4, v[0:1], off
	s_mov_b32 s22, -1
	s_wait_loadcnt 0x0
	v_lshlrev_b32_e32 v4, 16, v4
	s_delay_alu instid0(VALU_DEP_1)
	v_cvt_f64_f32_e32 v[6:7], v4
	s_branch .LBB6_1316
.LBB6_1306:
	s_or_b32 exec_lo, exec_lo, s18
	s_and_saveexec_b32 s18, s17
	s_cbranch_execnz .LBB6_1379
.LBB6_1307:
	s_or_b32 exec_lo, exec_lo, s18
	s_and_saveexec_b32 s17, s20
	s_delay_alu instid0(SALU_CYCLE_1)
	s_xor_b32 s17, exec_lo, s17
	s_cbranch_execz .LBB6_1380
.LBB6_1308:
	s_wait_loadcnt 0x0
	global_load_u8 v4, v[0:1], off
	v_mov_b32_e32 v6, 0
	s_or_b32 s19, s19, exec_lo
	s_wait_loadcnt 0x0
	v_cmp_ne_u16_e32 vcc_lo, 0, v4
	v_cndmask_b32_e64 v7, 0, 0x3ff00000, vcc_lo
	s_wait_xcnt 0x0
	s_or_b32 exec_lo, exec_lo, s17
	s_and_saveexec_b32 s17, s22
	s_cbranch_execz .LBB6_1426
	s_branch .LBB6_1381
.LBB6_1309:
	s_mov_b32 s23, -1
	s_mov_b32 s21, 0
	s_mov_b32 s20, s17
                                        ; implicit-def: $vgpr6_vgpr7
	s_branch .LBB6_1378
.LBB6_1310:
	s_mov_b32 s20, s17
                                        ; implicit-def: $vgpr6_vgpr7
	s_cbranch_execnz .LBB6_1345
	s_branch .LBB6_1377
.LBB6_1311:
	s_mov_b32 s23, -1
	s_mov_b32 s20, s17
                                        ; implicit-def: $vgpr6_vgpr7
	s_branch .LBB6_1326
.LBB6_1312:
	s_mov_b32 s23, -1
	s_mov_b32 s20, s17
                                        ; implicit-def: $vgpr6_vgpr7
	s_branch .LBB6_1321
.LBB6_1313:
	s_mov_b32 s23, -1
	s_mov_b32 s20, s17
	s_branch .LBB6_1315
.LBB6_1314:
	s_mov_b32 s20, -1
.LBB6_1315:
                                        ; implicit-def: $vgpr6_vgpr7
.LBB6_1316:
	s_and_b32 vcc_lo, exec_lo, s23
	s_cbranch_vccz .LBB6_1320
; %bb.1317:
	s_cmp_eq_u32 s19, 44
	s_cbranch_scc0 .LBB6_1319
; %bb.1318:
	global_load_u8 v6, v[0:1], off
	s_mov_b32 s20, 0
	s_mov_b32 s22, -1
	s_wait_loadcnt 0x0
	v_cmp_ne_u32_e32 vcc_lo, 0xff, v6
	v_lshlrev_b32_e32 v4, 23, v6
	s_delay_alu instid0(VALU_DEP_1) | instskip(NEXT) | instid1(VALU_DEP_1)
	v_cvt_f64_f32_e32 v[4:5], v4
	v_cndmask_b32_e32 v4, 0x20000000, v4, vcc_lo
	s_delay_alu instid0(VALU_DEP_2) | instskip(SKIP_1) | instid1(VALU_DEP_2)
	v_cndmask_b32_e32 v5, 0x7ff80000, v5, vcc_lo
	v_cmp_ne_u32_e32 vcc_lo, 0, v6
	v_cndmask_b32_e32 v7, 0x38000000, v5, vcc_lo
	s_delay_alu instid0(VALU_DEP_4)
	v_cndmask_b32_e32 v6, 0, v4, vcc_lo
	s_branch .LBB6_1320
.LBB6_1319:
	s_mov_b32 s20, -1
                                        ; implicit-def: $vgpr6_vgpr7
.LBB6_1320:
	s_mov_b32 s23, 0
.LBB6_1321:
	s_delay_alu instid0(SALU_CYCLE_1)
	s_and_b32 vcc_lo, exec_lo, s23
	s_cbranch_vccz .LBB6_1325
; %bb.1322:
	s_cmp_eq_u32 s19, 29
	s_cbranch_scc0 .LBB6_1324
; %bb.1323:
	global_load_b64 v[4:5], v[0:1], off
	s_mov_b32 s20, 0
	s_mov_b32 s22, -1
	s_mov_b32 s23, 0
	s_wait_loadcnt 0x0
	v_cvt_f64_u32_e32 v[6:7], v5
	v_cvt_f64_u32_e32 v[4:5], v4
	s_delay_alu instid0(VALU_DEP_2) | instskip(NEXT) | instid1(VALU_DEP_1)
	v_ldexp_f64 v[6:7], v[6:7], 32
	v_add_f64_e32 v[6:7], v[6:7], v[4:5]
	s_branch .LBB6_1326
.LBB6_1324:
	s_mov_b32 s20, -1
                                        ; implicit-def: $vgpr6_vgpr7
.LBB6_1325:
	s_mov_b32 s23, 0
.LBB6_1326:
	s_delay_alu instid0(SALU_CYCLE_1)
	s_and_b32 vcc_lo, exec_lo, s23
	s_cbranch_vccz .LBB6_1344
; %bb.1327:
	s_cmp_lt_i32 s19, 27
	s_cbranch_scc1 .LBB6_1330
; %bb.1328:
	s_cmp_gt_i32 s19, 27
	s_cbranch_scc0 .LBB6_1331
; %bb.1329:
	global_load_b32 v4, v[0:1], off
	s_mov_b32 s22, 0
	s_wait_loadcnt 0x0
	v_cvt_f64_u32_e32 v[6:7], v4
	s_branch .LBB6_1332
.LBB6_1330:
	s_mov_b32 s22, -1
                                        ; implicit-def: $vgpr6_vgpr7
	s_branch .LBB6_1335
.LBB6_1331:
	s_mov_b32 s22, -1
                                        ; implicit-def: $vgpr6_vgpr7
.LBB6_1332:
	s_delay_alu instid0(SALU_CYCLE_1)
	s_and_not1_b32 vcc_lo, exec_lo, s22
	s_cbranch_vccnz .LBB6_1334
; %bb.1333:
	global_load_u16 v4, v[0:1], off
	s_wait_loadcnt 0x0
	v_cvt_f64_u32_e32 v[6:7], v4
.LBB6_1334:
	s_mov_b32 s22, 0
.LBB6_1335:
	s_delay_alu instid0(SALU_CYCLE_1)
	s_and_not1_b32 vcc_lo, exec_lo, s22
	s_cbranch_vccnz .LBB6_1343
; %bb.1336:
	global_load_u8 v4, v[0:1], off
	s_mov_b32 s22, 0
	s_mov_b32 s23, exec_lo
	s_wait_loadcnt 0x0
	v_cmpx_lt_i16_e32 0x7f, v4
	s_xor_b32 s23, exec_lo, s23
	s_cbranch_execz .LBB6_1356
; %bb.1337:
	s_mov_b32 s22, -1
	s_mov_b32 s24, exec_lo
	v_cmpx_eq_u16_e32 0x80, v4
; %bb.1338:
	s_xor_b32 s22, exec_lo, -1
; %bb.1339:
	s_or_b32 exec_lo, exec_lo, s24
	s_delay_alu instid0(SALU_CYCLE_1)
	s_and_b32 s22, s22, exec_lo
	s_or_saveexec_b32 s23, s23
	v_mov_b64_e32 v[6:7], 0x7ff8000020000000
	s_xor_b32 exec_lo, exec_lo, s23
	s_cbranch_execnz .LBB6_1357
.LBB6_1340:
	s_or_b32 exec_lo, exec_lo, s23
	s_and_saveexec_b32 s23, s22
	s_cbranch_execz .LBB6_1342
.LBB6_1341:
	v_and_b32_e32 v5, 0xffff, v4
	s_delay_alu instid0(VALU_DEP_1) | instskip(SKIP_1) | instid1(VALU_DEP_2)
	v_and_b32_e32 v6, 7, v5
	v_bfe_u32 v9, v5, 3, 4
	v_clz_i32_u32_e32 v7, v6
	s_delay_alu instid0(VALU_DEP_2) | instskip(NEXT) | instid1(VALU_DEP_2)
	v_cmp_eq_u32_e32 vcc_lo, 0, v9
	v_min_u32_e32 v7, 32, v7
	s_delay_alu instid0(VALU_DEP_1) | instskip(NEXT) | instid1(VALU_DEP_1)
	v_subrev_nc_u32_e32 v8, 28, v7
	v_dual_lshlrev_b32 v5, v8, v5 :: v_dual_sub_nc_u32 v7, 29, v7
	s_delay_alu instid0(VALU_DEP_1) | instskip(NEXT) | instid1(VALU_DEP_1)
	v_dual_lshlrev_b32 v4, 24, v4 :: v_dual_bitop2_b32 v5, 7, v5 bitop3:0x40
	v_dual_cndmask_b32 v7, v9, v7, vcc_lo :: v_dual_cndmask_b32 v5, v6, v5, vcc_lo
	s_delay_alu instid0(VALU_DEP_2) | instskip(NEXT) | instid1(VALU_DEP_2)
	v_and_b32_e32 v4, 0x80000000, v4
	v_lshl_add_u32 v6, v7, 23, 0x3b800000
	s_delay_alu instid0(VALU_DEP_3) | instskip(NEXT) | instid1(VALU_DEP_1)
	v_lshlrev_b32_e32 v5, 20, v5
	v_or3_b32 v4, v4, v6, v5
	s_delay_alu instid0(VALU_DEP_1)
	v_cvt_f64_f32_e32 v[6:7], v4
.LBB6_1342:
	s_or_b32 exec_lo, exec_lo, s23
.LBB6_1343:
	s_mov_b32 s22, -1
.LBB6_1344:
	s_branch .LBB6_1377
.LBB6_1345:
	s_cmp_gt_i32 s19, 22
	s_cbranch_scc0 .LBB6_1355
; %bb.1346:
	s_cmp_lt_i32 s19, 24
	s_cbranch_scc1 .LBB6_1358
; %bb.1347:
	s_cmp_gt_i32 s19, 24
	s_cbranch_scc0 .LBB6_1359
; %bb.1348:
	global_load_u8 v4, v[0:1], off
	s_mov_b32 s22, exec_lo
	s_wait_loadcnt 0x0
	v_cmpx_lt_i16_e32 0x7f, v4
	s_xor_b32 s22, exec_lo, s22
	s_cbranch_execz .LBB6_1371
; %bb.1349:
	s_mov_b32 s21, -1
	s_mov_b32 s23, exec_lo
	v_cmpx_eq_u16_e32 0x80, v4
; %bb.1350:
	s_xor_b32 s21, exec_lo, -1
; %bb.1351:
	s_or_b32 exec_lo, exec_lo, s23
	s_delay_alu instid0(SALU_CYCLE_1)
	s_and_b32 s21, s21, exec_lo
	s_or_saveexec_b32 s22, s22
	v_mov_b64_e32 v[6:7], 0x7ff8000020000000
	s_xor_b32 exec_lo, exec_lo, s22
	s_cbranch_execnz .LBB6_1372
.LBB6_1352:
	s_or_b32 exec_lo, exec_lo, s22
	s_and_saveexec_b32 s22, s21
	s_cbranch_execz .LBB6_1354
.LBB6_1353:
	v_and_b32_e32 v5, 0xffff, v4
	s_delay_alu instid0(VALU_DEP_1) | instskip(SKIP_1) | instid1(VALU_DEP_2)
	v_and_b32_e32 v6, 3, v5
	v_bfe_u32 v9, v5, 2, 5
	v_clz_i32_u32_e32 v7, v6
	s_delay_alu instid0(VALU_DEP_2) | instskip(NEXT) | instid1(VALU_DEP_2)
	v_cmp_eq_u32_e32 vcc_lo, 0, v9
	v_min_u32_e32 v7, 32, v7
	s_delay_alu instid0(VALU_DEP_1) | instskip(NEXT) | instid1(VALU_DEP_1)
	v_subrev_nc_u32_e32 v8, 29, v7
	v_dual_lshlrev_b32 v5, v8, v5 :: v_dual_sub_nc_u32 v7, 30, v7
	s_delay_alu instid0(VALU_DEP_1) | instskip(NEXT) | instid1(VALU_DEP_1)
	v_dual_lshlrev_b32 v4, 24, v4 :: v_dual_bitop2_b32 v5, 3, v5 bitop3:0x40
	v_dual_cndmask_b32 v7, v9, v7, vcc_lo :: v_dual_cndmask_b32 v5, v6, v5, vcc_lo
	s_delay_alu instid0(VALU_DEP_2) | instskip(NEXT) | instid1(VALU_DEP_2)
	v_and_b32_e32 v4, 0x80000000, v4
	v_lshl_add_u32 v6, v7, 23, 0x37800000
	s_delay_alu instid0(VALU_DEP_3) | instskip(NEXT) | instid1(VALU_DEP_1)
	v_lshlrev_b32_e32 v5, 21, v5
	v_or3_b32 v4, v4, v6, v5
	s_delay_alu instid0(VALU_DEP_1)
	v_cvt_f64_f32_e32 v[6:7], v4
.LBB6_1354:
	s_or_b32 exec_lo, exec_lo, s22
	s_mov_b32 s21, 0
	s_branch .LBB6_1360
.LBB6_1355:
	s_mov_b32 s21, -1
                                        ; implicit-def: $vgpr6_vgpr7
	s_branch .LBB6_1366
.LBB6_1356:
	s_or_saveexec_b32 s23, s23
	v_mov_b64_e32 v[6:7], 0x7ff8000020000000
	s_xor_b32 exec_lo, exec_lo, s23
	s_cbranch_execz .LBB6_1340
.LBB6_1357:
	v_cmp_ne_u16_e32 vcc_lo, 0, v4
	v_mov_b64_e32 v[6:7], 0
	s_and_not1_b32 s22, s22, exec_lo
	s_and_b32 s24, vcc_lo, exec_lo
	s_delay_alu instid0(SALU_CYCLE_1)
	s_or_b32 s22, s22, s24
	s_or_b32 exec_lo, exec_lo, s23
	s_and_saveexec_b32 s23, s22
	s_cbranch_execnz .LBB6_1341
	s_branch .LBB6_1342
.LBB6_1358:
	s_mov_b32 s21, -1
                                        ; implicit-def: $vgpr6_vgpr7
	s_branch .LBB6_1363
.LBB6_1359:
	s_mov_b32 s21, -1
                                        ; implicit-def: $vgpr6_vgpr7
.LBB6_1360:
	s_delay_alu instid0(SALU_CYCLE_1)
	s_and_b32 vcc_lo, exec_lo, s21
	s_cbranch_vccz .LBB6_1362
; %bb.1361:
	global_load_u8 v4, v[0:1], off
	s_wait_loadcnt 0x0
	v_lshlrev_b32_e32 v4, 24, v4
	s_delay_alu instid0(VALU_DEP_1) | instskip(NEXT) | instid1(VALU_DEP_1)
	v_and_b32_e32 v5, 0x7f000000, v4
	v_clz_i32_u32_e32 v6, v5
	v_cmp_ne_u32_e32 vcc_lo, 0, v5
	v_add_nc_u32_e32 v8, 0x1000000, v5
	s_delay_alu instid0(VALU_DEP_3) | instskip(NEXT) | instid1(VALU_DEP_1)
	v_min_u32_e32 v6, 32, v6
	v_sub_nc_u32_e64 v6, v6, 4 clamp
	s_delay_alu instid0(VALU_DEP_1) | instskip(NEXT) | instid1(VALU_DEP_1)
	v_dual_lshlrev_b32 v7, v6, v5 :: v_dual_lshlrev_b32 v6, 23, v6
	v_lshrrev_b32_e32 v7, 4, v7
	s_delay_alu instid0(VALU_DEP_1) | instskip(NEXT) | instid1(VALU_DEP_1)
	v_dual_sub_nc_u32 v6, v7, v6 :: v_dual_ashrrev_i32 v7, 8, v8
	v_add_nc_u32_e32 v6, 0x3c000000, v6
	s_delay_alu instid0(VALU_DEP_1) | instskip(NEXT) | instid1(VALU_DEP_1)
	v_and_or_b32 v6, 0x7f800000, v7, v6
	v_cndmask_b32_e32 v5, 0, v6, vcc_lo
	s_delay_alu instid0(VALU_DEP_1) | instskip(NEXT) | instid1(VALU_DEP_1)
	v_and_or_b32 v4, 0x80000000, v4, v5
	v_cvt_f64_f32_e32 v[6:7], v4
.LBB6_1362:
	s_mov_b32 s21, 0
.LBB6_1363:
	s_delay_alu instid0(SALU_CYCLE_1)
	s_and_not1_b32 vcc_lo, exec_lo, s21
	s_cbranch_vccnz .LBB6_1365
; %bb.1364:
	global_load_u8 v4, v[0:1], off
	s_wait_loadcnt 0x0
	v_lshlrev_b32_e32 v5, 25, v4
	v_lshlrev_b16 v4, 8, v4
	s_delay_alu instid0(VALU_DEP_1) | instskip(SKIP_1) | instid1(VALU_DEP_2)
	v_and_or_b32 v7, 0x7f00, v4, 0.5
	v_bfe_i32 v4, v4, 0, 16
	v_dual_add_f32 v7, -0.5, v7 :: v_dual_lshrrev_b32 v6, 4, v5
	v_cmp_gt_u32_e32 vcc_lo, 0x8000000, v5
	s_delay_alu instid0(VALU_DEP_2) | instskip(NEXT) | instid1(VALU_DEP_1)
	v_or_b32_e32 v6, 0x70000000, v6
	v_mul_f32_e32 v6, 0x7800000, v6
	s_delay_alu instid0(VALU_DEP_1) | instskip(NEXT) | instid1(VALU_DEP_1)
	v_cndmask_b32_e32 v5, v6, v7, vcc_lo
	v_and_or_b32 v4, 0x80000000, v4, v5
	s_delay_alu instid0(VALU_DEP_1)
	v_cvt_f64_f32_e32 v[6:7], v4
.LBB6_1365:
	s_mov_b32 s21, 0
	s_mov_b32 s22, -1
.LBB6_1366:
	s_and_not1_b32 vcc_lo, exec_lo, s21
	s_mov_b32 s21, 0
	s_cbranch_vccnz .LBB6_1377
; %bb.1367:
	s_cmp_gt_i32 s19, 14
	s_cbranch_scc0 .LBB6_1370
; %bb.1368:
	s_cmp_eq_u32 s19, 15
	s_cbranch_scc0 .LBB6_1373
; %bb.1369:
	global_load_u16 v4, v[0:1], off
	s_mov_b32 s20, 0
	s_mov_b32 s22, -1
	s_wait_loadcnt 0x0
	v_lshlrev_b32_e32 v4, 16, v4
	s_delay_alu instid0(VALU_DEP_1)
	v_cvt_f64_f32_e32 v[6:7], v4
	s_branch .LBB6_1375
.LBB6_1370:
	s_mov_b32 s21, -1
	s_branch .LBB6_1374
.LBB6_1371:
	s_or_saveexec_b32 s22, s22
	v_mov_b64_e32 v[6:7], 0x7ff8000020000000
	s_xor_b32 exec_lo, exec_lo, s22
	s_cbranch_execz .LBB6_1352
.LBB6_1372:
	v_cmp_ne_u16_e32 vcc_lo, 0, v4
	v_mov_b64_e32 v[6:7], 0
	s_and_not1_b32 s21, s21, exec_lo
	s_and_b32 s23, vcc_lo, exec_lo
	s_delay_alu instid0(SALU_CYCLE_1)
	s_or_b32 s21, s21, s23
	s_or_b32 exec_lo, exec_lo, s22
	s_and_saveexec_b32 s22, s21
	s_cbranch_execnz .LBB6_1353
	s_branch .LBB6_1354
.LBB6_1373:
	s_mov_b32 s20, -1
.LBB6_1374:
                                        ; implicit-def: $vgpr6_vgpr7
.LBB6_1375:
	s_and_b32 vcc_lo, exec_lo, s21
	s_mov_b32 s21, 0
	s_cbranch_vccz .LBB6_1377
; %bb.1376:
	s_cmp_lg_u32 s19, 11
	s_mov_b32 s21, -1
	s_cselect_b32 s19, -1, 0
	s_and_not1_b32 s20, s20, exec_lo
	s_and_b32 s19, s19, exec_lo
	s_delay_alu instid0(SALU_CYCLE_1)
	s_or_b32 s20, s20, s19
.LBB6_1377:
	s_mov_b32 s23, 0
.LBB6_1378:
	s_and_b32 s19, s22, exec_lo
	s_and_b32 s22, s23, exec_lo
	s_and_not1_b32 s17, s17, exec_lo
	s_and_b32 s23, s20, exec_lo
	s_and_b32 s20, s21, exec_lo
	s_or_b32 s17, s17, s23
	s_wait_xcnt 0x0
	s_or_b32 exec_lo, exec_lo, s18
	s_and_saveexec_b32 s18, s17
	s_cbranch_execz .LBB6_1307
.LBB6_1379:
	s_or_b32 s16, s16, exec_lo
	s_and_not1_b32 s20, s20, exec_lo
	s_trap 2
	s_or_b32 exec_lo, exec_lo, s18
	s_and_saveexec_b32 s17, s20
	s_delay_alu instid0(SALU_CYCLE_1)
	s_xor_b32 s17, exec_lo, s17
	s_cbranch_execnz .LBB6_1308
.LBB6_1380:
	s_or_b32 exec_lo, exec_lo, s17
	s_and_saveexec_b32 s17, s22
	s_cbranch_execz .LBB6_1426
.LBB6_1381:
	s_sext_i32_i16 s18, s0
	s_delay_alu instid0(SALU_CYCLE_1)
	s_cmp_lt_i32 s18, 5
	s_cbranch_scc1 .LBB6_1386
; %bb.1382:
	s_cmp_lt_i32 s18, 8
	s_cbranch_scc1 .LBB6_1387
; %bb.1383:
	;; [unrolled: 3-line block ×3, first 2 shown]
	s_cmp_gt_i32 s18, 9
	s_cbranch_scc0 .LBB6_1389
; %bb.1385:
	s_wait_loadcnt 0x0
	global_load_b64 v[6:7], v[0:1], off
	s_mov_b32 s18, 0
	s_branch .LBB6_1390
.LBB6_1386:
                                        ; implicit-def: $vgpr6_vgpr7
	s_branch .LBB6_1407
.LBB6_1387:
                                        ; implicit-def: $vgpr6_vgpr7
	s_branch .LBB6_1396
.LBB6_1388:
	s_mov_b32 s18, -1
                                        ; implicit-def: $vgpr6_vgpr7
	s_branch .LBB6_1393
.LBB6_1389:
	s_mov_b32 s18, -1
                                        ; implicit-def: $vgpr6_vgpr7
.LBB6_1390:
	s_delay_alu instid0(SALU_CYCLE_1)
	s_and_not1_b32 vcc_lo, exec_lo, s18
	s_cbranch_vccnz .LBB6_1392
; %bb.1391:
	s_wait_loadcnt 0x0
	global_load_b32 v4, v[0:1], off
	s_wait_loadcnt 0x0
	v_cvt_f64_f32_e32 v[6:7], v4
.LBB6_1392:
	s_mov_b32 s18, 0
.LBB6_1393:
	s_delay_alu instid0(SALU_CYCLE_1)
	s_and_not1_b32 vcc_lo, exec_lo, s18
	s_cbranch_vccnz .LBB6_1395
; %bb.1394:
	s_wait_loadcnt 0x0
	global_load_b32 v4, v[0:1], off
	s_wait_loadcnt 0x0
	v_cvt_f32_f16_e32 v4, v4
	s_delay_alu instid0(VALU_DEP_1)
	v_cvt_f64_f32_e32 v[6:7], v4
.LBB6_1395:
	s_cbranch_execnz .LBB6_1406
.LBB6_1396:
	s_sext_i32_i16 s18, s0
	s_delay_alu instid0(SALU_CYCLE_1)
	s_cmp_lt_i32 s18, 6
	s_cbranch_scc1 .LBB6_1399
; %bb.1397:
	s_cmp_gt_i32 s18, 6
	s_cbranch_scc0 .LBB6_1400
; %bb.1398:
	s_wait_loadcnt 0x0
	global_load_b64 v[6:7], v[0:1], off
	s_mov_b32 s18, 0
	s_branch .LBB6_1401
.LBB6_1399:
	s_mov_b32 s18, -1
                                        ; implicit-def: $vgpr6_vgpr7
	s_branch .LBB6_1404
.LBB6_1400:
	s_mov_b32 s18, -1
                                        ; implicit-def: $vgpr6_vgpr7
.LBB6_1401:
	s_delay_alu instid0(SALU_CYCLE_1)
	s_and_not1_b32 vcc_lo, exec_lo, s18
	s_cbranch_vccnz .LBB6_1403
; %bb.1402:
	s_wait_loadcnt 0x0
	global_load_b32 v4, v[0:1], off
	s_wait_loadcnt 0x0
	v_cvt_f64_f32_e32 v[6:7], v4
.LBB6_1403:
	s_mov_b32 s18, 0
.LBB6_1404:
	s_delay_alu instid0(SALU_CYCLE_1)
	s_and_not1_b32 vcc_lo, exec_lo, s18
	s_cbranch_vccnz .LBB6_1406
; %bb.1405:
	s_wait_loadcnt 0x0
	global_load_u16 v4, v[0:1], off
	s_wait_loadcnt 0x0
	v_cvt_f32_f16_e32 v4, v4
	s_delay_alu instid0(VALU_DEP_1)
	v_cvt_f64_f32_e32 v[6:7], v4
.LBB6_1406:
	s_cbranch_execnz .LBB6_1425
.LBB6_1407:
	s_sext_i32_i16 s18, s0
	s_delay_alu instid0(SALU_CYCLE_1)
	s_cmp_lt_i32 s18, 2
	s_cbranch_scc1 .LBB6_1411
; %bb.1408:
	s_cmp_lt_i32 s18, 3
	s_cbranch_scc1 .LBB6_1412
; %bb.1409:
	s_cmp_gt_i32 s18, 3
	s_cbranch_scc0 .LBB6_1413
; %bb.1410:
	s_wait_loadcnt 0x0
	global_load_b64 v[4:5], v[0:1], off
	s_mov_b32 s18, 0
	s_wait_loadcnt 0x0
	v_cvt_f64_i32_e32 v[6:7], v5
	v_cvt_f64_u32_e32 v[4:5], v4
	s_delay_alu instid0(VALU_DEP_2) | instskip(NEXT) | instid1(VALU_DEP_1)
	v_ldexp_f64 v[6:7], v[6:7], 32
	v_add_f64_e32 v[6:7], v[6:7], v[4:5]
	s_branch .LBB6_1414
.LBB6_1411:
                                        ; implicit-def: $vgpr6_vgpr7
	s_branch .LBB6_1420
.LBB6_1412:
	s_mov_b32 s18, -1
                                        ; implicit-def: $vgpr6_vgpr7
	s_branch .LBB6_1417
.LBB6_1413:
	s_mov_b32 s18, -1
                                        ; implicit-def: $vgpr6_vgpr7
.LBB6_1414:
	s_delay_alu instid0(SALU_CYCLE_1)
	s_and_not1_b32 vcc_lo, exec_lo, s18
	s_cbranch_vccnz .LBB6_1416
; %bb.1415:
	s_wait_loadcnt 0x0
	global_load_b32 v4, v[0:1], off
	s_wait_loadcnt 0x0
	v_cvt_f64_i32_e32 v[6:7], v4
.LBB6_1416:
	s_mov_b32 s18, 0
.LBB6_1417:
	s_delay_alu instid0(SALU_CYCLE_1)
	s_and_not1_b32 vcc_lo, exec_lo, s18
	s_cbranch_vccnz .LBB6_1419
; %bb.1418:
	s_wait_loadcnt 0x0
	global_load_i16 v4, v[0:1], off
	s_wait_loadcnt 0x0
	v_cvt_f64_i32_e32 v[6:7], v4
.LBB6_1419:
	s_cbranch_execnz .LBB6_1425
.LBB6_1420:
	s_sext_i32_i16 s0, s0
	s_delay_alu instid0(SALU_CYCLE_1)
	s_cmp_gt_i32 s0, 0
	s_mov_b32 s0, 0
	s_cbranch_scc0 .LBB6_1422
; %bb.1421:
	s_wait_loadcnt 0x0
	global_load_i8 v4, v[0:1], off
	s_wait_loadcnt 0x0
	v_cvt_f64_i32_e32 v[6:7], v4
	s_branch .LBB6_1423
.LBB6_1422:
	s_mov_b32 s0, -1
                                        ; implicit-def: $vgpr6_vgpr7
.LBB6_1423:
	s_delay_alu instid0(SALU_CYCLE_1)
	s_and_not1_b32 vcc_lo, exec_lo, s0
	s_cbranch_vccnz .LBB6_1425
; %bb.1424:
	s_wait_loadcnt 0x0
	global_load_u8 v0, v[0:1], off
	s_wait_loadcnt 0x0
	v_cvt_f64_u32_e32 v[6:7], v0
.LBB6_1425:
	s_or_b32 s19, s19, exec_lo
.LBB6_1426:
	s_wait_xcnt 0x0
	s_or_b32 exec_lo, exec_lo, s17
	s_mov_b32 s0, 0
	s_mov_b32 s20, 0
                                        ; implicit-def: $sgpr17
                                        ; implicit-def: $vgpr4_vgpr5
                                        ; implicit-def: $vgpr0_vgpr1
	s_and_saveexec_b32 s18, s19
	s_cbranch_execz .LBB6_1434
; %bb.1427:
	s_wait_loadcnt 0x0
	s_delay_alu instid0(VALU_DEP_1) | instskip(SKIP_1) | instid1(VALU_DEP_3)
	v_cmp_lt_f64_e32 vcc_lo, 0, v[2:3]
	v_mul_lo_u32 v4, v18, s8
	v_mul_f64_e32 v[0:1], v[2:3], v[6:7]
	s_and_b32 s17, s11, 0xff
	s_delay_alu instid0(SALU_CYCLE_1) | instskip(NEXT) | instid1(VALU_DEP_2)
	s_cmp_lt_i32 s17, 11
	v_ashrrev_i32_e32 v5, 31, v4
	s_delay_alu instid0(VALU_DEP_1) | instskip(NEXT) | instid1(VALU_DEP_3)
	v_add_nc_u64_e32 v[4:5], s[4:5], v[4:5]
	v_dual_cndmask_b32 v1, v1, v3 :: v_dual_cndmask_b32 v0, v0, v2
	s_cbranch_scc1 .LBB6_1437
; %bb.1428:
	s_and_b32 s19, 0xffff, s17
	s_mov_b32 s20, -1
	s_cmp_gt_i32 s19, 25
	s_mov_b32 s0, s15
	s_cbranch_scc0 .LBB6_1465
; %bb.1429:
	s_cmp_gt_i32 s19, 28
	s_mov_b32 s0, s15
	s_cbranch_scc0 .LBB6_1449
; %bb.1430:
	;; [unrolled: 4-line block ×4, first 2 shown]
	s_cmp_eq_u32 s19, 46
	s_mov_b32 s0, -1
	s_cbranch_scc0 .LBB6_1438
; %bb.1433:
	v_cvt_f32_f64_e32 v2, v[0:1]
	s_mov_b32 s0, 0
	s_mov_b32 s20, 0
	s_delay_alu instid0(VALU_DEP_1) | instskip(SKIP_1) | instid1(VALU_DEP_2)
	v_bfe_u32 v3, v2, 16, 1
	v_cmp_o_f32_e32 vcc_lo, v2, v2
	v_add3_u32 v3, v2, v3, 0x7fff
	s_delay_alu instid0(VALU_DEP_1) | instskip(NEXT) | instid1(VALU_DEP_1)
	v_lshrrev_b32_e32 v3, 16, v3
	v_cndmask_b32_e32 v2, 0x7fc0, v3, vcc_lo
	global_store_b32 v[4:5], v2, off
	s_branch .LBB6_1439
.LBB6_1434:
	s_or_b32 exec_lo, exec_lo, s18
	s_and_saveexec_b32 s18, s15
	s_cbranch_execnz .LBB6_1507
.LBB6_1435:
	s_or_b32 exec_lo, exec_lo, s18
	s_and_saveexec_b32 s15, s0
	s_delay_alu instid0(SALU_CYCLE_1)
	s_xor_b32 s0, exec_lo, s15
	s_cbranch_execz .LBB6_1508
.LBB6_1436:
	s_wait_loadcnt 0x0
	v_cmp_neq_f64_e32 vcc_lo, 0, v[0:1]
	v_cndmask_b32_e64 v2, 0, 1, vcc_lo
	global_store_b8 v[4:5], v2, off
	s_wait_xcnt 0x0
	s_or_b32 exec_lo, exec_lo, s0
	s_and_saveexec_b32 s0, s20
	s_delay_alu instid0(SALU_CYCLE_1)
	s_xor_b32 s0, exec_lo, s0
	s_cbranch_execz .LBB6_1546
	s_branch .LBB6_1509
.LBB6_1437:
	s_mov_b32 s21, 0
	s_mov_b32 s20, -1
	s_mov_b32 s0, s15
	s_branch .LBB6_1506
.LBB6_1438:
	s_mov_b32 s20, 0
.LBB6_1439:
	s_delay_alu instid0(SALU_CYCLE_1)
	s_and_b32 vcc_lo, exec_lo, s20
	s_cbranch_vccz .LBB6_1444
; %bb.1440:
	s_cmp_eq_u32 s19, 44
	s_mov_b32 s0, -1
	s_cbranch_scc0 .LBB6_1444
; %bb.1441:
	s_wait_xcnt 0x0
	v_cvt_f32_f64_e32 v2, v[0:1]
	v_mov_b32_e32 v3, 0xff
	s_mov_b32 s20, exec_lo
	s_delay_alu instid0(VALU_DEP_2) | instskip(NEXT) | instid1(VALU_DEP_1)
	v_bfe_u32 v6, v2, 23, 8
	v_cmpx_ne_u32_e32 0xff, v6
	s_cbranch_execz .LBB6_1443
; %bb.1442:
	v_and_b32_e32 v3, 0x400000, v2
	v_and_or_b32 v6, 0x3fffff, v2, v6
	v_lshrrev_b32_e32 v2, 23, v2
	s_delay_alu instid0(VALU_DEP_3) | instskip(NEXT) | instid1(VALU_DEP_3)
	v_cmp_ne_u32_e32 vcc_lo, 0, v3
	v_cmp_ne_u32_e64 s0, 0, v6
	s_and_b32 s0, vcc_lo, s0
	s_delay_alu instid0(SALU_CYCLE_1) | instskip(NEXT) | instid1(VALU_DEP_1)
	v_cndmask_b32_e64 v3, 0, 1, s0
	v_add_nc_u32_e32 v3, v2, v3
.LBB6_1443:
	s_or_b32 exec_lo, exec_lo, s20
	s_mov_b32 s0, 0
	global_store_b8 v[4:5], v3, off
.LBB6_1444:
	s_mov_b32 s20, 0
.LBB6_1445:
	s_delay_alu instid0(SALU_CYCLE_1)
	s_and_b32 vcc_lo, exec_lo, s20
	s_cbranch_vccz .LBB6_1448
; %bb.1446:
	s_cmp_eq_u32 s19, 29
	s_mov_b32 s0, -1
	s_cbranch_scc0 .LBB6_1448
; %bb.1447:
	s_wait_xcnt 0x0
	v_trunc_f64_e32 v[2:3], v[0:1]
	s_mov_b32 s0, 0
	s_mov_b32 s20, 0
	s_delay_alu instid0(VALU_DEP_1) | instskip(NEXT) | instid1(VALU_DEP_1)
	v_ldexp_f64 v[6:7], v[2:3], 0xffffffe0
	v_floor_f64_e32 v[6:7], v[6:7]
	s_delay_alu instid0(VALU_DEP_1) | instskip(SKIP_1) | instid1(VALU_DEP_2)
	v_fmamk_f64 v[2:3], v[6:7], 0xc1f00000, v[2:3]
	v_cvt_u32_f64_e32 v7, v[6:7]
	v_cvt_u32_f64_e32 v6, v[2:3]
	global_store_b64 v[4:5], v[6:7], off
	s_branch .LBB6_1449
.LBB6_1448:
	s_mov_b32 s20, 0
.LBB6_1449:
	s_delay_alu instid0(SALU_CYCLE_1)
	s_and_b32 vcc_lo, exec_lo, s20
	s_cbranch_vccz .LBB6_1464
; %bb.1450:
	s_cmp_lt_i32 s19, 27
	s_mov_b32 s20, -1
	s_cbranch_scc1 .LBB6_1456
; %bb.1451:
	s_wait_xcnt 0x0
	v_cvt_u32_f64_e32 v2, v[0:1]
	s_cmp_gt_i32 s19, 27
	s_cbranch_scc0 .LBB6_1453
; %bb.1452:
	s_mov_b32 s20, 0
	global_store_b32 v[4:5], v2, off
.LBB6_1453:
	s_and_not1_b32 vcc_lo, exec_lo, s20
	s_cbranch_vccnz .LBB6_1455
; %bb.1454:
	global_store_b16 v[4:5], v2, off
.LBB6_1455:
	s_mov_b32 s20, 0
.LBB6_1456:
	s_delay_alu instid0(SALU_CYCLE_1)
	s_and_not1_b32 vcc_lo, exec_lo, s20
	s_cbranch_vccnz .LBB6_1464
; %bb.1457:
	s_wait_xcnt 0x0
	v_cvt_f32_f64_e32 v2, v[0:1]
	v_mov_b32_e32 v6, 0x80
	s_mov_b32 s20, exec_lo
	s_delay_alu instid0(VALU_DEP_2) | instskip(NEXT) | instid1(VALU_DEP_1)
	v_and_b32_e32 v3, 0x7fffffff, v2
	v_cmpx_gt_u32_e32 0x43800000, v3
	s_cbranch_execz .LBB6_1463
; %bb.1458:
	v_cmp_lt_u32_e32 vcc_lo, 0x3bffffff, v3
	s_mov_b32 s21, 0
                                        ; implicit-def: $vgpr3
	s_and_saveexec_b32 s22, vcc_lo
	s_delay_alu instid0(SALU_CYCLE_1)
	s_xor_b32 s22, exec_lo, s22
	s_cbranch_execz .LBB6_1561
; %bb.1459:
	v_bfe_u32 v3, v2, 20, 1
	s_mov_b32 s21, exec_lo
	s_delay_alu instid0(VALU_DEP_1) | instskip(NEXT) | instid1(VALU_DEP_1)
	v_add3_u32 v3, v2, v3, 0x487ffff
	v_lshrrev_b32_e32 v3, 20, v3
	s_and_not1_saveexec_b32 s22, s22
	s_cbranch_execnz .LBB6_1562
.LBB6_1460:
	s_or_b32 exec_lo, exec_lo, s22
	v_mov_b32_e32 v6, 0
	s_and_saveexec_b32 s22, s21
.LBB6_1461:
	v_lshrrev_b32_e32 v2, 24, v2
	s_delay_alu instid0(VALU_DEP_1)
	v_and_or_b32 v6, 0x80, v2, v3
.LBB6_1462:
	s_or_b32 exec_lo, exec_lo, s22
.LBB6_1463:
	s_delay_alu instid0(SALU_CYCLE_1)
	s_or_b32 exec_lo, exec_lo, s20
	global_store_b8 v[4:5], v6, off
.LBB6_1464:
	s_mov_b32 s20, 0
.LBB6_1465:
	s_delay_alu instid0(SALU_CYCLE_1)
	s_and_b32 vcc_lo, exec_lo, s20
	s_mov_b32 s20, 0
	s_cbranch_vccz .LBB6_1505
; %bb.1466:
	s_cmp_gt_i32 s19, 22
	s_mov_b32 s21, -1
	s_cbranch_scc0 .LBB6_1498
; %bb.1467:
	s_cmp_lt_i32 s19, 24
	s_cbranch_scc1 .LBB6_1487
; %bb.1468:
	s_cmp_gt_i32 s19, 24
	s_cbranch_scc0 .LBB6_1476
; %bb.1469:
	s_wait_xcnt 0x0
	v_cvt_f32_f64_e32 v2, v[0:1]
	v_mov_b32_e32 v6, 0x80
	s_mov_b32 s21, exec_lo
	s_delay_alu instid0(VALU_DEP_2) | instskip(NEXT) | instid1(VALU_DEP_1)
	v_and_b32_e32 v3, 0x7fffffff, v2
	v_cmpx_gt_u32_e32 0x47800000, v3
	s_cbranch_execz .LBB6_1475
; %bb.1470:
	v_cmp_lt_u32_e32 vcc_lo, 0x37ffffff, v3
	s_mov_b32 s22, 0
                                        ; implicit-def: $vgpr3
	s_and_saveexec_b32 s23, vcc_lo
	s_delay_alu instid0(SALU_CYCLE_1)
	s_xor_b32 s23, exec_lo, s23
	s_cbranch_execz .LBB6_1687
; %bb.1471:
	v_bfe_u32 v3, v2, 21, 1
	s_mov_b32 s22, exec_lo
	s_delay_alu instid0(VALU_DEP_1) | instskip(NEXT) | instid1(VALU_DEP_1)
	v_add3_u32 v3, v2, v3, 0x88fffff
	v_lshrrev_b32_e32 v3, 21, v3
	s_and_not1_saveexec_b32 s23, s23
	s_cbranch_execnz .LBB6_1688
.LBB6_1472:
	s_or_b32 exec_lo, exec_lo, s23
	v_mov_b32_e32 v6, 0
	s_and_saveexec_b32 s23, s22
.LBB6_1473:
	v_lshrrev_b32_e32 v2, 24, v2
	s_delay_alu instid0(VALU_DEP_1)
	v_and_or_b32 v6, 0x80, v2, v3
.LBB6_1474:
	s_or_b32 exec_lo, exec_lo, s23
.LBB6_1475:
	s_delay_alu instid0(SALU_CYCLE_1)
	s_or_b32 exec_lo, exec_lo, s21
	s_mov_b32 s21, 0
	global_store_b8 v[4:5], v6, off
.LBB6_1476:
	s_and_b32 vcc_lo, exec_lo, s21
	s_cbranch_vccz .LBB6_1486
; %bb.1477:
	s_wait_xcnt 0x0
	v_cvt_f32_f64_e32 v2, v[0:1]
	s_mov_b32 s21, exec_lo
                                        ; implicit-def: $vgpr3
	s_delay_alu instid0(VALU_DEP_1) | instskip(NEXT) | instid1(VALU_DEP_1)
	v_and_b32_e32 v6, 0x7fffffff, v2
	v_cmpx_gt_u32_e32 0x43f00000, v6
	s_xor_b32 s21, exec_lo, s21
	s_cbranch_execz .LBB6_1483
; %bb.1478:
	s_mov_b32 s22, exec_lo
                                        ; implicit-def: $vgpr3
	v_cmpx_lt_u32_e32 0x3c7fffff, v6
	s_xor_b32 s22, exec_lo, s22
; %bb.1479:
	v_bfe_u32 v3, v2, 20, 1
	s_delay_alu instid0(VALU_DEP_1) | instskip(NEXT) | instid1(VALU_DEP_1)
	v_add3_u32 v3, v2, v3, 0x407ffff
	v_and_b32_e32 v6, 0xff00000, v3
	v_lshrrev_b32_e32 v3, 20, v3
	s_delay_alu instid0(VALU_DEP_2) | instskip(NEXT) | instid1(VALU_DEP_2)
	v_cmp_ne_u32_e32 vcc_lo, 0x7f00000, v6
	v_cndmask_b32_e32 v3, 0x7e, v3, vcc_lo
; %bb.1480:
	s_and_not1_saveexec_b32 s22, s22
; %bb.1481:
	v_add_f32_e64 v3, 0x46800000, |v2|
; %bb.1482:
	s_or_b32 exec_lo, exec_lo, s22
                                        ; implicit-def: $vgpr6
.LBB6_1483:
	s_and_not1_saveexec_b32 s21, s21
; %bb.1484:
	v_mov_b32_e32 v3, 0x7f
	v_cmp_lt_u32_e32 vcc_lo, 0x7f800000, v6
	s_delay_alu instid0(VALU_DEP_2)
	v_cndmask_b32_e32 v3, 0x7e, v3, vcc_lo
; %bb.1485:
	s_or_b32 exec_lo, exec_lo, s21
	v_lshrrev_b32_e32 v2, 24, v2
	s_delay_alu instid0(VALU_DEP_1)
	v_and_or_b32 v2, 0x80, v2, v3
	global_store_b8 v[4:5], v2, off
.LBB6_1486:
	s_mov_b32 s21, 0
.LBB6_1487:
	s_delay_alu instid0(SALU_CYCLE_1)
	s_and_not1_b32 vcc_lo, exec_lo, s21
	s_cbranch_vccnz .LBB6_1497
; %bb.1488:
	s_wait_xcnt 0x0
	v_cvt_f32_f64_e32 v2, v[0:1]
	s_mov_b32 s21, exec_lo
                                        ; implicit-def: $vgpr3
	s_delay_alu instid0(VALU_DEP_1) | instskip(NEXT) | instid1(VALU_DEP_1)
	v_and_b32_e32 v6, 0x7fffffff, v2
	v_cmpx_gt_u32_e32 0x47800000, v6
	s_xor_b32 s21, exec_lo, s21
	s_cbranch_execz .LBB6_1494
; %bb.1489:
	s_mov_b32 s22, exec_lo
                                        ; implicit-def: $vgpr3
	v_cmpx_lt_u32_e32 0x387fffff, v6
	s_xor_b32 s22, exec_lo, s22
; %bb.1490:
	v_bfe_u32 v3, v2, 21, 1
	s_delay_alu instid0(VALU_DEP_1) | instskip(NEXT) | instid1(VALU_DEP_1)
	v_add3_u32 v3, v2, v3, 0x80fffff
	v_lshrrev_b32_e32 v3, 21, v3
; %bb.1491:
	s_and_not1_saveexec_b32 s22, s22
; %bb.1492:
	v_add_f32_e64 v3, 0x43000000, |v2|
; %bb.1493:
	s_or_b32 exec_lo, exec_lo, s22
                                        ; implicit-def: $vgpr6
.LBB6_1494:
	s_and_not1_saveexec_b32 s21, s21
; %bb.1495:
	v_mov_b32_e32 v3, 0x7f
	v_cmp_lt_u32_e32 vcc_lo, 0x7f800000, v6
	s_delay_alu instid0(VALU_DEP_2)
	v_cndmask_b32_e32 v3, 0x7c, v3, vcc_lo
; %bb.1496:
	s_or_b32 exec_lo, exec_lo, s21
	v_lshrrev_b32_e32 v2, 24, v2
	s_delay_alu instid0(VALU_DEP_1)
	v_and_or_b32 v2, 0x80, v2, v3
	global_store_b8 v[4:5], v2, off
.LBB6_1497:
	s_mov_b32 s21, 0
.LBB6_1498:
	s_delay_alu instid0(SALU_CYCLE_1)
	s_and_not1_b32 vcc_lo, exec_lo, s21
	s_mov_b32 s21, 0
	s_cbranch_vccnz .LBB6_1506
; %bb.1499:
	s_cmp_gt_i32 s19, 14
	s_mov_b32 s21, -1
	s_cbranch_scc0 .LBB6_1503
; %bb.1500:
	s_cmp_eq_u32 s19, 15
	s_mov_b32 s0, -1
	s_cbranch_scc0 .LBB6_1502
; %bb.1501:
	s_wait_xcnt 0x0
	v_cvt_f32_f64_e32 v2, v[0:1]
	s_mov_b32 s0, 0
	s_delay_alu instid0(VALU_DEP_1) | instskip(SKIP_1) | instid1(VALU_DEP_2)
	v_bfe_u32 v3, v2, 16, 1
	v_cmp_o_f32_e32 vcc_lo, v2, v2
	v_add3_u32 v3, v2, v3, 0x7fff
	s_delay_alu instid0(VALU_DEP_1) | instskip(NEXT) | instid1(VALU_DEP_1)
	v_lshrrev_b32_e32 v3, 16, v3
	v_cndmask_b32_e32 v2, 0x7fc0, v3, vcc_lo
	global_store_b16 v[4:5], v2, off
.LBB6_1502:
	s_mov_b32 s21, 0
.LBB6_1503:
	s_delay_alu instid0(SALU_CYCLE_1)
	s_and_b32 vcc_lo, exec_lo, s21
	s_mov_b32 s21, 0
	s_cbranch_vccz .LBB6_1506
; %bb.1504:
	s_cmp_lg_u32 s19, 11
	s_mov_b32 s21, -1
	s_cselect_b32 s19, -1, 0
	s_and_not1_b32 s0, s0, exec_lo
	s_and_b32 s19, s19, exec_lo
	s_delay_alu instid0(SALU_CYCLE_1)
	s_or_b32 s0, s0, s19
	s_branch .LBB6_1506
.LBB6_1505:
	s_mov_b32 s21, 0
.LBB6_1506:
	s_and_not1_b32 s15, s15, exec_lo
	s_and_b32 s19, s0, exec_lo
	s_and_b32 s20, s20, exec_lo
	s_and_b32 s0, s21, exec_lo
	s_or_b32 s15, s15, s19
	s_wait_xcnt 0x0
	s_or_b32 exec_lo, exec_lo, s18
	s_and_saveexec_b32 s18, s15
	s_cbranch_execz .LBB6_1435
.LBB6_1507:
	s_or_b32 s16, s16, exec_lo
	s_and_not1_b32 s0, s0, exec_lo
	s_trap 2
	s_or_b32 exec_lo, exec_lo, s18
	s_and_saveexec_b32 s15, s0
	s_delay_alu instid0(SALU_CYCLE_1)
	s_xor_b32 s0, exec_lo, s15
	s_cbranch_execnz .LBB6_1436
.LBB6_1508:
	s_or_b32 exec_lo, exec_lo, s0
	s_and_saveexec_b32 s0, s20
	s_delay_alu instid0(SALU_CYCLE_1)
	s_xor_b32 s0, exec_lo, s0
	s_cbranch_execz .LBB6_1546
.LBB6_1509:
	s_sext_i32_i16 s18, s17
	s_mov_b32 s15, -1
	s_cmp_lt_i32 s18, 5
	s_cbranch_scc1 .LBB6_1530
; %bb.1510:
	s_cmp_lt_i32 s18, 8
	s_cbranch_scc1 .LBB6_1520
; %bb.1511:
	;; [unrolled: 3-line block ×3, first 2 shown]
	s_cmp_gt_i32 s18, 9
	s_cbranch_scc0 .LBB6_1514
; %bb.1513:
	s_wait_loadcnt 0x0
	v_mov_b32_e32 v2, 0
	s_mov_b32 s15, 0
	s_delay_alu instid0(VALU_DEP_1)
	v_mov_b32_e32 v3, v2
	global_store_b128 v[4:5], v[0:3], off
.LBB6_1514:
	s_and_not1_b32 vcc_lo, exec_lo, s15
	s_cbranch_vccnz .LBB6_1516
; %bb.1515:
	s_wait_loadcnt 0x0
	v_cvt_f32_f64_e32 v2, v[0:1]
	v_mov_b32_e32 v3, 0
	global_store_b64 v[4:5], v[2:3], off
.LBB6_1516:
	s_mov_b32 s15, 0
.LBB6_1517:
	s_delay_alu instid0(SALU_CYCLE_1)
	s_and_not1_b32 vcc_lo, exec_lo, s15
	s_cbranch_vccnz .LBB6_1519
; %bb.1518:
	s_wait_loadcnt 0x0
	v_and_or_b32 v2, 0x1ff, v1, v0
	v_lshrrev_b32_e32 v3, 8, v1
	v_bfe_u32 v6, v1, 20, 11
	s_delay_alu instid0(VALU_DEP_3) | instskip(NEXT) | instid1(VALU_DEP_2)
	v_cmp_ne_u32_e32 vcc_lo, 0, v2
	v_sub_nc_u32_e32 v7, 0x3f1, v6
	v_cndmask_b32_e64 v2, 0, 1, vcc_lo
	s_delay_alu instid0(VALU_DEP_1) | instskip(NEXT) | instid1(VALU_DEP_3)
	v_and_or_b32 v2, 0xffe, v3, v2
	v_med3_i32 v3, v7, 0, 13
	s_delay_alu instid0(VALU_DEP_2) | instskip(NEXT) | instid1(VALU_DEP_1)
	v_or_b32_e32 v7, 0x1000, v2
	v_lshrrev_b32_e32 v8, v3, v7
	s_delay_alu instid0(VALU_DEP_1) | instskip(NEXT) | instid1(VALU_DEP_1)
	v_lshlrev_b32_e32 v3, v3, v8
	v_cmp_ne_u32_e32 vcc_lo, v3, v7
	v_cndmask_b32_e64 v3, 0, 1, vcc_lo
	s_delay_alu instid0(VALU_DEP_1) | instskip(SKIP_1) | instid1(VALU_DEP_1)
	v_or_b32_e32 v3, v8, v3
	v_add_nc_u32_e32 v6, 0xfffffc10, v6
	v_lshl_or_b32 v7, v6, 12, v2
	v_cmp_gt_i32_e32 vcc_lo, 1, v6
	s_delay_alu instid0(VALU_DEP_2) | instskip(NEXT) | instid1(VALU_DEP_1)
	v_cndmask_b32_e32 v3, v7, v3, vcc_lo
	v_dual_lshrrev_b32 v3, 2, v3 :: v_dual_bitop2_b32 v7, 7, v3 bitop3:0x40
	s_delay_alu instid0(VALU_DEP_1) | instskip(SKIP_4) | instid1(VALU_DEP_2)
	v_cmp_lt_i32_e32 vcc_lo, 5, v7
	v_cndmask_b32_e64 v8, 0, 1, vcc_lo
	v_cmp_eq_u32_e32 vcc_lo, 3, v7
	v_cndmask_b32_e64 v7, 0, 1, vcc_lo
	v_cmp_ne_u32_e32 vcc_lo, 0, v2
	v_or_b32_e32 v7, v7, v8
	s_delay_alu instid0(VALU_DEP_1) | instskip(NEXT) | instid1(VALU_DEP_1)
	v_dual_mov_b32 v8, 0x7e00 :: v_dual_add_nc_u32 v3, v3, v7
	v_cndmask_b32_e32 v2, 0x7c00, v8, vcc_lo
	v_cmp_gt_i32_e32 vcc_lo, 31, v6
	v_lshrrev_b32_e32 v7, 16, v1
	s_delay_alu instid0(VALU_DEP_4) | instskip(SKIP_1) | instid1(VALU_DEP_2)
	v_cndmask_b32_e32 v3, 0x7c00, v3, vcc_lo
	v_cmp_eq_u32_e32 vcc_lo, 0x40f, v6
	v_cndmask_b32_e32 v2, v3, v2, vcc_lo
	s_delay_alu instid0(VALU_DEP_4) | instskip(NEXT) | instid1(VALU_DEP_1)
	v_and_b32_e32 v3, 0x8000, v7
	v_bitop3_b32 v2, v3, 0xffff, v2 bitop3:0xc8
	global_store_b32 v[4:5], v2, off
.LBB6_1519:
	s_mov_b32 s15, 0
.LBB6_1520:
	s_delay_alu instid0(SALU_CYCLE_1)
	s_and_not1_b32 vcc_lo, exec_lo, s15
	s_cbranch_vccnz .LBB6_1529
; %bb.1521:
	s_sext_i32_i16 s18, s17
	s_mov_b32 s15, -1
	s_cmp_lt_i32 s18, 6
	s_cbranch_scc1 .LBB6_1527
; %bb.1522:
	s_cmp_gt_i32 s18, 6
	s_cbranch_scc0 .LBB6_1524
; %bb.1523:
	s_mov_b32 s15, 0
	s_wait_loadcnt 0x0
	global_store_b64 v[4:5], v[0:1], off
.LBB6_1524:
	s_and_not1_b32 vcc_lo, exec_lo, s15
	s_cbranch_vccnz .LBB6_1526
; %bb.1525:
	s_wait_loadcnt 0x0
	v_cvt_f32_f64_e32 v2, v[0:1]
	global_store_b32 v[4:5], v2, off
.LBB6_1526:
	s_mov_b32 s15, 0
.LBB6_1527:
	s_delay_alu instid0(SALU_CYCLE_1)
	s_and_not1_b32 vcc_lo, exec_lo, s15
	s_cbranch_vccnz .LBB6_1529
; %bb.1528:
	s_wait_loadcnt 0x0
	v_and_or_b32 v2, 0x1ff, v1, v0
	v_lshrrev_b32_e32 v3, 8, v1
	v_bfe_u32 v6, v1, 20, 11
	s_delay_alu instid0(VALU_DEP_3) | instskip(NEXT) | instid1(VALU_DEP_2)
	v_cmp_ne_u32_e32 vcc_lo, 0, v2
	v_sub_nc_u32_e32 v7, 0x3f1, v6
	v_cndmask_b32_e64 v2, 0, 1, vcc_lo
	s_delay_alu instid0(VALU_DEP_1) | instskip(NEXT) | instid1(VALU_DEP_3)
	v_and_or_b32 v2, 0xffe, v3, v2
	v_med3_i32 v3, v7, 0, 13
	s_delay_alu instid0(VALU_DEP_2) | instskip(NEXT) | instid1(VALU_DEP_1)
	v_or_b32_e32 v7, 0x1000, v2
	v_lshrrev_b32_e32 v8, v3, v7
	s_delay_alu instid0(VALU_DEP_1) | instskip(NEXT) | instid1(VALU_DEP_1)
	v_lshlrev_b32_e32 v3, v3, v8
	v_cmp_ne_u32_e32 vcc_lo, v3, v7
	v_cndmask_b32_e64 v3, 0, 1, vcc_lo
	s_delay_alu instid0(VALU_DEP_1) | instskip(SKIP_1) | instid1(VALU_DEP_1)
	v_or_b32_e32 v3, v8, v3
	v_add_nc_u32_e32 v6, 0xfffffc10, v6
	v_lshl_or_b32 v7, v6, 12, v2
	v_cmp_gt_i32_e32 vcc_lo, 1, v6
	s_delay_alu instid0(VALU_DEP_2) | instskip(NEXT) | instid1(VALU_DEP_1)
	v_cndmask_b32_e32 v3, v7, v3, vcc_lo
	v_dual_lshrrev_b32 v3, 2, v3 :: v_dual_bitop2_b32 v7, 7, v3 bitop3:0x40
	s_delay_alu instid0(VALU_DEP_1) | instskip(SKIP_4) | instid1(VALU_DEP_2)
	v_cmp_lt_i32_e32 vcc_lo, 5, v7
	v_cndmask_b32_e64 v8, 0, 1, vcc_lo
	v_cmp_eq_u32_e32 vcc_lo, 3, v7
	v_cndmask_b32_e64 v7, 0, 1, vcc_lo
	v_cmp_ne_u32_e32 vcc_lo, 0, v2
	v_or_b32_e32 v7, v7, v8
	s_delay_alu instid0(VALU_DEP_1) | instskip(NEXT) | instid1(VALU_DEP_1)
	v_dual_mov_b32 v8, 0x7e00 :: v_dual_add_nc_u32 v3, v3, v7
	v_cndmask_b32_e32 v2, 0x7c00, v8, vcc_lo
	v_cmp_gt_i32_e32 vcc_lo, 31, v6
	s_delay_alu instid0(VALU_DEP_3) | instskip(SKIP_1) | instid1(VALU_DEP_2)
	v_cndmask_b32_e32 v3, 0x7c00, v3, vcc_lo
	v_cmp_eq_u32_e32 vcc_lo, 0x40f, v6
	v_dual_cndmask_b32 v2, v3, v2 :: v_dual_lshrrev_b32 v3, 16, v1
	s_delay_alu instid0(VALU_DEP_1)
	v_and_or_b32 v2, 0x8000, v3, v2
	global_store_b16 v[4:5], v2, off
.LBB6_1529:
	s_mov_b32 s15, 0
.LBB6_1530:
	s_delay_alu instid0(SALU_CYCLE_1)
	s_and_not1_b32 vcc_lo, exec_lo, s15
	s_cbranch_vccnz .LBB6_1546
; %bb.1531:
	s_sext_i32_i16 s18, s17
	s_mov_b32 s15, -1
	s_cmp_lt_i32 s18, 2
	s_cbranch_scc1 .LBB6_1541
; %bb.1532:
	s_cmp_lt_i32 s18, 3
	s_cbranch_scc1 .LBB6_1538
; %bb.1533:
	s_cmp_gt_i32 s18, 3
	s_cbranch_scc0 .LBB6_1535
; %bb.1534:
	s_wait_loadcnt 0x0
	v_trunc_f64_e32 v[2:3], v[0:1]
	s_mov_b32 s15, 0
	s_delay_alu instid0(VALU_DEP_1) | instskip(NEXT) | instid1(VALU_DEP_1)
	v_ldexp_f64 v[6:7], v[2:3], 0xffffffe0
	v_floor_f64_e32 v[6:7], v[6:7]
	s_delay_alu instid0(VALU_DEP_1) | instskip(SKIP_1) | instid1(VALU_DEP_2)
	v_fmamk_f64 v[2:3], v[6:7], 0xc1f00000, v[2:3]
	v_cvt_i32_f64_e32 v7, v[6:7]
	v_cvt_u32_f64_e32 v6, v[2:3]
	global_store_b64 v[4:5], v[6:7], off
.LBB6_1535:
	s_and_not1_b32 vcc_lo, exec_lo, s15
	s_cbranch_vccnz .LBB6_1537
; %bb.1536:
	s_wait_loadcnt 0x0
	v_cvt_i32_f64_e32 v2, v[0:1]
	global_store_b32 v[4:5], v2, off
.LBB6_1537:
	s_mov_b32 s15, 0
.LBB6_1538:
	s_delay_alu instid0(SALU_CYCLE_1)
	s_and_not1_b32 vcc_lo, exec_lo, s15
	s_cbranch_vccnz .LBB6_1540
; %bb.1539:
	s_wait_loadcnt 0x0
	v_cvt_i32_f64_e32 v2, v[0:1]
	global_store_b16 v[4:5], v2, off
.LBB6_1540:
	s_mov_b32 s15, 0
.LBB6_1541:
	s_delay_alu instid0(SALU_CYCLE_1)
	s_and_not1_b32 vcc_lo, exec_lo, s15
	s_cbranch_vccnz .LBB6_1546
; %bb.1542:
	s_sext_i32_i16 s15, s17
	s_delay_alu instid0(SALU_CYCLE_1)
	s_cmp_gt_i32 s15, 0
	s_mov_b32 s15, -1
	s_cbranch_scc0 .LBB6_1544
; %bb.1543:
	s_wait_loadcnt 0x0
	v_cvt_i32_f64_e32 v2, v[0:1]
	s_mov_b32 s15, 0
	global_store_b8 v[4:5], v2, off
.LBB6_1544:
	s_and_not1_b32 vcc_lo, exec_lo, s15
	s_cbranch_vccnz .LBB6_1546
; %bb.1545:
	s_wait_loadcnt 0x0
	v_trunc_f64_e32 v[0:1], v[0:1]
	s_delay_alu instid0(VALU_DEP_1) | instskip(NEXT) | instid1(VALU_DEP_1)
	v_ldexp_f64 v[2:3], v[0:1], 0xffffffe0
	v_floor_f64_e32 v[2:3], v[2:3]
	s_delay_alu instid0(VALU_DEP_1) | instskip(NEXT) | instid1(VALU_DEP_1)
	v_fmamk_f64 v[0:1], v[2:3], 0xc1f00000, v[0:1]
	v_cvt_u32_f64_e32 v0, v[0:1]
	global_store_b8 v[4:5], v0, off
.LBB6_1546:
	s_wait_xcnt 0x0
	s_or_b32 exec_lo, exec_lo, s0
	s_delay_alu instid0(SALU_CYCLE_1)
	s_and_b32 s15, s16, exec_lo
                                        ; implicit-def: $vgpr18
.LBB6_1547:
	s_or_saveexec_b32 s14, s14
	s_mov_b32 s0, 0
                                        ; implicit-def: $sgpr16
                                        ; implicit-def: $vgpr4_vgpr5
                                        ; implicit-def: $vgpr0_vgpr1
	s_xor_b32 exec_lo, exec_lo, s14
	s_cbranch_execz .LBB6_3025
; %bb.1548:
	s_wait_loadcnt 0x0
	v_mul_lo_u32 v4, s9, v18
	s_and_b32 s0, s13, 0xff
	s_delay_alu instid0(SALU_CYCLE_1) | instskip(NEXT) | instid1(VALU_DEP_1)
	s_cmp_lt_i32 s0, 11
	v_ashrrev_i32_e32 v5, 31, v4
	s_delay_alu instid0(VALU_DEP_1)
	v_add_nc_u64_e32 v[2:3], s[6:7], v[4:5]
	s_cbranch_scc1 .LBB6_1555
; %bb.1549:
	s_and_b32 s12, 0xffff, s0
	s_mov_b32 s16, 0
	s_cmp_gt_i32 s12, 25
	s_cbranch_scc0 .LBB6_1557
; %bb.1550:
	s_cmp_gt_i32 s12, 28
	s_cbranch_scc0 .LBB6_1558
; %bb.1551:
	;; [unrolled: 3-line block ×4, first 2 shown]
	s_cmp_eq_u32 s12, 46
	s_mov_b32 s18, 0
	s_cbranch_scc0 .LBB6_1563
; %bb.1554:
	global_load_b32 v0, v[2:3], off
	s_mov_b32 s13, 0
	s_mov_b32 s17, -1
	s_wait_loadcnt 0x0
	v_lshlrev_b32_e32 v0, 16, v0
	s_delay_alu instid0(VALU_DEP_1)
	v_cvt_f64_f32_e32 v[0:1], v0
	s_branch .LBB6_1565
.LBB6_1555:
	s_mov_b32 s17, 0
	s_mov_b32 s12, s15
                                        ; implicit-def: $vgpr0_vgpr1
	s_cbranch_execnz .LBB6_1628
.LBB6_1556:
	s_and_not1_b32 vcc_lo, exec_lo, s17
                                        ; implicit-def: $vgpr2_vgpr3
	s_cbranch_vccz .LBB6_1673
	s_branch .LBB6_3023
.LBB6_1557:
	s_mov_b32 s17, 0
	s_mov_b32 s13, 0
                                        ; implicit-def: $vgpr0_vgpr1
	s_cbranch_execnz .LBB6_1593
	s_branch .LBB6_1624
.LBB6_1558:
	s_mov_b32 s18, -1
	s_mov_b32 s17, 0
	s_mov_b32 s13, 0
                                        ; implicit-def: $vgpr0_vgpr1
	s_branch .LBB6_1574
.LBB6_1559:
	s_mov_b32 s17, 0
	s_mov_b32 s13, 0
                                        ; implicit-def: $vgpr0_vgpr1
	s_cbranch_execnz .LBB6_1570
	s_branch .LBB6_1573
.LBB6_1560:
	s_mov_b32 s18, -1
	s_mov_b32 s17, 0
	s_mov_b32 s13, 0
	s_branch .LBB6_1564
.LBB6_1561:
	s_and_not1_saveexec_b32 s22, s22
	s_cbranch_execz .LBB6_1460
.LBB6_1562:
	v_add_f32_e64 v3, 0x46000000, |v2|
	s_and_not1_b32 s21, s21, exec_lo
	s_delay_alu instid0(VALU_DEP_1) | instskip(NEXT) | instid1(VALU_DEP_1)
	v_and_b32_e32 v3, 0xff, v3
	v_cmp_ne_u32_e32 vcc_lo, 0, v3
	s_and_b32 s23, vcc_lo, exec_lo
	s_delay_alu instid0(SALU_CYCLE_1)
	s_or_b32 s21, s21, s23
	s_or_b32 exec_lo, exec_lo, s22
	v_mov_b32_e32 v6, 0
	s_and_saveexec_b32 s22, s21
	s_cbranch_execnz .LBB6_1461
	s_branch .LBB6_1462
.LBB6_1563:
	s_mov_b32 s13, -1
	s_mov_b32 s17, 0
.LBB6_1564:
                                        ; implicit-def: $vgpr0_vgpr1
.LBB6_1565:
	s_and_b32 vcc_lo, exec_lo, s18
	s_cbranch_vccz .LBB6_1568
; %bb.1566:
	s_cmp_eq_u32 s12, 44
	s_cbranch_scc0 .LBB6_1569
; %bb.1567:
	global_load_u8 v5, v[2:3], off
	s_mov_b32 s13, 0
	s_mov_b32 s17, -1
	s_wait_loadcnt 0x0
	v_lshlrev_b32_e32 v0, 23, v5
	v_cmp_ne_u32_e32 vcc_lo, 0xff, v5
	s_delay_alu instid0(VALU_DEP_2) | instskip(NEXT) | instid1(VALU_DEP_1)
	v_cvt_f64_f32_e32 v[0:1], v0
	v_cndmask_b32_e32 v0, 0x20000000, v0, vcc_lo
	s_delay_alu instid0(VALU_DEP_2) | instskip(SKIP_1) | instid1(VALU_DEP_2)
	v_cndmask_b32_e32 v1, 0x7ff80000, v1, vcc_lo
	v_cmp_ne_u32_e32 vcc_lo, 0, v5
	v_cndmask_b32_e32 v1, 0x38000000, v1, vcc_lo
	s_delay_alu instid0(VALU_DEP_4)
	v_cndmask_b32_e32 v0, 0, v0, vcc_lo
.LBB6_1568:
	s_branch .LBB6_1573
.LBB6_1569:
	s_mov_b32 s13, -1
                                        ; implicit-def: $vgpr0_vgpr1
	s_branch .LBB6_1573
.LBB6_1570:
	s_cmp_eq_u32 s12, 29
	s_cbranch_scc0 .LBB6_1572
; %bb.1571:
	global_load_b64 v[0:1], v[2:3], off
	s_mov_b32 s13, 0
	s_mov_b32 s17, -1
	s_mov_b32 s18, 0
	s_wait_loadcnt 0x0
	v_cvt_f64_u32_e32 v[6:7], v1
	v_cvt_f64_u32_e32 v[0:1], v0
	s_delay_alu instid0(VALU_DEP_2) | instskip(NEXT) | instid1(VALU_DEP_1)
	v_ldexp_f64 v[6:7], v[6:7], 32
	v_add_f64_e32 v[0:1], v[6:7], v[0:1]
	s_branch .LBB6_1574
.LBB6_1572:
	s_mov_b32 s13, -1
                                        ; implicit-def: $vgpr0_vgpr1
.LBB6_1573:
	s_mov_b32 s18, 0
.LBB6_1574:
	s_delay_alu instid0(SALU_CYCLE_1)
	s_and_b32 vcc_lo, exec_lo, s18
	s_cbranch_vccz .LBB6_1592
; %bb.1575:
	s_cmp_lt_i32 s12, 27
	s_cbranch_scc1 .LBB6_1578
; %bb.1576:
	s_cmp_gt_i32 s12, 27
	s_cbranch_scc0 .LBB6_1579
; %bb.1577:
	global_load_b32 v0, v[2:3], off
	s_mov_b32 s17, 0
	s_wait_loadcnt 0x0
	v_cvt_f64_u32_e32 v[0:1], v0
	s_branch .LBB6_1580
.LBB6_1578:
	s_mov_b32 s17, -1
                                        ; implicit-def: $vgpr0_vgpr1
	s_branch .LBB6_1583
.LBB6_1579:
	s_mov_b32 s17, -1
                                        ; implicit-def: $vgpr0_vgpr1
.LBB6_1580:
	s_delay_alu instid0(SALU_CYCLE_1)
	s_and_not1_b32 vcc_lo, exec_lo, s17
	s_cbranch_vccnz .LBB6_1582
; %bb.1581:
	global_load_u16 v0, v[2:3], off
	s_wait_loadcnt 0x0
	v_cvt_f64_u32_e32 v[0:1], v0
.LBB6_1582:
	s_mov_b32 s17, 0
.LBB6_1583:
	s_delay_alu instid0(SALU_CYCLE_1)
	s_and_not1_b32 vcc_lo, exec_lo, s17
	s_cbranch_vccnz .LBB6_1591
; %bb.1584:
	global_load_u8 v5, v[2:3], off
	s_mov_b32 s17, 0
	s_mov_b32 s18, exec_lo
	s_wait_loadcnt 0x0
	v_cmpx_lt_i16_e32 0x7f, v5
	s_xor_b32 s18, exec_lo, s18
	s_cbranch_execz .LBB6_1604
; %bb.1585:
	s_mov_b32 s17, -1
	s_mov_b32 s19, exec_lo
	v_cmpx_eq_u16_e32 0x80, v5
; %bb.1586:
	s_xor_b32 s17, exec_lo, -1
; %bb.1587:
	s_or_b32 exec_lo, exec_lo, s19
	s_delay_alu instid0(SALU_CYCLE_1)
	s_and_b32 s17, s17, exec_lo
	s_or_saveexec_b32 s18, s18
	v_mov_b64_e32 v[0:1], 0x7ff8000020000000
	s_xor_b32 exec_lo, exec_lo, s18
	s_cbranch_execnz .LBB6_1605
.LBB6_1588:
	s_or_b32 exec_lo, exec_lo, s18
	s_and_saveexec_b32 s18, s17
	s_cbranch_execz .LBB6_1590
.LBB6_1589:
	v_and_b32_e32 v0, 0xffff, v5
	s_delay_alu instid0(VALU_DEP_1) | instskip(SKIP_1) | instid1(VALU_DEP_2)
	v_and_b32_e32 v1, 7, v0
	v_bfe_u32 v8, v0, 3, 4
	v_clz_i32_u32_e32 v6, v1
	s_delay_alu instid0(VALU_DEP_2) | instskip(NEXT) | instid1(VALU_DEP_2)
	v_cmp_eq_u32_e32 vcc_lo, 0, v8
	v_min_u32_e32 v6, 32, v6
	s_delay_alu instid0(VALU_DEP_1) | instskip(NEXT) | instid1(VALU_DEP_1)
	v_subrev_nc_u32_e32 v7, 28, v6
	v_dual_lshlrev_b32 v0, v7, v0 :: v_dual_sub_nc_u32 v6, 29, v6
	s_delay_alu instid0(VALU_DEP_1) | instskip(NEXT) | instid1(VALU_DEP_1)
	v_dual_lshlrev_b32 v5, 24, v5 :: v_dual_bitop2_b32 v0, 7, v0 bitop3:0x40
	v_dual_cndmask_b32 v6, v8, v6, vcc_lo :: v_dual_cndmask_b32 v0, v1, v0, vcc_lo
	s_delay_alu instid0(VALU_DEP_2) | instskip(NEXT) | instid1(VALU_DEP_2)
	v_and_b32_e32 v1, 0x80000000, v5
	v_lshl_add_u32 v5, v6, 23, 0x3b800000
	s_delay_alu instid0(VALU_DEP_3) | instskip(NEXT) | instid1(VALU_DEP_1)
	v_lshlrev_b32_e32 v0, 20, v0
	v_or3_b32 v0, v1, v5, v0
	s_delay_alu instid0(VALU_DEP_1)
	v_cvt_f64_f32_e32 v[0:1], v0
.LBB6_1590:
	s_or_b32 exec_lo, exec_lo, s18
.LBB6_1591:
	s_mov_b32 s17, -1
.LBB6_1592:
	s_branch .LBB6_1624
.LBB6_1593:
	s_cmp_gt_i32 s12, 22
	s_cbranch_scc0 .LBB6_1603
; %bb.1594:
	s_cmp_lt_i32 s12, 24
	s_cbranch_scc1 .LBB6_1606
; %bb.1595:
	s_cmp_gt_i32 s12, 24
	s_cbranch_scc0 .LBB6_1607
; %bb.1596:
	global_load_u8 v5, v[2:3], off
	s_mov_b32 s17, exec_lo
	s_wait_loadcnt 0x0
	v_cmpx_lt_i16_e32 0x7f, v5
	s_xor_b32 s17, exec_lo, s17
	s_cbranch_execz .LBB6_1618
; %bb.1597:
	s_mov_b32 s16, -1
	s_mov_b32 s18, exec_lo
	v_cmpx_eq_u16_e32 0x80, v5
; %bb.1598:
	s_xor_b32 s16, exec_lo, -1
; %bb.1599:
	s_or_b32 exec_lo, exec_lo, s18
	s_delay_alu instid0(SALU_CYCLE_1)
	s_and_b32 s16, s16, exec_lo
	s_or_saveexec_b32 s17, s17
	v_mov_b64_e32 v[0:1], 0x7ff8000020000000
	s_xor_b32 exec_lo, exec_lo, s17
	s_cbranch_execnz .LBB6_1619
.LBB6_1600:
	s_or_b32 exec_lo, exec_lo, s17
	s_and_saveexec_b32 s17, s16
	s_cbranch_execz .LBB6_1602
.LBB6_1601:
	v_and_b32_e32 v0, 0xffff, v5
	s_delay_alu instid0(VALU_DEP_1) | instskip(SKIP_1) | instid1(VALU_DEP_2)
	v_and_b32_e32 v1, 3, v0
	v_bfe_u32 v8, v0, 2, 5
	v_clz_i32_u32_e32 v6, v1
	s_delay_alu instid0(VALU_DEP_2) | instskip(NEXT) | instid1(VALU_DEP_2)
	v_cmp_eq_u32_e32 vcc_lo, 0, v8
	v_min_u32_e32 v6, 32, v6
	s_delay_alu instid0(VALU_DEP_1) | instskip(NEXT) | instid1(VALU_DEP_1)
	v_subrev_nc_u32_e32 v7, 29, v6
	v_dual_lshlrev_b32 v0, v7, v0 :: v_dual_sub_nc_u32 v6, 30, v6
	s_delay_alu instid0(VALU_DEP_1) | instskip(NEXT) | instid1(VALU_DEP_1)
	v_dual_lshlrev_b32 v5, 24, v5 :: v_dual_bitop2_b32 v0, 3, v0 bitop3:0x40
	v_dual_cndmask_b32 v6, v8, v6, vcc_lo :: v_dual_cndmask_b32 v0, v1, v0, vcc_lo
	s_delay_alu instid0(VALU_DEP_2) | instskip(NEXT) | instid1(VALU_DEP_2)
	v_and_b32_e32 v1, 0x80000000, v5
	v_lshl_add_u32 v5, v6, 23, 0x37800000
	s_delay_alu instid0(VALU_DEP_3) | instskip(NEXT) | instid1(VALU_DEP_1)
	v_lshlrev_b32_e32 v0, 21, v0
	v_or3_b32 v0, v1, v5, v0
	s_delay_alu instid0(VALU_DEP_1)
	v_cvt_f64_f32_e32 v[0:1], v0
.LBB6_1602:
	s_or_b32 exec_lo, exec_lo, s17
	s_mov_b32 s16, 0
	s_branch .LBB6_1608
.LBB6_1603:
                                        ; implicit-def: $vgpr0_vgpr1
	s_mov_b32 s16, 0
	s_branch .LBB6_1614
.LBB6_1604:
	s_or_saveexec_b32 s18, s18
	v_mov_b64_e32 v[0:1], 0x7ff8000020000000
	s_xor_b32 exec_lo, exec_lo, s18
	s_cbranch_execz .LBB6_1588
.LBB6_1605:
	v_cmp_ne_u16_e32 vcc_lo, 0, v5
	v_mov_b64_e32 v[0:1], 0
	s_and_not1_b32 s17, s17, exec_lo
	s_and_b32 s19, vcc_lo, exec_lo
	s_delay_alu instid0(SALU_CYCLE_1)
	s_or_b32 s17, s17, s19
	s_or_b32 exec_lo, exec_lo, s18
	s_and_saveexec_b32 s18, s17
	s_cbranch_execnz .LBB6_1589
	s_branch .LBB6_1590
.LBB6_1606:
	s_mov_b32 s16, -1
                                        ; implicit-def: $vgpr0_vgpr1
	s_branch .LBB6_1611
.LBB6_1607:
	s_mov_b32 s16, -1
                                        ; implicit-def: $vgpr0_vgpr1
.LBB6_1608:
	s_delay_alu instid0(SALU_CYCLE_1)
	s_and_b32 vcc_lo, exec_lo, s16
	s_cbranch_vccz .LBB6_1610
; %bb.1609:
	global_load_u8 v0, v[2:3], off
	s_wait_loadcnt 0x0
	v_lshlrev_b32_e32 v0, 24, v0
	s_delay_alu instid0(VALU_DEP_1) | instskip(NEXT) | instid1(VALU_DEP_1)
	v_and_b32_e32 v1, 0x7f000000, v0
	v_clz_i32_u32_e32 v5, v1
	v_add_nc_u32_e32 v7, 0x1000000, v1
	v_cmp_ne_u32_e32 vcc_lo, 0, v1
	s_delay_alu instid0(VALU_DEP_3) | instskip(NEXT) | instid1(VALU_DEP_1)
	v_min_u32_e32 v5, 32, v5
	v_sub_nc_u32_e64 v5, v5, 4 clamp
	s_delay_alu instid0(VALU_DEP_1) | instskip(NEXT) | instid1(VALU_DEP_1)
	v_lshlrev_b32_e32 v6, v5, v1
	v_dual_lshlrev_b32 v5, 23, v5 :: v_dual_lshrrev_b32 v6, 4, v6
	s_delay_alu instid0(VALU_DEP_1) | instskip(NEXT) | instid1(VALU_DEP_1)
	v_dual_sub_nc_u32 v5, v6, v5 :: v_dual_ashrrev_i32 v6, 8, v7
	v_add_nc_u32_e32 v5, 0x3c000000, v5
	s_delay_alu instid0(VALU_DEP_1) | instskip(NEXT) | instid1(VALU_DEP_1)
	v_and_or_b32 v5, 0x7f800000, v6, v5
	v_cndmask_b32_e32 v1, 0, v5, vcc_lo
	s_delay_alu instid0(VALU_DEP_1) | instskip(NEXT) | instid1(VALU_DEP_1)
	v_and_or_b32 v0, 0x80000000, v0, v1
	v_cvt_f64_f32_e32 v[0:1], v0
.LBB6_1610:
	s_mov_b32 s16, 0
.LBB6_1611:
	s_delay_alu instid0(SALU_CYCLE_1)
	s_and_not1_b32 vcc_lo, exec_lo, s16
	s_cbranch_vccnz .LBB6_1613
; %bb.1612:
	global_load_u8 v0, v[2:3], off
	s_wait_loadcnt 0x0
	v_lshlrev_b32_e32 v1, 25, v0
	v_lshlrev_b16 v0, 8, v0
	s_delay_alu instid0(VALU_DEP_1) | instskip(SKIP_1) | instid1(VALU_DEP_2)
	v_and_or_b32 v6, 0x7f00, v0, 0.5
	v_bfe_i32 v0, v0, 0, 16
	v_dual_add_f32 v6, -0.5, v6 :: v_dual_lshrrev_b32 v5, 4, v1
	v_cmp_gt_u32_e32 vcc_lo, 0x8000000, v1
	s_delay_alu instid0(VALU_DEP_2) | instskip(NEXT) | instid1(VALU_DEP_1)
	v_or_b32_e32 v5, 0x70000000, v5
	v_mul_f32_e32 v5, 0x7800000, v5
	s_delay_alu instid0(VALU_DEP_1) | instskip(NEXT) | instid1(VALU_DEP_1)
	v_cndmask_b32_e32 v1, v5, v6, vcc_lo
	v_and_or_b32 v0, 0x80000000, v0, v1
	s_delay_alu instid0(VALU_DEP_1)
	v_cvt_f64_f32_e32 v[0:1], v0
.LBB6_1613:
	s_mov_b32 s17, -1
	s_mov_b32 s16, 0
	s_cbranch_execnz .LBB6_1624
.LBB6_1614:
	s_cmp_gt_i32 s12, 14
	s_cbranch_scc0 .LBB6_1617
; %bb.1615:
	s_cmp_eq_u32 s12, 15
	s_cbranch_scc0 .LBB6_1620
; %bb.1616:
	global_load_u16 v0, v[2:3], off
	s_mov_b32 s13, 0
	s_mov_b32 s17, -1
	s_wait_loadcnt 0x0
	v_lshlrev_b32_e32 v0, 16, v0
	s_delay_alu instid0(VALU_DEP_1)
	v_cvt_f64_f32_e32 v[0:1], v0
	s_branch .LBB6_1622
.LBB6_1617:
	s_mov_b32 s16, -1
	s_branch .LBB6_1621
.LBB6_1618:
	s_or_saveexec_b32 s17, s17
	v_mov_b64_e32 v[0:1], 0x7ff8000020000000
	s_xor_b32 exec_lo, exec_lo, s17
	s_cbranch_execz .LBB6_1600
.LBB6_1619:
	v_cmp_ne_u16_e32 vcc_lo, 0, v5
	v_mov_b64_e32 v[0:1], 0
	s_and_not1_b32 s16, s16, exec_lo
	s_and_b32 s18, vcc_lo, exec_lo
	s_delay_alu instid0(SALU_CYCLE_1)
	s_or_b32 s16, s16, s18
	s_or_b32 exec_lo, exec_lo, s17
	s_and_saveexec_b32 s17, s16
	s_cbranch_execnz .LBB6_1601
	s_branch .LBB6_1602
.LBB6_1620:
	s_mov_b32 s13, -1
.LBB6_1621:
                                        ; implicit-def: $vgpr0_vgpr1
.LBB6_1622:
	s_and_b32 vcc_lo, exec_lo, s16
	s_mov_b32 s16, 0
	s_cbranch_vccz .LBB6_1624
; %bb.1623:
	s_cmp_lg_u32 s12, 11
	s_mov_b32 s16, -1
	s_cselect_b32 s13, -1, 0
.LBB6_1624:
	s_delay_alu instid0(SALU_CYCLE_1)
	s_and_b32 vcc_lo, exec_lo, s13
	s_mov_b32 s12, s15
	s_cbranch_vccnz .LBB6_1685
; %bb.1625:
	s_and_not1_b32 vcc_lo, exec_lo, s16
	s_cbranch_vccnz .LBB6_1627
.LBB6_1626:
	global_load_u8 v0, v[2:3], off
	s_mov_b32 s17, -1
	s_wait_loadcnt 0x0
	v_cmp_ne_u16_e32 vcc_lo, 0, v0
	v_mov_b32_e32 v0, 0
	v_cndmask_b32_e64 v1, 0, 0x3ff00000, vcc_lo
.LBB6_1627:
	s_branch .LBB6_1556
.LBB6_1628:
	s_and_b32 s13, 0xffff, s0
	s_delay_alu instid0(SALU_CYCLE_1)
	s_cmp_lt_i32 s13, 5
	s_cbranch_scc1 .LBB6_1633
; %bb.1629:
	s_cmp_lt_i32 s13, 8
	s_cbranch_scc1 .LBB6_1634
; %bb.1630:
	;; [unrolled: 3-line block ×3, first 2 shown]
	s_cmp_gt_i32 s13, 9
	s_cbranch_scc0 .LBB6_1636
; %bb.1632:
	global_load_b64 v[0:1], v[2:3], off
	s_mov_b32 s16, 0
	s_branch .LBB6_1637
.LBB6_1633:
                                        ; implicit-def: $vgpr0_vgpr1
	s_branch .LBB6_1654
.LBB6_1634:
                                        ; implicit-def: $vgpr0_vgpr1
	s_branch .LBB6_1643
.LBB6_1635:
	s_mov_b32 s16, -1
                                        ; implicit-def: $vgpr0_vgpr1
	s_branch .LBB6_1640
.LBB6_1636:
	s_mov_b32 s16, -1
                                        ; implicit-def: $vgpr0_vgpr1
.LBB6_1637:
	s_delay_alu instid0(SALU_CYCLE_1)
	s_and_not1_b32 vcc_lo, exec_lo, s16
	s_cbranch_vccnz .LBB6_1639
; %bb.1638:
	s_wait_loadcnt 0x0
	global_load_b32 v0, v[2:3], off
	s_wait_loadcnt 0x0
	v_cvt_f64_f32_e32 v[0:1], v0
.LBB6_1639:
	s_mov_b32 s16, 0
.LBB6_1640:
	s_delay_alu instid0(SALU_CYCLE_1)
	s_and_not1_b32 vcc_lo, exec_lo, s16
	s_cbranch_vccnz .LBB6_1642
; %bb.1641:
	s_wait_loadcnt 0x0
	global_load_b32 v0, v[2:3], off
	s_wait_loadcnt 0x0
	v_cvt_f32_f16_e32 v0, v0
	s_delay_alu instid0(VALU_DEP_1)
	v_cvt_f64_f32_e32 v[0:1], v0
.LBB6_1642:
	s_cbranch_execnz .LBB6_1653
.LBB6_1643:
	s_cmp_lt_i32 s13, 6
	s_cbranch_scc1 .LBB6_1646
; %bb.1644:
	s_cmp_gt_i32 s13, 6
	s_cbranch_scc0 .LBB6_1647
; %bb.1645:
	s_wait_loadcnt 0x0
	global_load_b64 v[0:1], v[2:3], off
	s_mov_b32 s16, 0
	s_branch .LBB6_1648
.LBB6_1646:
	s_mov_b32 s16, -1
                                        ; implicit-def: $vgpr0_vgpr1
	s_branch .LBB6_1651
.LBB6_1647:
	s_mov_b32 s16, -1
                                        ; implicit-def: $vgpr0_vgpr1
.LBB6_1648:
	s_delay_alu instid0(SALU_CYCLE_1)
	s_and_not1_b32 vcc_lo, exec_lo, s16
	s_cbranch_vccnz .LBB6_1650
; %bb.1649:
	s_wait_loadcnt 0x0
	global_load_b32 v0, v[2:3], off
	s_wait_loadcnt 0x0
	v_cvt_f64_f32_e32 v[0:1], v0
.LBB6_1650:
	s_mov_b32 s16, 0
.LBB6_1651:
	s_delay_alu instid0(SALU_CYCLE_1)
	s_and_not1_b32 vcc_lo, exec_lo, s16
	s_cbranch_vccnz .LBB6_1653
; %bb.1652:
	s_wait_loadcnt 0x0
	global_load_u16 v0, v[2:3], off
	s_wait_loadcnt 0x0
	v_cvt_f32_f16_e32 v0, v0
	s_delay_alu instid0(VALU_DEP_1)
	v_cvt_f64_f32_e32 v[0:1], v0
.LBB6_1653:
	s_cbranch_execnz .LBB6_1672
.LBB6_1654:
	s_cmp_lt_i32 s13, 2
	s_cbranch_scc1 .LBB6_1658
; %bb.1655:
	s_cmp_lt_i32 s13, 3
	s_cbranch_scc1 .LBB6_1659
; %bb.1656:
	s_cmp_gt_i32 s13, 3
	s_cbranch_scc0 .LBB6_1660
; %bb.1657:
	s_wait_loadcnt 0x0
	global_load_b64 v[0:1], v[2:3], off
	s_mov_b32 s16, 0
	s_wait_loadcnt 0x0
	v_cvt_f64_i32_e32 v[6:7], v1
	v_cvt_f64_u32_e32 v[0:1], v0
	s_delay_alu instid0(VALU_DEP_2) | instskip(NEXT) | instid1(VALU_DEP_1)
	v_ldexp_f64 v[6:7], v[6:7], 32
	v_add_f64_e32 v[0:1], v[6:7], v[0:1]
	s_branch .LBB6_1661
.LBB6_1658:
                                        ; implicit-def: $vgpr0_vgpr1
	s_branch .LBB6_1667
.LBB6_1659:
	s_mov_b32 s16, -1
                                        ; implicit-def: $vgpr0_vgpr1
	s_branch .LBB6_1664
.LBB6_1660:
	s_mov_b32 s16, -1
                                        ; implicit-def: $vgpr0_vgpr1
.LBB6_1661:
	s_delay_alu instid0(SALU_CYCLE_1)
	s_and_not1_b32 vcc_lo, exec_lo, s16
	s_cbranch_vccnz .LBB6_1663
; %bb.1662:
	s_wait_loadcnt 0x0
	global_load_b32 v0, v[2:3], off
	s_wait_loadcnt 0x0
	v_cvt_f64_i32_e32 v[0:1], v0
.LBB6_1663:
	s_mov_b32 s16, 0
.LBB6_1664:
	s_delay_alu instid0(SALU_CYCLE_1)
	s_and_not1_b32 vcc_lo, exec_lo, s16
	s_cbranch_vccnz .LBB6_1666
; %bb.1665:
	s_wait_loadcnt 0x0
	global_load_i16 v0, v[2:3], off
	s_wait_loadcnt 0x0
	v_cvt_f64_i32_e32 v[0:1], v0
.LBB6_1666:
	s_cbranch_execnz .LBB6_1672
.LBB6_1667:
	s_cmp_gt_i32 s13, 0
	s_mov_b32 s13, 0
	s_cbranch_scc0 .LBB6_1669
; %bb.1668:
	s_wait_loadcnt 0x0
	global_load_i8 v0, v[2:3], off
	s_wait_loadcnt 0x0
	v_cvt_f64_i32_e32 v[0:1], v0
	s_branch .LBB6_1670
.LBB6_1669:
	s_mov_b32 s13, -1
                                        ; implicit-def: $vgpr0_vgpr1
.LBB6_1670:
	s_delay_alu instid0(SALU_CYCLE_1)
	s_and_not1_b32 vcc_lo, exec_lo, s13
	s_cbranch_vccnz .LBB6_1672
; %bb.1671:
	s_wait_loadcnt 0x0
	global_load_u8 v0, v[2:3], off
	s_wait_loadcnt 0x0
	v_cvt_f64_u32_e32 v[0:1], v0
.LBB6_1672:
                                        ; implicit-def: $vgpr2_vgpr3
.LBB6_1673:
	v_mul_lo_u32 v6, s10, v18
	s_and_b32 s1, s1, 0xff
	s_delay_alu instid0(SALU_CYCLE_1) | instskip(NEXT) | instid1(VALU_DEP_1)
	s_cmp_lt_i32 s1, 11
	v_ashrrev_i32_e32 v7, 31, v6
	s_delay_alu instid0(VALU_DEP_1)
	v_add_nc_u64_e32 v[8:9], s[2:3], v[6:7]
	s_cbranch_scc1 .LBB6_1680
; %bb.1674:
	s_and_b32 s13, 0xffff, s1
	s_mov_b32 s17, 0
	s_cmp_gt_i32 s13, 25
	s_cbranch_scc0 .LBB6_1682
; %bb.1675:
	s_cmp_gt_i32 s13, 28
	s_cbranch_scc0 .LBB6_1683
; %bb.1676:
	;; [unrolled: 3-line block ×4, first 2 shown]
	s_cmp_eq_u32 s13, 46
	s_mov_b32 s19, 0
	s_cbranch_scc0 .LBB6_1689
; %bb.1679:
	global_load_b32 v2, v[8:9], off
	s_mov_b32 s16, 0
	s_mov_b32 s18, -1
	s_wait_loadcnt 0x0
	v_lshlrev_b32_e32 v2, 16, v2
	s_delay_alu instid0(VALU_DEP_1)
	v_cvt_f64_f32_e32 v[2:3], v2
	s_branch .LBB6_1691
.LBB6_1680:
	s_mov_b32 s18, 0
                                        ; implicit-def: $vgpr2_vgpr3
	s_cbranch_execnz .LBB6_1756
.LBB6_1681:
	s_and_not1_b32 vcc_lo, exec_lo, s18
	s_cbranch_vccnz .LBB6_3023
	s_branch .LBB6_1803
.LBB6_1682:
	s_mov_b32 s18, 0
	s_mov_b32 s16, 0
                                        ; implicit-def: $vgpr2_vgpr3
	s_cbranch_execnz .LBB6_1720
	s_branch .LBB6_1752
.LBB6_1683:
	s_mov_b32 s19, -1
	s_mov_b32 s18, 0
	s_mov_b32 s16, 0
                                        ; implicit-def: $vgpr2_vgpr3
	s_branch .LBB6_1701
.LBB6_1684:
	s_mov_b32 s19, -1
	s_mov_b32 s18, 0
	s_mov_b32 s16, 0
                                        ; implicit-def: $vgpr2_vgpr3
	s_branch .LBB6_1696
.LBB6_1685:
	s_or_b32 s12, s15, exec_lo
	s_trap 2
	s_cbranch_execz .LBB6_1626
	s_branch .LBB6_1627
.LBB6_1686:
	s_mov_b32 s19, -1
	s_mov_b32 s18, 0
	s_mov_b32 s16, 0
	s_branch .LBB6_1690
.LBB6_1687:
	s_and_not1_saveexec_b32 s23, s23
	s_cbranch_execz .LBB6_1472
.LBB6_1688:
	v_add_f32_e64 v3, 0x42800000, |v2|
	s_and_not1_b32 s22, s22, exec_lo
	s_delay_alu instid0(VALU_DEP_1) | instskip(NEXT) | instid1(VALU_DEP_1)
	v_and_b32_e32 v3, 0xff, v3
	v_cmp_ne_u32_e32 vcc_lo, 0, v3
	s_and_b32 s24, vcc_lo, exec_lo
	s_delay_alu instid0(SALU_CYCLE_1)
	s_or_b32 s22, s22, s24
	s_or_b32 exec_lo, exec_lo, s23
	v_mov_b32_e32 v6, 0
	s_and_saveexec_b32 s23, s22
	s_cbranch_execnz .LBB6_1473
	s_branch .LBB6_1474
.LBB6_1689:
	s_mov_b32 s16, -1
	s_mov_b32 s18, 0
.LBB6_1690:
                                        ; implicit-def: $vgpr2_vgpr3
.LBB6_1691:
	s_and_b32 vcc_lo, exec_lo, s19
	s_cbranch_vccz .LBB6_1695
; %bb.1692:
	s_cmp_eq_u32 s13, 44
	s_cbranch_scc0 .LBB6_1694
; %bb.1693:
	global_load_u8 v5, v[8:9], off
	s_mov_b32 s16, 0
	s_mov_b32 s18, -1
	s_wait_loadcnt 0x0
	v_cmp_ne_u32_e32 vcc_lo, 0xff, v5
	s_wait_xcnt 0x1
	v_lshlrev_b32_e32 v2, 23, v5
	s_delay_alu instid0(VALU_DEP_1) | instskip(NEXT) | instid1(VALU_DEP_1)
	v_cvt_f64_f32_e32 v[2:3], v2
	v_cndmask_b32_e32 v2, 0x20000000, v2, vcc_lo
	s_delay_alu instid0(VALU_DEP_2) | instskip(SKIP_1) | instid1(VALU_DEP_2)
	v_cndmask_b32_e32 v3, 0x7ff80000, v3, vcc_lo
	v_cmp_ne_u32_e32 vcc_lo, 0, v5
	v_cndmask_b32_e32 v3, 0x38000000, v3, vcc_lo
	s_delay_alu instid0(VALU_DEP_4)
	v_cndmask_b32_e32 v2, 0, v2, vcc_lo
	s_branch .LBB6_1695
.LBB6_1694:
	s_mov_b32 s16, -1
                                        ; implicit-def: $vgpr2_vgpr3
.LBB6_1695:
	s_mov_b32 s19, 0
.LBB6_1696:
	s_delay_alu instid0(SALU_CYCLE_1)
	s_and_b32 vcc_lo, exec_lo, s19
	s_cbranch_vccz .LBB6_1700
; %bb.1697:
	s_cmp_eq_u32 s13, 29
	s_cbranch_scc0 .LBB6_1699
; %bb.1698:
	global_load_b64 v[2:3], v[8:9], off
	s_mov_b32 s16, 0
	s_mov_b32 s18, -1
	s_mov_b32 s19, 0
	s_wait_loadcnt 0x0
	v_cvt_f64_u32_e32 v[10:11], v3
	v_cvt_f64_u32_e32 v[2:3], v2
	s_delay_alu instid0(VALU_DEP_2) | instskip(NEXT) | instid1(VALU_DEP_1)
	v_ldexp_f64 v[10:11], v[10:11], 32
	v_add_f64_e32 v[2:3], v[10:11], v[2:3]
	s_branch .LBB6_1701
.LBB6_1699:
	s_mov_b32 s16, -1
                                        ; implicit-def: $vgpr2_vgpr3
.LBB6_1700:
	s_mov_b32 s19, 0
.LBB6_1701:
	s_delay_alu instid0(SALU_CYCLE_1)
	s_and_b32 vcc_lo, exec_lo, s19
	s_cbranch_vccz .LBB6_1719
; %bb.1702:
	s_cmp_lt_i32 s13, 27
	s_cbranch_scc1 .LBB6_1705
; %bb.1703:
	s_cmp_gt_i32 s13, 27
	s_cbranch_scc0 .LBB6_1706
; %bb.1704:
	global_load_b32 v2, v[8:9], off
	s_mov_b32 s18, 0
	s_wait_loadcnt 0x0
	v_cvt_f64_u32_e32 v[2:3], v2
	s_branch .LBB6_1707
.LBB6_1705:
	s_mov_b32 s18, -1
                                        ; implicit-def: $vgpr2_vgpr3
	s_branch .LBB6_1710
.LBB6_1706:
	s_mov_b32 s18, -1
                                        ; implicit-def: $vgpr2_vgpr3
.LBB6_1707:
	s_delay_alu instid0(SALU_CYCLE_1)
	s_and_not1_b32 vcc_lo, exec_lo, s18
	s_cbranch_vccnz .LBB6_1709
; %bb.1708:
	global_load_u16 v2, v[8:9], off
	s_wait_loadcnt 0x0
	v_cvt_f64_u32_e32 v[2:3], v2
.LBB6_1709:
	s_mov_b32 s18, 0
.LBB6_1710:
	s_delay_alu instid0(SALU_CYCLE_1)
	s_and_not1_b32 vcc_lo, exec_lo, s18
	s_cbranch_vccnz .LBB6_1718
; %bb.1711:
	global_load_u8 v5, v[8:9], off
	s_mov_b32 s18, 0
	s_mov_b32 s19, exec_lo
	s_wait_loadcnt 0x0
	v_cmpx_lt_i16_e32 0x7f, v5
	s_xor_b32 s19, exec_lo, s19
	s_cbranch_execz .LBB6_1731
; %bb.1712:
	s_mov_b32 s18, -1
	s_mov_b32 s20, exec_lo
	v_cmpx_eq_u16_e32 0x80, v5
; %bb.1713:
	s_xor_b32 s18, exec_lo, -1
; %bb.1714:
	s_or_b32 exec_lo, exec_lo, s20
	s_delay_alu instid0(SALU_CYCLE_1)
	s_and_b32 s18, s18, exec_lo
	s_or_saveexec_b32 s19, s19
	v_mov_b64_e32 v[2:3], 0x7ff8000020000000
	s_xor_b32 exec_lo, exec_lo, s19
	s_cbranch_execnz .LBB6_1732
.LBB6_1715:
	s_or_b32 exec_lo, exec_lo, s19
	s_and_saveexec_b32 s19, s18
	s_cbranch_execz .LBB6_1717
.LBB6_1716:
	v_and_b32_e32 v2, 0xffff, v5
	s_delay_alu instid0(VALU_DEP_1) | instskip(SKIP_1) | instid1(VALU_DEP_2)
	v_and_b32_e32 v3, 7, v2
	v_bfe_u32 v11, v2, 3, 4
	v_clz_i32_u32_e32 v7, v3
	s_delay_alu instid0(VALU_DEP_2) | instskip(NEXT) | instid1(VALU_DEP_2)
	v_cmp_eq_u32_e32 vcc_lo, 0, v11
	v_min_u32_e32 v7, 32, v7
	s_delay_alu instid0(VALU_DEP_1) | instskip(NEXT) | instid1(VALU_DEP_1)
	v_subrev_nc_u32_e32 v10, 28, v7
	v_dual_lshlrev_b32 v2, v10, v2 :: v_dual_sub_nc_u32 v7, 29, v7
	s_delay_alu instid0(VALU_DEP_1) | instskip(NEXT) | instid1(VALU_DEP_2)
	v_dual_lshlrev_b32 v5, 24, v5 :: v_dual_bitop2_b32 v2, 7, v2 bitop3:0x40
	v_cndmask_b32_e32 v7, v11, v7, vcc_lo
	s_delay_alu instid0(VALU_DEP_2) | instskip(NEXT) | instid1(VALU_DEP_3)
	v_cndmask_b32_e32 v2, v3, v2, vcc_lo
	v_and_b32_e32 v3, 0x80000000, v5
	s_delay_alu instid0(VALU_DEP_3) | instskip(NEXT) | instid1(VALU_DEP_3)
	v_lshl_add_u32 v5, v7, 23, 0x3b800000
	v_lshlrev_b32_e32 v2, 20, v2
	s_delay_alu instid0(VALU_DEP_1) | instskip(NEXT) | instid1(VALU_DEP_1)
	v_or3_b32 v2, v3, v5, v2
	v_cvt_f64_f32_e32 v[2:3], v2
.LBB6_1717:
	s_or_b32 exec_lo, exec_lo, s19
.LBB6_1718:
	s_mov_b32 s18, -1
.LBB6_1719:
	s_branch .LBB6_1752
.LBB6_1720:
	s_cmp_gt_i32 s13, 22
	s_cbranch_scc0 .LBB6_1730
; %bb.1721:
	s_cmp_lt_i32 s13, 24
	s_cbranch_scc1 .LBB6_1733
; %bb.1722:
	s_cmp_gt_i32 s13, 24
	s_cbranch_scc0 .LBB6_1734
; %bb.1723:
	global_load_u8 v5, v[8:9], off
	s_mov_b32 s18, exec_lo
	s_wait_loadcnt 0x0
	v_cmpx_lt_i16_e32 0x7f, v5
	s_xor_b32 s18, exec_lo, s18
	s_cbranch_execz .LBB6_1746
; %bb.1724:
	s_mov_b32 s17, -1
	s_mov_b32 s19, exec_lo
	v_cmpx_eq_u16_e32 0x80, v5
; %bb.1725:
	s_xor_b32 s17, exec_lo, -1
; %bb.1726:
	s_or_b32 exec_lo, exec_lo, s19
	s_delay_alu instid0(SALU_CYCLE_1)
	s_and_b32 s17, s17, exec_lo
	s_or_saveexec_b32 s18, s18
	v_mov_b64_e32 v[2:3], 0x7ff8000020000000
	s_xor_b32 exec_lo, exec_lo, s18
	s_cbranch_execnz .LBB6_1747
.LBB6_1727:
	s_or_b32 exec_lo, exec_lo, s18
	s_and_saveexec_b32 s18, s17
	s_cbranch_execz .LBB6_1729
.LBB6_1728:
	v_and_b32_e32 v2, 0xffff, v5
	s_delay_alu instid0(VALU_DEP_1) | instskip(SKIP_1) | instid1(VALU_DEP_2)
	v_and_b32_e32 v3, 3, v2
	v_bfe_u32 v11, v2, 2, 5
	v_clz_i32_u32_e32 v7, v3
	s_delay_alu instid0(VALU_DEP_2) | instskip(NEXT) | instid1(VALU_DEP_2)
	v_cmp_eq_u32_e32 vcc_lo, 0, v11
	v_min_u32_e32 v7, 32, v7
	s_delay_alu instid0(VALU_DEP_1) | instskip(NEXT) | instid1(VALU_DEP_1)
	v_subrev_nc_u32_e32 v10, 29, v7
	v_dual_lshlrev_b32 v2, v10, v2 :: v_dual_sub_nc_u32 v7, 30, v7
	s_delay_alu instid0(VALU_DEP_1) | instskip(NEXT) | instid1(VALU_DEP_2)
	v_dual_lshlrev_b32 v5, 24, v5 :: v_dual_bitop2_b32 v2, 3, v2 bitop3:0x40
	v_cndmask_b32_e32 v7, v11, v7, vcc_lo
	s_delay_alu instid0(VALU_DEP_2) | instskip(NEXT) | instid1(VALU_DEP_3)
	v_cndmask_b32_e32 v2, v3, v2, vcc_lo
	v_and_b32_e32 v3, 0x80000000, v5
	s_delay_alu instid0(VALU_DEP_3) | instskip(NEXT) | instid1(VALU_DEP_3)
	v_lshl_add_u32 v5, v7, 23, 0x37800000
	v_lshlrev_b32_e32 v2, 21, v2
	s_delay_alu instid0(VALU_DEP_1) | instskip(NEXT) | instid1(VALU_DEP_1)
	v_or3_b32 v2, v3, v5, v2
	v_cvt_f64_f32_e32 v[2:3], v2
.LBB6_1729:
	s_or_b32 exec_lo, exec_lo, s18
	s_mov_b32 s17, 0
	s_branch .LBB6_1735
.LBB6_1730:
	s_mov_b32 s17, -1
                                        ; implicit-def: $vgpr2_vgpr3
	s_branch .LBB6_1741
.LBB6_1731:
	s_or_saveexec_b32 s19, s19
	v_mov_b64_e32 v[2:3], 0x7ff8000020000000
	s_xor_b32 exec_lo, exec_lo, s19
	s_cbranch_execz .LBB6_1715
.LBB6_1732:
	v_cmp_ne_u16_e32 vcc_lo, 0, v5
	v_mov_b64_e32 v[2:3], 0
	s_and_not1_b32 s18, s18, exec_lo
	s_and_b32 s20, vcc_lo, exec_lo
	s_delay_alu instid0(SALU_CYCLE_1)
	s_or_b32 s18, s18, s20
	s_or_b32 exec_lo, exec_lo, s19
	s_and_saveexec_b32 s19, s18
	s_cbranch_execnz .LBB6_1716
	s_branch .LBB6_1717
.LBB6_1733:
	s_mov_b32 s17, -1
                                        ; implicit-def: $vgpr2_vgpr3
	s_branch .LBB6_1738
.LBB6_1734:
	s_mov_b32 s17, -1
                                        ; implicit-def: $vgpr2_vgpr3
.LBB6_1735:
	s_delay_alu instid0(SALU_CYCLE_1)
	s_and_b32 vcc_lo, exec_lo, s17
	s_cbranch_vccz .LBB6_1737
; %bb.1736:
	global_load_u8 v2, v[8:9], off
	s_wait_loadcnt 0x0
	v_lshlrev_b32_e32 v2, 24, v2
	s_delay_alu instid0(VALU_DEP_1) | instskip(NEXT) | instid1(VALU_DEP_1)
	v_and_b32_e32 v3, 0x7f000000, v2
	v_clz_i32_u32_e32 v5, v3
	v_cmp_ne_u32_e32 vcc_lo, 0, v3
	v_add_nc_u32_e32 v10, 0x1000000, v3
	s_delay_alu instid0(VALU_DEP_3) | instskip(NEXT) | instid1(VALU_DEP_1)
	v_min_u32_e32 v5, 32, v5
	v_sub_nc_u32_e64 v5, v5, 4 clamp
	s_delay_alu instid0(VALU_DEP_1) | instskip(NEXT) | instid1(VALU_DEP_1)
	v_dual_lshlrev_b32 v7, v5, v3 :: v_dual_lshlrev_b32 v5, 23, v5
	v_lshrrev_b32_e32 v7, 4, v7
	s_delay_alu instid0(VALU_DEP_1) | instskip(NEXT) | instid1(VALU_DEP_1)
	v_dual_sub_nc_u32 v5, v7, v5 :: v_dual_ashrrev_i32 v7, 8, v10
	v_add_nc_u32_e32 v5, 0x3c000000, v5
	s_delay_alu instid0(VALU_DEP_1) | instskip(NEXT) | instid1(VALU_DEP_1)
	v_and_or_b32 v5, 0x7f800000, v7, v5
	v_cndmask_b32_e32 v3, 0, v5, vcc_lo
	s_delay_alu instid0(VALU_DEP_1) | instskip(NEXT) | instid1(VALU_DEP_1)
	v_and_or_b32 v2, 0x80000000, v2, v3
	v_cvt_f64_f32_e32 v[2:3], v2
.LBB6_1737:
	s_mov_b32 s17, 0
.LBB6_1738:
	s_delay_alu instid0(SALU_CYCLE_1)
	s_and_not1_b32 vcc_lo, exec_lo, s17
	s_cbranch_vccnz .LBB6_1740
; %bb.1739:
	global_load_u8 v2, v[8:9], off
	s_wait_loadcnt 0x0
	v_lshlrev_b32_e32 v3, 25, v2
	v_lshlrev_b16 v2, 8, v2
	s_delay_alu instid0(VALU_DEP_1) | instskip(SKIP_1) | instid1(VALU_DEP_2)
	v_and_or_b32 v7, 0x7f00, v2, 0.5
	v_bfe_i32 v2, v2, 0, 16
	v_add_f32_e32 v7, -0.5, v7
	v_lshrrev_b32_e32 v5, 4, v3
	v_cmp_gt_u32_e32 vcc_lo, 0x8000000, v3
	s_delay_alu instid0(VALU_DEP_2) | instskip(NEXT) | instid1(VALU_DEP_1)
	v_or_b32_e32 v5, 0x70000000, v5
	v_mul_f32_e32 v5, 0x7800000, v5
	s_delay_alu instid0(VALU_DEP_1) | instskip(NEXT) | instid1(VALU_DEP_1)
	v_cndmask_b32_e32 v3, v5, v7, vcc_lo
	v_and_or_b32 v2, 0x80000000, v2, v3
	s_delay_alu instid0(VALU_DEP_1)
	v_cvt_f64_f32_e32 v[2:3], v2
.LBB6_1740:
	s_mov_b32 s17, 0
	s_mov_b32 s18, -1
.LBB6_1741:
	s_and_not1_b32 vcc_lo, exec_lo, s17
	s_mov_b32 s17, 0
	s_cbranch_vccnz .LBB6_1752
; %bb.1742:
	s_cmp_gt_i32 s13, 14
	s_cbranch_scc0 .LBB6_1745
; %bb.1743:
	s_cmp_eq_u32 s13, 15
	s_cbranch_scc0 .LBB6_1748
; %bb.1744:
	global_load_u16 v2, v[8:9], off
	s_mov_b32 s16, 0
	s_mov_b32 s18, -1
	s_wait_loadcnt 0x0
	v_lshlrev_b32_e32 v2, 16, v2
	s_delay_alu instid0(VALU_DEP_1)
	v_cvt_f64_f32_e32 v[2:3], v2
	s_branch .LBB6_1750
.LBB6_1745:
	s_mov_b32 s17, -1
	s_branch .LBB6_1749
.LBB6_1746:
	s_or_saveexec_b32 s18, s18
	v_mov_b64_e32 v[2:3], 0x7ff8000020000000
	s_xor_b32 exec_lo, exec_lo, s18
	s_cbranch_execz .LBB6_1727
.LBB6_1747:
	v_cmp_ne_u16_e32 vcc_lo, 0, v5
	v_mov_b64_e32 v[2:3], 0
	s_and_not1_b32 s17, s17, exec_lo
	s_and_b32 s19, vcc_lo, exec_lo
	s_delay_alu instid0(SALU_CYCLE_1)
	s_or_b32 s17, s17, s19
	s_or_b32 exec_lo, exec_lo, s18
	s_and_saveexec_b32 s18, s17
	s_cbranch_execnz .LBB6_1728
	s_branch .LBB6_1729
.LBB6_1748:
	s_mov_b32 s16, -1
.LBB6_1749:
                                        ; implicit-def: $vgpr2_vgpr3
.LBB6_1750:
	s_and_b32 vcc_lo, exec_lo, s17
	s_mov_b32 s17, 0
	s_cbranch_vccz .LBB6_1752
; %bb.1751:
	s_cmp_lg_u32 s13, 11
	s_mov_b32 s17, -1
	s_cselect_b32 s16, -1, 0
.LBB6_1752:
	s_delay_alu instid0(SALU_CYCLE_1)
	s_and_b32 vcc_lo, exec_lo, s16
	s_cbranch_vccnz .LBB6_1815
; %bb.1753:
	s_and_not1_b32 vcc_lo, exec_lo, s17
	s_cbranch_vccnz .LBB6_1755
.LBB6_1754:
	global_load_u8 v2, v[8:9], off
	s_mov_b32 s18, -1
	s_wait_loadcnt 0x0
	v_cmp_ne_u16_e32 vcc_lo, 0, v2
	v_mov_b32_e32 v2, 0
	v_cndmask_b32_e64 v3, 0, 0x3ff00000, vcc_lo
.LBB6_1755:
	s_branch .LBB6_1681
.LBB6_1756:
	s_and_b32 s13, 0xffff, s1
	s_delay_alu instid0(SALU_CYCLE_1)
	s_cmp_lt_i32 s13, 5
	s_cbranch_scc1 .LBB6_1761
; %bb.1757:
	s_cmp_lt_i32 s13, 8
	s_cbranch_scc1 .LBB6_1762
; %bb.1758:
	;; [unrolled: 3-line block ×3, first 2 shown]
	s_cmp_gt_i32 s13, 9
	s_cbranch_scc0 .LBB6_1764
; %bb.1760:
	global_load_b64 v[2:3], v[8:9], off
	s_mov_b32 s16, 0
	s_branch .LBB6_1765
.LBB6_1761:
                                        ; implicit-def: $vgpr2_vgpr3
	s_branch .LBB6_1783
.LBB6_1762:
	s_mov_b32 s16, -1
                                        ; implicit-def: $vgpr2_vgpr3
	s_branch .LBB6_1771
.LBB6_1763:
	s_mov_b32 s16, -1
                                        ; implicit-def: $vgpr2_vgpr3
	s_branch .LBB6_1768
.LBB6_1764:
	s_mov_b32 s16, -1
                                        ; implicit-def: $vgpr2_vgpr3
.LBB6_1765:
	s_delay_alu instid0(SALU_CYCLE_1)
	s_and_not1_b32 vcc_lo, exec_lo, s16
	s_cbranch_vccnz .LBB6_1767
; %bb.1766:
	s_wait_loadcnt 0x0
	global_load_b32 v2, v[8:9], off
	s_wait_loadcnt 0x0
	v_cvt_f64_f32_e32 v[2:3], v2
.LBB6_1767:
	s_mov_b32 s16, 0
.LBB6_1768:
	s_delay_alu instid0(SALU_CYCLE_1)
	s_and_not1_b32 vcc_lo, exec_lo, s16
	s_cbranch_vccnz .LBB6_1770
; %bb.1769:
	s_wait_loadcnt 0x0
	global_load_b32 v2, v[8:9], off
	s_wait_loadcnt 0x0
	v_cvt_f32_f16_e32 v2, v2
	s_delay_alu instid0(VALU_DEP_1)
	v_cvt_f64_f32_e32 v[2:3], v2
.LBB6_1770:
	s_mov_b32 s16, 0
.LBB6_1771:
	s_delay_alu instid0(SALU_CYCLE_1)
	s_and_not1_b32 vcc_lo, exec_lo, s16
	s_cbranch_vccnz .LBB6_1782
; %bb.1772:
	s_cmp_lt_i32 s13, 6
	s_cbranch_scc1 .LBB6_1775
; %bb.1773:
	s_cmp_gt_i32 s13, 6
	s_cbranch_scc0 .LBB6_1776
; %bb.1774:
	s_wait_loadcnt 0x0
	global_load_b64 v[2:3], v[8:9], off
	s_mov_b32 s16, 0
	s_branch .LBB6_1777
.LBB6_1775:
	s_mov_b32 s16, -1
                                        ; implicit-def: $vgpr2_vgpr3
	s_branch .LBB6_1780
.LBB6_1776:
	s_mov_b32 s16, -1
                                        ; implicit-def: $vgpr2_vgpr3
.LBB6_1777:
	s_delay_alu instid0(SALU_CYCLE_1)
	s_and_not1_b32 vcc_lo, exec_lo, s16
	s_cbranch_vccnz .LBB6_1779
; %bb.1778:
	s_wait_loadcnt 0x0
	global_load_b32 v2, v[8:9], off
	s_wait_loadcnt 0x0
	v_cvt_f64_f32_e32 v[2:3], v2
.LBB6_1779:
	s_mov_b32 s16, 0
.LBB6_1780:
	s_delay_alu instid0(SALU_CYCLE_1)
	s_and_not1_b32 vcc_lo, exec_lo, s16
	s_cbranch_vccnz .LBB6_1782
; %bb.1781:
	s_wait_loadcnt 0x0
	global_load_u16 v2, v[8:9], off
	s_wait_loadcnt 0x0
	v_cvt_f32_f16_e32 v2, v2
	s_delay_alu instid0(VALU_DEP_1)
	v_cvt_f64_f32_e32 v[2:3], v2
.LBB6_1782:
	s_cbranch_execnz .LBB6_1802
.LBB6_1783:
	s_cmp_lt_i32 s13, 2
	s_cbranch_scc1 .LBB6_1787
; %bb.1784:
	s_cmp_lt_i32 s13, 3
	s_cbranch_scc1 .LBB6_1788
; %bb.1785:
	s_cmp_gt_i32 s13, 3
	s_cbranch_scc0 .LBB6_1789
; %bb.1786:
	s_wait_loadcnt 0x0
	global_load_b64 v[2:3], v[8:9], off
	s_mov_b32 s16, 0
	s_wait_loadcnt 0x0
	v_cvt_f64_i32_e32 v[10:11], v3
	v_cvt_f64_u32_e32 v[2:3], v2
	s_delay_alu instid0(VALU_DEP_2) | instskip(NEXT) | instid1(VALU_DEP_1)
	v_ldexp_f64 v[10:11], v[10:11], 32
	v_add_f64_e32 v[2:3], v[10:11], v[2:3]
	s_branch .LBB6_1790
.LBB6_1787:
	s_mov_b32 s16, -1
                                        ; implicit-def: $vgpr2_vgpr3
	s_branch .LBB6_1796
.LBB6_1788:
	s_mov_b32 s16, -1
                                        ; implicit-def: $vgpr2_vgpr3
	s_branch .LBB6_1793
.LBB6_1789:
	s_mov_b32 s16, -1
                                        ; implicit-def: $vgpr2_vgpr3
.LBB6_1790:
	s_delay_alu instid0(SALU_CYCLE_1)
	s_and_not1_b32 vcc_lo, exec_lo, s16
	s_cbranch_vccnz .LBB6_1792
; %bb.1791:
	s_wait_loadcnt 0x0
	global_load_b32 v2, v[8:9], off
	s_wait_loadcnt 0x0
	v_cvt_f64_i32_e32 v[2:3], v2
.LBB6_1792:
	s_mov_b32 s16, 0
.LBB6_1793:
	s_delay_alu instid0(SALU_CYCLE_1)
	s_and_not1_b32 vcc_lo, exec_lo, s16
	s_cbranch_vccnz .LBB6_1795
; %bb.1794:
	s_wait_loadcnt 0x0
	global_load_i16 v2, v[8:9], off
	s_wait_loadcnt 0x0
	v_cvt_f64_i32_e32 v[2:3], v2
.LBB6_1795:
	s_mov_b32 s16, 0
.LBB6_1796:
	s_delay_alu instid0(SALU_CYCLE_1)
	s_and_not1_b32 vcc_lo, exec_lo, s16
	s_cbranch_vccnz .LBB6_1802
; %bb.1797:
	s_cmp_gt_i32 s13, 0
	s_mov_b32 s13, 0
	s_cbranch_scc0 .LBB6_1799
; %bb.1798:
	s_wait_loadcnt 0x0
	global_load_i8 v2, v[8:9], off
	s_wait_loadcnt 0x0
	v_cvt_f64_i32_e32 v[2:3], v2
	s_branch .LBB6_1800
.LBB6_1799:
	s_mov_b32 s13, -1
                                        ; implicit-def: $vgpr2_vgpr3
.LBB6_1800:
	s_delay_alu instid0(SALU_CYCLE_1)
	s_and_not1_b32 vcc_lo, exec_lo, s13
	s_cbranch_vccnz .LBB6_1802
; %bb.1801:
	s_wait_loadcnt 0x0
	global_load_u8 v2, v[8:9], off
	s_wait_loadcnt 0x0
	v_cvt_f64_u32_e32 v[2:3], v2
.LBB6_1802:
.LBB6_1803:
	s_lshl_b32 s9, s9, 7
	s_cmp_lt_i32 s0, 11
	v_add_nc_u32_e32 v10, s9, v4
	s_delay_alu instid0(VALU_DEP_1) | instskip(SKIP_1) | instid1(VALU_DEP_1)
	v_ashrrev_i32_e32 v11, 31, v10
	s_wait_xcnt 0x0
	v_add_nc_u64_e32 v[8:9], s[6:7], v[10:11]
	s_cbranch_scc1 .LBB6_1810
; %bb.1804:
	s_and_b32 s13, 0xffff, s0
	s_mov_b32 s17, 0
	s_cmp_gt_i32 s13, 25
	s_cbranch_scc0 .LBB6_1812
; %bb.1805:
	s_cmp_gt_i32 s13, 28
	s_cbranch_scc0 .LBB6_1813
; %bb.1806:
	;; [unrolled: 3-line block ×4, first 2 shown]
	s_cmp_eq_u32 s13, 46
	s_mov_b32 s19, 0
	s_cbranch_scc0 .LBB6_1817
; %bb.1809:
	global_load_b32 v4, v[8:9], off
	s_mov_b32 s16, 0
	s_mov_b32 s18, -1
	s_wait_loadcnt 0x0
	v_lshlrev_b32_e32 v4, 16, v4
	s_delay_alu instid0(VALU_DEP_1)
	v_cvt_f64_f32_e32 v[4:5], v4
	s_branch .LBB6_1819
.LBB6_1810:
	s_mov_b32 s18, 0
                                        ; implicit-def: $vgpr4_vgpr5
	s_cbranch_execnz .LBB6_1885
.LBB6_1811:
	s_and_not1_b32 vcc_lo, exec_lo, s18
	s_cbranch_vccnz .LBB6_3023
	s_branch .LBB6_1933
.LBB6_1812:
	s_mov_b32 s19, -1
	s_mov_b32 s18, 0
	s_mov_b32 s16, 0
                                        ; implicit-def: $vgpr4_vgpr5
	s_branch .LBB6_1848
.LBB6_1813:
	s_mov_b32 s19, -1
	s_mov_b32 s18, 0
	s_mov_b32 s16, 0
                                        ; implicit-def: $vgpr4_vgpr5
	s_branch .LBB6_1829
.LBB6_1814:
	s_mov_b32 s19, -1
	s_mov_b32 s18, 0
	s_mov_b32 s16, 0
                                        ; implicit-def: $vgpr4_vgpr5
	s_branch .LBB6_1824
.LBB6_1815:
	s_or_b32 s12, s12, exec_lo
	s_trap 2
	s_cbranch_execz .LBB6_1754
	s_branch .LBB6_1755
.LBB6_1816:
	s_mov_b32 s19, -1
	s_mov_b32 s18, 0
	s_mov_b32 s16, 0
	s_branch .LBB6_1818
.LBB6_1817:
	s_mov_b32 s16, -1
	s_mov_b32 s18, 0
.LBB6_1818:
                                        ; implicit-def: $vgpr4_vgpr5
.LBB6_1819:
	s_and_b32 vcc_lo, exec_lo, s19
	s_cbranch_vccz .LBB6_1823
; %bb.1820:
	s_cmp_eq_u32 s13, 44
	s_cbranch_scc0 .LBB6_1822
; %bb.1821:
	global_load_u8 v7, v[8:9], off
	s_mov_b32 s16, 0
	s_mov_b32 s18, -1
	s_wait_loadcnt 0x0
	v_cmp_ne_u32_e32 vcc_lo, 0xff, v7
	v_lshlrev_b32_e32 v4, 23, v7
	s_delay_alu instid0(VALU_DEP_1) | instskip(NEXT) | instid1(VALU_DEP_1)
	v_cvt_f64_f32_e32 v[4:5], v4
	v_cndmask_b32_e32 v4, 0x20000000, v4, vcc_lo
	s_delay_alu instid0(VALU_DEP_2) | instskip(SKIP_1) | instid1(VALU_DEP_2)
	v_cndmask_b32_e32 v5, 0x7ff80000, v5, vcc_lo
	v_cmp_ne_u32_e32 vcc_lo, 0, v7
	v_cndmask_b32_e32 v5, 0x38000000, v5, vcc_lo
	s_delay_alu instid0(VALU_DEP_4)
	v_cndmask_b32_e32 v4, 0, v4, vcc_lo
	s_branch .LBB6_1823
.LBB6_1822:
	s_mov_b32 s16, -1
                                        ; implicit-def: $vgpr4_vgpr5
.LBB6_1823:
	s_mov_b32 s19, 0
.LBB6_1824:
	s_delay_alu instid0(SALU_CYCLE_1)
	s_and_b32 vcc_lo, exec_lo, s19
	s_cbranch_vccz .LBB6_1828
; %bb.1825:
	s_cmp_eq_u32 s13, 29
	s_cbranch_scc0 .LBB6_1827
; %bb.1826:
	global_load_b64 v[4:5], v[8:9], off
	s_mov_b32 s16, 0
	s_mov_b32 s18, -1
	s_mov_b32 s19, 0
	s_wait_loadcnt 0x0
	v_cvt_f64_u32_e32 v[12:13], v5
	v_cvt_f64_u32_e32 v[4:5], v4
	s_delay_alu instid0(VALU_DEP_2) | instskip(NEXT) | instid1(VALU_DEP_1)
	v_ldexp_f64 v[12:13], v[12:13], 32
	v_add_f64_e32 v[4:5], v[12:13], v[4:5]
	s_branch .LBB6_1829
.LBB6_1827:
	s_mov_b32 s16, -1
                                        ; implicit-def: $vgpr4_vgpr5
.LBB6_1828:
	s_mov_b32 s19, 0
.LBB6_1829:
	s_delay_alu instid0(SALU_CYCLE_1)
	s_and_b32 vcc_lo, exec_lo, s19
	s_cbranch_vccz .LBB6_1847
; %bb.1830:
	s_cmp_lt_i32 s13, 27
	s_cbranch_scc1 .LBB6_1833
; %bb.1831:
	s_cmp_gt_i32 s13, 27
	s_cbranch_scc0 .LBB6_1834
; %bb.1832:
	global_load_b32 v4, v[8:9], off
	s_mov_b32 s18, 0
	s_wait_loadcnt 0x0
	v_cvt_f64_u32_e32 v[4:5], v4
	s_branch .LBB6_1835
.LBB6_1833:
	s_mov_b32 s18, -1
                                        ; implicit-def: $vgpr4_vgpr5
	s_branch .LBB6_1838
.LBB6_1834:
	s_mov_b32 s18, -1
                                        ; implicit-def: $vgpr4_vgpr5
.LBB6_1835:
	s_delay_alu instid0(SALU_CYCLE_1)
	s_and_not1_b32 vcc_lo, exec_lo, s18
	s_cbranch_vccnz .LBB6_1837
; %bb.1836:
	global_load_u16 v4, v[8:9], off
	s_wait_loadcnt 0x0
	v_cvt_f64_u32_e32 v[4:5], v4
.LBB6_1837:
	s_mov_b32 s18, 0
.LBB6_1838:
	s_delay_alu instid0(SALU_CYCLE_1)
	s_and_not1_b32 vcc_lo, exec_lo, s18
	s_cbranch_vccnz .LBB6_1846
; %bb.1839:
	global_load_u8 v7, v[8:9], off
	s_mov_b32 s18, 0
	s_mov_b32 s19, exec_lo
	s_wait_loadcnt 0x0
	v_cmpx_lt_i16_e32 0x7f, v7
	s_xor_b32 s19, exec_lo, s19
	s_cbranch_execz .LBB6_1860
; %bb.1840:
	s_mov_b32 s18, -1
	s_mov_b32 s20, exec_lo
	v_cmpx_eq_u16_e32 0x80, v7
; %bb.1841:
	s_xor_b32 s18, exec_lo, -1
; %bb.1842:
	s_or_b32 exec_lo, exec_lo, s20
	s_delay_alu instid0(SALU_CYCLE_1)
	s_and_b32 s18, s18, exec_lo
	s_or_saveexec_b32 s19, s19
	v_mov_b64_e32 v[4:5], 0x7ff8000020000000
	s_xor_b32 exec_lo, exec_lo, s19
	s_cbranch_execnz .LBB6_1861
.LBB6_1843:
	s_or_b32 exec_lo, exec_lo, s19
	s_and_saveexec_b32 s19, s18
	s_cbranch_execz .LBB6_1845
.LBB6_1844:
	v_and_b32_e32 v4, 0xffff, v7
	s_delay_alu instid0(VALU_DEP_1) | instskip(SKIP_1) | instid1(VALU_DEP_2)
	v_and_b32_e32 v5, 7, v4
	v_bfe_u32 v13, v4, 3, 4
	v_clz_i32_u32_e32 v11, v5
	s_delay_alu instid0(VALU_DEP_2) | instskip(NEXT) | instid1(VALU_DEP_2)
	v_cmp_eq_u32_e32 vcc_lo, 0, v13
	v_min_u32_e32 v11, 32, v11
	s_delay_alu instid0(VALU_DEP_1) | instskip(NEXT) | instid1(VALU_DEP_1)
	v_subrev_nc_u32_e32 v12, 28, v11
	v_dual_lshlrev_b32 v4, v12, v4 :: v_dual_sub_nc_u32 v11, 29, v11
	s_delay_alu instid0(VALU_DEP_1) | instskip(NEXT) | instid1(VALU_DEP_1)
	v_dual_lshlrev_b32 v7, 24, v7 :: v_dual_bitop2_b32 v4, 7, v4 bitop3:0x40
	v_cndmask_b32_e32 v4, v5, v4, vcc_lo
	s_delay_alu instid0(VALU_DEP_3) | instskip(NEXT) | instid1(VALU_DEP_3)
	v_cndmask_b32_e32 v11, v13, v11, vcc_lo
	v_and_b32_e32 v5, 0x80000000, v7
	s_delay_alu instid0(VALU_DEP_3) | instskip(NEXT) | instid1(VALU_DEP_3)
	v_lshlrev_b32_e32 v4, 20, v4
	v_lshl_add_u32 v7, v11, 23, 0x3b800000
	s_delay_alu instid0(VALU_DEP_1) | instskip(NEXT) | instid1(VALU_DEP_1)
	v_or3_b32 v4, v5, v7, v4
	v_cvt_f64_f32_e32 v[4:5], v4
.LBB6_1845:
	s_or_b32 exec_lo, exec_lo, s19
.LBB6_1846:
	s_mov_b32 s18, -1
.LBB6_1847:
	s_mov_b32 s19, 0
.LBB6_1848:
	s_delay_alu instid0(SALU_CYCLE_1)
	s_and_b32 vcc_lo, exec_lo, s19
	s_cbranch_vccz .LBB6_1881
; %bb.1849:
	s_cmp_gt_i32 s13, 22
	s_cbranch_scc0 .LBB6_1859
; %bb.1850:
	s_cmp_lt_i32 s13, 24
	s_cbranch_scc1 .LBB6_1862
; %bb.1851:
	s_cmp_gt_i32 s13, 24
	s_cbranch_scc0 .LBB6_1863
; %bb.1852:
	global_load_u8 v7, v[8:9], off
	s_mov_b32 s18, exec_lo
	s_wait_loadcnt 0x0
	v_cmpx_lt_i16_e32 0x7f, v7
	s_xor_b32 s18, exec_lo, s18
	s_cbranch_execz .LBB6_1875
; %bb.1853:
	s_mov_b32 s17, -1
	s_mov_b32 s19, exec_lo
	v_cmpx_eq_u16_e32 0x80, v7
; %bb.1854:
	s_xor_b32 s17, exec_lo, -1
; %bb.1855:
	s_or_b32 exec_lo, exec_lo, s19
	s_delay_alu instid0(SALU_CYCLE_1)
	s_and_b32 s17, s17, exec_lo
	s_or_saveexec_b32 s18, s18
	v_mov_b64_e32 v[4:5], 0x7ff8000020000000
	s_xor_b32 exec_lo, exec_lo, s18
	s_cbranch_execnz .LBB6_1876
.LBB6_1856:
	s_or_b32 exec_lo, exec_lo, s18
	s_and_saveexec_b32 s18, s17
	s_cbranch_execz .LBB6_1858
.LBB6_1857:
	v_and_b32_e32 v4, 0xffff, v7
	s_delay_alu instid0(VALU_DEP_1) | instskip(SKIP_1) | instid1(VALU_DEP_2)
	v_and_b32_e32 v5, 3, v4
	v_bfe_u32 v13, v4, 2, 5
	v_clz_i32_u32_e32 v11, v5
	s_delay_alu instid0(VALU_DEP_2) | instskip(NEXT) | instid1(VALU_DEP_2)
	v_cmp_eq_u32_e32 vcc_lo, 0, v13
	v_min_u32_e32 v11, 32, v11
	s_delay_alu instid0(VALU_DEP_1) | instskip(NEXT) | instid1(VALU_DEP_1)
	v_subrev_nc_u32_e32 v12, 29, v11
	v_dual_lshlrev_b32 v4, v12, v4 :: v_dual_sub_nc_u32 v11, 30, v11
	s_delay_alu instid0(VALU_DEP_1) | instskip(NEXT) | instid1(VALU_DEP_1)
	v_dual_lshlrev_b32 v7, 24, v7 :: v_dual_bitop2_b32 v4, 3, v4 bitop3:0x40
	v_cndmask_b32_e32 v4, v5, v4, vcc_lo
	s_delay_alu instid0(VALU_DEP_3) | instskip(NEXT) | instid1(VALU_DEP_3)
	v_cndmask_b32_e32 v11, v13, v11, vcc_lo
	v_and_b32_e32 v5, 0x80000000, v7
	s_delay_alu instid0(VALU_DEP_3) | instskip(NEXT) | instid1(VALU_DEP_3)
	v_lshlrev_b32_e32 v4, 21, v4
	v_lshl_add_u32 v7, v11, 23, 0x37800000
	s_delay_alu instid0(VALU_DEP_1) | instskip(NEXT) | instid1(VALU_DEP_1)
	v_or3_b32 v4, v5, v7, v4
	v_cvt_f64_f32_e32 v[4:5], v4
.LBB6_1858:
	s_or_b32 exec_lo, exec_lo, s18
	s_mov_b32 s17, 0
	s_branch .LBB6_1864
.LBB6_1859:
	s_mov_b32 s17, -1
                                        ; implicit-def: $vgpr4_vgpr5
	s_branch .LBB6_1870
.LBB6_1860:
	s_or_saveexec_b32 s19, s19
	v_mov_b64_e32 v[4:5], 0x7ff8000020000000
	s_xor_b32 exec_lo, exec_lo, s19
	s_cbranch_execz .LBB6_1843
.LBB6_1861:
	v_cmp_ne_u16_e32 vcc_lo, 0, v7
	v_mov_b64_e32 v[4:5], 0
	s_and_not1_b32 s18, s18, exec_lo
	s_and_b32 s20, vcc_lo, exec_lo
	s_delay_alu instid0(SALU_CYCLE_1)
	s_or_b32 s18, s18, s20
	s_or_b32 exec_lo, exec_lo, s19
	s_and_saveexec_b32 s19, s18
	s_cbranch_execnz .LBB6_1844
	s_branch .LBB6_1845
.LBB6_1862:
	s_mov_b32 s17, -1
                                        ; implicit-def: $vgpr4_vgpr5
	s_branch .LBB6_1867
.LBB6_1863:
	s_mov_b32 s17, -1
                                        ; implicit-def: $vgpr4_vgpr5
.LBB6_1864:
	s_delay_alu instid0(SALU_CYCLE_1)
	s_and_b32 vcc_lo, exec_lo, s17
	s_cbranch_vccz .LBB6_1866
; %bb.1865:
	global_load_u8 v4, v[8:9], off
	s_wait_loadcnt 0x0
	v_lshlrev_b32_e32 v4, 24, v4
	s_delay_alu instid0(VALU_DEP_1) | instskip(NEXT) | instid1(VALU_DEP_1)
	v_and_b32_e32 v5, 0x7f000000, v4
	v_clz_i32_u32_e32 v7, v5
	v_cmp_ne_u32_e32 vcc_lo, 0, v5
	v_add_nc_u32_e32 v12, 0x1000000, v5
	s_delay_alu instid0(VALU_DEP_3) | instskip(NEXT) | instid1(VALU_DEP_1)
	v_min_u32_e32 v7, 32, v7
	v_sub_nc_u32_e64 v7, v7, 4 clamp
	s_delay_alu instid0(VALU_DEP_1) | instskip(NEXT) | instid1(VALU_DEP_1)
	v_dual_lshlrev_b32 v11, v7, v5 :: v_dual_lshlrev_b32 v7, 23, v7
	v_lshrrev_b32_e32 v11, 4, v11
	s_delay_alu instid0(VALU_DEP_1) | instskip(NEXT) | instid1(VALU_DEP_1)
	v_dual_sub_nc_u32 v7, v11, v7 :: v_dual_ashrrev_i32 v11, 8, v12
	v_add_nc_u32_e32 v7, 0x3c000000, v7
	s_delay_alu instid0(VALU_DEP_1) | instskip(NEXT) | instid1(VALU_DEP_1)
	v_and_or_b32 v7, 0x7f800000, v11, v7
	v_cndmask_b32_e32 v5, 0, v7, vcc_lo
	s_delay_alu instid0(VALU_DEP_1) | instskip(NEXT) | instid1(VALU_DEP_1)
	v_and_or_b32 v4, 0x80000000, v4, v5
	v_cvt_f64_f32_e32 v[4:5], v4
.LBB6_1866:
	s_mov_b32 s17, 0
.LBB6_1867:
	s_delay_alu instid0(SALU_CYCLE_1)
	s_and_not1_b32 vcc_lo, exec_lo, s17
	s_cbranch_vccnz .LBB6_1869
; %bb.1868:
	global_load_u8 v4, v[8:9], off
	s_wait_loadcnt 0x0
	v_lshlrev_b32_e32 v5, 25, v4
	v_lshlrev_b16 v4, 8, v4
	s_delay_alu instid0(VALU_DEP_1) | instskip(SKIP_1) | instid1(VALU_DEP_2)
	v_and_or_b32 v11, 0x7f00, v4, 0.5
	v_bfe_i32 v4, v4, 0, 16
	v_dual_add_f32 v11, -0.5, v11 :: v_dual_lshrrev_b32 v7, 4, v5
	v_cmp_gt_u32_e32 vcc_lo, 0x8000000, v5
	s_delay_alu instid0(VALU_DEP_2) | instskip(NEXT) | instid1(VALU_DEP_1)
	v_or_b32_e32 v7, 0x70000000, v7
	v_mul_f32_e32 v7, 0x7800000, v7
	s_delay_alu instid0(VALU_DEP_1) | instskip(NEXT) | instid1(VALU_DEP_1)
	v_cndmask_b32_e32 v5, v7, v11, vcc_lo
	v_and_or_b32 v4, 0x80000000, v4, v5
	s_delay_alu instid0(VALU_DEP_1)
	v_cvt_f64_f32_e32 v[4:5], v4
.LBB6_1869:
	s_mov_b32 s17, 0
	s_mov_b32 s18, -1
.LBB6_1870:
	s_and_not1_b32 vcc_lo, exec_lo, s17
	s_mov_b32 s17, 0
	s_cbranch_vccnz .LBB6_1881
; %bb.1871:
	s_cmp_gt_i32 s13, 14
	s_cbranch_scc0 .LBB6_1874
; %bb.1872:
	s_cmp_eq_u32 s13, 15
	s_cbranch_scc0 .LBB6_1877
; %bb.1873:
	global_load_u16 v4, v[8:9], off
	s_mov_b32 s16, 0
	s_mov_b32 s18, -1
	s_wait_loadcnt 0x0
	v_lshlrev_b32_e32 v4, 16, v4
	s_delay_alu instid0(VALU_DEP_1)
	v_cvt_f64_f32_e32 v[4:5], v4
	s_branch .LBB6_1879
.LBB6_1874:
	s_mov_b32 s17, -1
	s_branch .LBB6_1878
.LBB6_1875:
	s_or_saveexec_b32 s18, s18
	v_mov_b64_e32 v[4:5], 0x7ff8000020000000
	s_xor_b32 exec_lo, exec_lo, s18
	s_cbranch_execz .LBB6_1856
.LBB6_1876:
	v_cmp_ne_u16_e32 vcc_lo, 0, v7
	v_mov_b64_e32 v[4:5], 0
	s_and_not1_b32 s17, s17, exec_lo
	s_and_b32 s19, vcc_lo, exec_lo
	s_delay_alu instid0(SALU_CYCLE_1)
	s_or_b32 s17, s17, s19
	s_or_b32 exec_lo, exec_lo, s18
	s_and_saveexec_b32 s18, s17
	s_cbranch_execnz .LBB6_1857
	s_branch .LBB6_1858
.LBB6_1877:
	s_mov_b32 s16, -1
.LBB6_1878:
                                        ; implicit-def: $vgpr4_vgpr5
.LBB6_1879:
	s_and_b32 vcc_lo, exec_lo, s17
	s_mov_b32 s17, 0
	s_cbranch_vccz .LBB6_1881
; %bb.1880:
	s_cmp_lg_u32 s13, 11
	s_mov_b32 s17, -1
	s_cselect_b32 s16, -1, 0
.LBB6_1881:
	s_delay_alu instid0(SALU_CYCLE_1)
	s_and_b32 vcc_lo, exec_lo, s16
	s_cbranch_vccnz .LBB6_1944
; %bb.1882:
	s_and_not1_b32 vcc_lo, exec_lo, s17
	s_cbranch_vccnz .LBB6_1884
.LBB6_1883:
	global_load_u8 v4, v[8:9], off
	s_mov_b32 s18, -1
	s_wait_loadcnt 0x0
	v_cmp_ne_u16_e32 vcc_lo, 0, v4
	v_mov_b32_e32 v4, 0
	v_cndmask_b32_e64 v5, 0, 0x3ff00000, vcc_lo
.LBB6_1884:
	s_branch .LBB6_1811
.LBB6_1885:
	s_and_b32 s13, 0xffff, s0
	s_delay_alu instid0(SALU_CYCLE_1)
	s_cmp_lt_i32 s13, 5
	s_cbranch_scc1 .LBB6_1890
; %bb.1886:
	s_cmp_lt_i32 s13, 8
	s_cbranch_scc1 .LBB6_1891
; %bb.1887:
	s_cmp_lt_i32 s13, 9
	s_cbranch_scc1 .LBB6_1892
; %bb.1888:
	s_cmp_gt_i32 s13, 9
	s_cbranch_scc0 .LBB6_1893
; %bb.1889:
	global_load_b64 v[4:5], v[8:9], off
	s_mov_b32 s16, 0
	s_branch .LBB6_1894
.LBB6_1890:
	s_mov_b32 s16, -1
                                        ; implicit-def: $vgpr4_vgpr5
	s_branch .LBB6_1912
.LBB6_1891:
	s_mov_b32 s16, -1
                                        ; implicit-def: $vgpr4_vgpr5
	s_branch .LBB6_1900
.LBB6_1892:
	s_mov_b32 s16, -1
                                        ; implicit-def: $vgpr4_vgpr5
	s_branch .LBB6_1897
.LBB6_1893:
	s_mov_b32 s16, -1
                                        ; implicit-def: $vgpr4_vgpr5
.LBB6_1894:
	s_delay_alu instid0(SALU_CYCLE_1)
	s_and_not1_b32 vcc_lo, exec_lo, s16
	s_cbranch_vccnz .LBB6_1896
; %bb.1895:
	s_wait_loadcnt 0x0
	global_load_b32 v4, v[8:9], off
	s_wait_loadcnt 0x0
	v_cvt_f64_f32_e32 v[4:5], v4
.LBB6_1896:
	s_mov_b32 s16, 0
.LBB6_1897:
	s_delay_alu instid0(SALU_CYCLE_1)
	s_and_not1_b32 vcc_lo, exec_lo, s16
	s_cbranch_vccnz .LBB6_1899
; %bb.1898:
	s_wait_loadcnt 0x0
	global_load_b32 v4, v[8:9], off
	s_wait_loadcnt 0x0
	v_cvt_f32_f16_e32 v4, v4
	s_delay_alu instid0(VALU_DEP_1)
	v_cvt_f64_f32_e32 v[4:5], v4
.LBB6_1899:
	s_mov_b32 s16, 0
.LBB6_1900:
	s_delay_alu instid0(SALU_CYCLE_1)
	s_and_not1_b32 vcc_lo, exec_lo, s16
	s_cbranch_vccnz .LBB6_1911
; %bb.1901:
	s_cmp_lt_i32 s13, 6
	s_cbranch_scc1 .LBB6_1904
; %bb.1902:
	s_cmp_gt_i32 s13, 6
	s_cbranch_scc0 .LBB6_1905
; %bb.1903:
	s_wait_loadcnt 0x0
	global_load_b64 v[4:5], v[8:9], off
	s_mov_b32 s16, 0
	s_branch .LBB6_1906
.LBB6_1904:
	s_mov_b32 s16, -1
                                        ; implicit-def: $vgpr4_vgpr5
	s_branch .LBB6_1909
.LBB6_1905:
	s_mov_b32 s16, -1
                                        ; implicit-def: $vgpr4_vgpr5
.LBB6_1906:
	s_delay_alu instid0(SALU_CYCLE_1)
	s_and_not1_b32 vcc_lo, exec_lo, s16
	s_cbranch_vccnz .LBB6_1908
; %bb.1907:
	s_wait_loadcnt 0x0
	global_load_b32 v4, v[8:9], off
	s_wait_loadcnt 0x0
	v_cvt_f64_f32_e32 v[4:5], v4
.LBB6_1908:
	s_mov_b32 s16, 0
.LBB6_1909:
	s_delay_alu instid0(SALU_CYCLE_1)
	s_and_not1_b32 vcc_lo, exec_lo, s16
	s_cbranch_vccnz .LBB6_1911
; %bb.1910:
	s_wait_loadcnt 0x0
	global_load_u16 v4, v[8:9], off
	s_wait_loadcnt 0x0
	v_cvt_f32_f16_e32 v4, v4
	s_delay_alu instid0(VALU_DEP_1)
	v_cvt_f64_f32_e32 v[4:5], v4
.LBB6_1911:
	s_mov_b32 s16, 0
.LBB6_1912:
	s_delay_alu instid0(SALU_CYCLE_1)
	s_and_not1_b32 vcc_lo, exec_lo, s16
	s_cbranch_vccnz .LBB6_1932
; %bb.1913:
	s_cmp_lt_i32 s13, 2
	s_cbranch_scc1 .LBB6_1917
; %bb.1914:
	s_cmp_lt_i32 s13, 3
	s_cbranch_scc1 .LBB6_1918
; %bb.1915:
	s_cmp_gt_i32 s13, 3
	s_cbranch_scc0 .LBB6_1919
; %bb.1916:
	s_wait_loadcnt 0x0
	global_load_b64 v[4:5], v[8:9], off
	s_mov_b32 s16, 0
	s_wait_loadcnt 0x0
	v_cvt_f64_i32_e32 v[12:13], v5
	v_cvt_f64_u32_e32 v[4:5], v4
	s_delay_alu instid0(VALU_DEP_2) | instskip(NEXT) | instid1(VALU_DEP_1)
	v_ldexp_f64 v[12:13], v[12:13], 32
	v_add_f64_e32 v[4:5], v[12:13], v[4:5]
	s_branch .LBB6_1920
.LBB6_1917:
	s_mov_b32 s16, -1
                                        ; implicit-def: $vgpr4_vgpr5
	s_branch .LBB6_1926
.LBB6_1918:
	s_mov_b32 s16, -1
                                        ; implicit-def: $vgpr4_vgpr5
	s_branch .LBB6_1923
.LBB6_1919:
	s_mov_b32 s16, -1
                                        ; implicit-def: $vgpr4_vgpr5
.LBB6_1920:
	s_delay_alu instid0(SALU_CYCLE_1)
	s_and_not1_b32 vcc_lo, exec_lo, s16
	s_cbranch_vccnz .LBB6_1922
; %bb.1921:
	s_wait_loadcnt 0x0
	global_load_b32 v4, v[8:9], off
	s_wait_loadcnt 0x0
	v_cvt_f64_i32_e32 v[4:5], v4
.LBB6_1922:
	s_mov_b32 s16, 0
.LBB6_1923:
	s_delay_alu instid0(SALU_CYCLE_1)
	s_and_not1_b32 vcc_lo, exec_lo, s16
	s_cbranch_vccnz .LBB6_1925
; %bb.1924:
	s_wait_loadcnt 0x0
	global_load_i16 v4, v[8:9], off
	s_wait_loadcnt 0x0
	v_cvt_f64_i32_e32 v[4:5], v4
.LBB6_1925:
	s_mov_b32 s16, 0
.LBB6_1926:
	s_delay_alu instid0(SALU_CYCLE_1)
	s_and_not1_b32 vcc_lo, exec_lo, s16
	s_cbranch_vccnz .LBB6_1932
; %bb.1927:
	s_cmp_gt_i32 s13, 0
	s_mov_b32 s13, 0
	s_cbranch_scc0 .LBB6_1929
; %bb.1928:
	s_wait_loadcnt 0x0
	global_load_i8 v4, v[8:9], off
	s_wait_loadcnt 0x0
	v_cvt_f64_i32_e32 v[4:5], v4
	s_branch .LBB6_1930
.LBB6_1929:
	s_mov_b32 s13, -1
                                        ; implicit-def: $vgpr4_vgpr5
.LBB6_1930:
	s_delay_alu instid0(SALU_CYCLE_1)
	s_and_not1_b32 vcc_lo, exec_lo, s13
	s_cbranch_vccnz .LBB6_1932
; %bb.1931:
	s_wait_loadcnt 0x0
	global_load_u8 v4, v[8:9], off
	s_wait_loadcnt 0x0
	v_cvt_f64_u32_e32 v[4:5], v4
.LBB6_1932:
.LBB6_1933:
	s_lshl_b32 s10, s10, 7
	s_cmp_lt_i32 s1, 11
	v_add_nc_u32_e32 v12, s10, v6
	s_delay_alu instid0(VALU_DEP_1) | instskip(NEXT) | instid1(VALU_DEP_1)
	v_ashrrev_i32_e32 v13, 31, v12
	v_add_nc_u64_e32 v[6:7], s[2:3], v[12:13]
	s_cbranch_scc1 .LBB6_1940
; %bb.1934:
	s_and_b32 s13, 0xffff, s1
	s_mov_b32 s17, 0
	s_cmp_gt_i32 s13, 25
	s_cbranch_scc0 .LBB6_1941
; %bb.1935:
	s_cmp_gt_i32 s13, 28
	s_cbranch_scc0 .LBB6_1942
; %bb.1936:
	;; [unrolled: 3-line block ×4, first 2 shown]
	s_cmp_eq_u32 s13, 46
	s_mov_b32 s19, 0
	s_cbranch_scc0 .LBB6_1946
; %bb.1939:
	global_load_b32 v8, v[6:7], off
	s_mov_b32 s16, 0
	s_mov_b32 s18, -1
	s_wait_loadcnt 0x0
	v_lshlrev_b32_e32 v8, 16, v8
	s_delay_alu instid0(VALU_DEP_1)
	v_cvt_f64_f32_e32 v[8:9], v8
	s_branch .LBB6_1948
.LBB6_1940:
	s_mov_b32 s13, -1
	s_mov_b32 s18, 0
                                        ; implicit-def: $vgpr8_vgpr9
	s_branch .LBB6_2014
.LBB6_1941:
	s_mov_b32 s19, -1
	s_mov_b32 s18, 0
	s_mov_b32 s16, 0
                                        ; implicit-def: $vgpr8_vgpr9
	s_branch .LBB6_1977
.LBB6_1942:
	s_mov_b32 s19, -1
	s_mov_b32 s18, 0
	s_mov_b32 s16, 0
                                        ; implicit-def: $vgpr8_vgpr9
	s_branch .LBB6_1958
.LBB6_1943:
	s_mov_b32 s19, -1
	s_mov_b32 s18, 0
	s_mov_b32 s16, 0
                                        ; implicit-def: $vgpr8_vgpr9
	s_branch .LBB6_1953
.LBB6_1944:
	s_or_b32 s12, s12, exec_lo
	s_trap 2
	s_cbranch_execz .LBB6_1883
	s_branch .LBB6_1884
.LBB6_1945:
	s_mov_b32 s19, -1
	s_mov_b32 s18, 0
	s_mov_b32 s16, 0
	s_branch .LBB6_1947
.LBB6_1946:
	s_mov_b32 s16, -1
	s_mov_b32 s18, 0
.LBB6_1947:
                                        ; implicit-def: $vgpr8_vgpr9
.LBB6_1948:
	s_and_b32 vcc_lo, exec_lo, s19
	s_cbranch_vccz .LBB6_1952
; %bb.1949:
	s_cmp_eq_u32 s13, 44
	s_cbranch_scc0 .LBB6_1951
; %bb.1950:
	global_load_u8 v11, v[6:7], off
	s_mov_b32 s16, 0
	s_mov_b32 s18, -1
	s_wait_loadcnt 0x0
	v_cmp_ne_u32_e32 vcc_lo, 0xff, v11
	s_wait_xcnt 0x1
	v_lshlrev_b32_e32 v8, 23, v11
	s_delay_alu instid0(VALU_DEP_1) | instskip(NEXT) | instid1(VALU_DEP_1)
	v_cvt_f64_f32_e32 v[8:9], v8
	v_cndmask_b32_e32 v8, 0x20000000, v8, vcc_lo
	s_delay_alu instid0(VALU_DEP_2) | instskip(SKIP_1) | instid1(VALU_DEP_2)
	v_cndmask_b32_e32 v9, 0x7ff80000, v9, vcc_lo
	v_cmp_ne_u32_e32 vcc_lo, 0, v11
	v_cndmask_b32_e32 v9, 0x38000000, v9, vcc_lo
	s_delay_alu instid0(VALU_DEP_4)
	v_cndmask_b32_e32 v8, 0, v8, vcc_lo
	s_branch .LBB6_1952
.LBB6_1951:
	s_mov_b32 s16, -1
                                        ; implicit-def: $vgpr8_vgpr9
.LBB6_1952:
	s_mov_b32 s19, 0
.LBB6_1953:
	s_delay_alu instid0(SALU_CYCLE_1)
	s_and_b32 vcc_lo, exec_lo, s19
	s_cbranch_vccz .LBB6_1957
; %bb.1954:
	s_cmp_eq_u32 s13, 29
	s_cbranch_scc0 .LBB6_1956
; %bb.1955:
	global_load_b64 v[8:9], v[6:7], off
	s_mov_b32 s16, 0
	s_mov_b32 s18, -1
	s_mov_b32 s19, 0
	s_wait_loadcnt 0x0
	v_cvt_f64_u32_e32 v[14:15], v9
	v_cvt_f64_u32_e32 v[8:9], v8
	s_delay_alu instid0(VALU_DEP_2) | instskip(NEXT) | instid1(VALU_DEP_1)
	v_ldexp_f64 v[14:15], v[14:15], 32
	v_add_f64_e32 v[8:9], v[14:15], v[8:9]
	s_branch .LBB6_1958
.LBB6_1956:
	s_mov_b32 s16, -1
                                        ; implicit-def: $vgpr8_vgpr9
.LBB6_1957:
	s_mov_b32 s19, 0
.LBB6_1958:
	s_delay_alu instid0(SALU_CYCLE_1)
	s_and_b32 vcc_lo, exec_lo, s19
	s_cbranch_vccz .LBB6_1976
; %bb.1959:
	s_cmp_lt_i32 s13, 27
	s_cbranch_scc1 .LBB6_1962
; %bb.1960:
	s_cmp_gt_i32 s13, 27
	s_cbranch_scc0 .LBB6_1963
; %bb.1961:
	global_load_b32 v8, v[6:7], off
	s_mov_b32 s18, 0
	s_wait_loadcnt 0x0
	v_cvt_f64_u32_e32 v[8:9], v8
	s_branch .LBB6_1964
.LBB6_1962:
	s_mov_b32 s18, -1
                                        ; implicit-def: $vgpr8_vgpr9
	s_branch .LBB6_1967
.LBB6_1963:
	s_mov_b32 s18, -1
                                        ; implicit-def: $vgpr8_vgpr9
.LBB6_1964:
	s_delay_alu instid0(SALU_CYCLE_1)
	s_and_not1_b32 vcc_lo, exec_lo, s18
	s_cbranch_vccnz .LBB6_1966
; %bb.1965:
	global_load_u16 v8, v[6:7], off
	s_wait_loadcnt 0x0
	v_cvt_f64_u32_e32 v[8:9], v8
.LBB6_1966:
	s_mov_b32 s18, 0
.LBB6_1967:
	s_delay_alu instid0(SALU_CYCLE_1)
	s_and_not1_b32 vcc_lo, exec_lo, s18
	s_cbranch_vccnz .LBB6_1975
; %bb.1968:
	global_load_u8 v11, v[6:7], off
	s_mov_b32 s18, 0
	s_mov_b32 s19, exec_lo
	s_wait_loadcnt 0x0
	v_cmpx_lt_i16_e32 0x7f, v11
	s_xor_b32 s19, exec_lo, s19
	s_cbranch_execz .LBB6_1989
; %bb.1969:
	s_mov_b32 s18, -1
	s_mov_b32 s20, exec_lo
	v_cmpx_eq_u16_e32 0x80, v11
; %bb.1970:
	s_xor_b32 s18, exec_lo, -1
; %bb.1971:
	s_or_b32 exec_lo, exec_lo, s20
	s_delay_alu instid0(SALU_CYCLE_1)
	s_and_b32 s18, s18, exec_lo
	s_or_saveexec_b32 s19, s19
	v_mov_b64_e32 v[8:9], 0x7ff8000020000000
	s_xor_b32 exec_lo, exec_lo, s19
	s_cbranch_execnz .LBB6_1990
.LBB6_1972:
	s_or_b32 exec_lo, exec_lo, s19
	s_and_saveexec_b32 s19, s18
	s_cbranch_execz .LBB6_1974
.LBB6_1973:
	v_and_b32_e32 v8, 0xffff, v11
	s_delay_alu instid0(VALU_DEP_1) | instskip(SKIP_1) | instid1(VALU_DEP_2)
	v_and_b32_e32 v9, 7, v8
	v_bfe_u32 v15, v8, 3, 4
	v_clz_i32_u32_e32 v13, v9
	s_delay_alu instid0(VALU_DEP_2) | instskip(NEXT) | instid1(VALU_DEP_2)
	v_cmp_eq_u32_e32 vcc_lo, 0, v15
	v_min_u32_e32 v13, 32, v13
	s_delay_alu instid0(VALU_DEP_1) | instskip(NEXT) | instid1(VALU_DEP_1)
	v_subrev_nc_u32_e32 v14, 28, v13
	v_dual_lshlrev_b32 v8, v14, v8 :: v_dual_sub_nc_u32 v13, 29, v13
	s_delay_alu instid0(VALU_DEP_1) | instskip(NEXT) | instid1(VALU_DEP_1)
	v_dual_lshlrev_b32 v11, 24, v11 :: v_dual_bitop2_b32 v8, 7, v8 bitop3:0x40
	v_dual_cndmask_b32 v13, v15, v13 :: v_dual_cndmask_b32 v8, v9, v8
	s_delay_alu instid0(VALU_DEP_2) | instskip(NEXT) | instid1(VALU_DEP_2)
	v_and_b32_e32 v9, 0x80000000, v11
	v_lshl_add_u32 v11, v13, 23, 0x3b800000
	s_delay_alu instid0(VALU_DEP_3) | instskip(NEXT) | instid1(VALU_DEP_1)
	v_lshlrev_b32_e32 v8, 20, v8
	v_or3_b32 v8, v9, v11, v8
	s_delay_alu instid0(VALU_DEP_1)
	v_cvt_f64_f32_e32 v[8:9], v8
.LBB6_1974:
	s_or_b32 exec_lo, exec_lo, s19
.LBB6_1975:
	s_mov_b32 s18, -1
.LBB6_1976:
	s_mov_b32 s19, 0
.LBB6_1977:
	s_delay_alu instid0(SALU_CYCLE_1)
	s_and_b32 vcc_lo, exec_lo, s19
	s_cbranch_vccz .LBB6_2010
; %bb.1978:
	s_cmp_gt_i32 s13, 22
	s_cbranch_scc0 .LBB6_1988
; %bb.1979:
	s_cmp_lt_i32 s13, 24
	s_cbranch_scc1 .LBB6_1991
; %bb.1980:
	s_cmp_gt_i32 s13, 24
	s_cbranch_scc0 .LBB6_1992
; %bb.1981:
	global_load_u8 v11, v[6:7], off
	s_mov_b32 s18, exec_lo
	s_wait_loadcnt 0x0
	v_cmpx_lt_i16_e32 0x7f, v11
	s_xor_b32 s18, exec_lo, s18
	s_cbranch_execz .LBB6_2004
; %bb.1982:
	s_mov_b32 s17, -1
	s_mov_b32 s19, exec_lo
	v_cmpx_eq_u16_e32 0x80, v11
; %bb.1983:
	s_xor_b32 s17, exec_lo, -1
; %bb.1984:
	s_or_b32 exec_lo, exec_lo, s19
	s_delay_alu instid0(SALU_CYCLE_1)
	s_and_b32 s17, s17, exec_lo
	s_or_saveexec_b32 s18, s18
	v_mov_b64_e32 v[8:9], 0x7ff8000020000000
	s_xor_b32 exec_lo, exec_lo, s18
	s_cbranch_execnz .LBB6_2005
.LBB6_1985:
	s_or_b32 exec_lo, exec_lo, s18
	s_and_saveexec_b32 s18, s17
	s_cbranch_execz .LBB6_1987
.LBB6_1986:
	v_and_b32_e32 v8, 0xffff, v11
	s_delay_alu instid0(VALU_DEP_1) | instskip(SKIP_1) | instid1(VALU_DEP_2)
	v_and_b32_e32 v9, 3, v8
	v_bfe_u32 v15, v8, 2, 5
	v_clz_i32_u32_e32 v13, v9
	s_delay_alu instid0(VALU_DEP_2) | instskip(NEXT) | instid1(VALU_DEP_2)
	v_cmp_eq_u32_e32 vcc_lo, 0, v15
	v_min_u32_e32 v13, 32, v13
	s_delay_alu instid0(VALU_DEP_1) | instskip(NEXT) | instid1(VALU_DEP_1)
	v_subrev_nc_u32_e32 v14, 29, v13
	v_dual_lshlrev_b32 v8, v14, v8 :: v_dual_sub_nc_u32 v13, 30, v13
	s_delay_alu instid0(VALU_DEP_1) | instskip(NEXT) | instid1(VALU_DEP_1)
	v_dual_lshlrev_b32 v11, 24, v11 :: v_dual_bitop2_b32 v8, 3, v8 bitop3:0x40
	v_dual_cndmask_b32 v13, v15, v13 :: v_dual_cndmask_b32 v8, v9, v8
	s_delay_alu instid0(VALU_DEP_2) | instskip(NEXT) | instid1(VALU_DEP_2)
	v_and_b32_e32 v9, 0x80000000, v11
	v_lshl_add_u32 v11, v13, 23, 0x37800000
	s_delay_alu instid0(VALU_DEP_3) | instskip(NEXT) | instid1(VALU_DEP_1)
	v_lshlrev_b32_e32 v8, 21, v8
	v_or3_b32 v8, v9, v11, v8
	s_delay_alu instid0(VALU_DEP_1)
	v_cvt_f64_f32_e32 v[8:9], v8
.LBB6_1987:
	s_or_b32 exec_lo, exec_lo, s18
	s_mov_b32 s17, 0
	s_branch .LBB6_1993
.LBB6_1988:
	s_mov_b32 s17, -1
                                        ; implicit-def: $vgpr8_vgpr9
	s_branch .LBB6_1999
.LBB6_1989:
	s_or_saveexec_b32 s19, s19
	v_mov_b64_e32 v[8:9], 0x7ff8000020000000
	s_xor_b32 exec_lo, exec_lo, s19
	s_cbranch_execz .LBB6_1972
.LBB6_1990:
	v_cmp_ne_u16_e32 vcc_lo, 0, v11
	v_mov_b64_e32 v[8:9], 0
	s_and_not1_b32 s18, s18, exec_lo
	s_and_b32 s20, vcc_lo, exec_lo
	s_delay_alu instid0(SALU_CYCLE_1)
	s_or_b32 s18, s18, s20
	s_or_b32 exec_lo, exec_lo, s19
	s_and_saveexec_b32 s19, s18
	s_cbranch_execnz .LBB6_1973
	s_branch .LBB6_1974
.LBB6_1991:
	s_mov_b32 s17, -1
                                        ; implicit-def: $vgpr8_vgpr9
	s_branch .LBB6_1996
.LBB6_1992:
	s_mov_b32 s17, -1
                                        ; implicit-def: $vgpr8_vgpr9
.LBB6_1993:
	s_delay_alu instid0(SALU_CYCLE_1)
	s_and_b32 vcc_lo, exec_lo, s17
	s_cbranch_vccz .LBB6_1995
; %bb.1994:
	global_load_u8 v8, v[6:7], off
	s_wait_loadcnt 0x0
	v_lshlrev_b32_e32 v8, 24, v8
	s_delay_alu instid0(VALU_DEP_1) | instskip(NEXT) | instid1(VALU_DEP_1)
	v_and_b32_e32 v9, 0x7f000000, v8
	v_clz_i32_u32_e32 v11, v9
	v_cmp_ne_u32_e32 vcc_lo, 0, v9
	v_add_nc_u32_e32 v14, 0x1000000, v9
	s_delay_alu instid0(VALU_DEP_3) | instskip(NEXT) | instid1(VALU_DEP_1)
	v_min_u32_e32 v11, 32, v11
	v_sub_nc_u32_e64 v11, v11, 4 clamp
	s_delay_alu instid0(VALU_DEP_1) | instskip(NEXT) | instid1(VALU_DEP_1)
	v_dual_lshlrev_b32 v13, v11, v9 :: v_dual_lshlrev_b32 v11, 23, v11
	v_lshrrev_b32_e32 v13, 4, v13
	s_delay_alu instid0(VALU_DEP_1) | instskip(NEXT) | instid1(VALU_DEP_1)
	v_dual_sub_nc_u32 v11, v13, v11 :: v_dual_ashrrev_i32 v13, 8, v14
	v_add_nc_u32_e32 v11, 0x3c000000, v11
	s_delay_alu instid0(VALU_DEP_1) | instskip(NEXT) | instid1(VALU_DEP_1)
	v_and_or_b32 v11, 0x7f800000, v13, v11
	v_cndmask_b32_e32 v9, 0, v11, vcc_lo
	s_delay_alu instid0(VALU_DEP_1) | instskip(NEXT) | instid1(VALU_DEP_1)
	v_and_or_b32 v8, 0x80000000, v8, v9
	v_cvt_f64_f32_e32 v[8:9], v8
.LBB6_1995:
	s_mov_b32 s17, 0
.LBB6_1996:
	s_delay_alu instid0(SALU_CYCLE_1)
	s_and_not1_b32 vcc_lo, exec_lo, s17
	s_cbranch_vccnz .LBB6_1998
; %bb.1997:
	global_load_u8 v8, v[6:7], off
	s_wait_loadcnt 0x0
	v_lshlrev_b32_e32 v9, 25, v8
	v_lshlrev_b16 v8, 8, v8
	s_delay_alu instid0(VALU_DEP_1) | instskip(SKIP_1) | instid1(VALU_DEP_2)
	v_and_or_b32 v13, 0x7f00, v8, 0.5
	v_bfe_i32 v8, v8, 0, 16
	v_add_f32_e32 v13, -0.5, v13
	v_lshrrev_b32_e32 v11, 4, v9
	v_cmp_gt_u32_e32 vcc_lo, 0x8000000, v9
	s_delay_alu instid0(VALU_DEP_2) | instskip(NEXT) | instid1(VALU_DEP_1)
	v_or_b32_e32 v11, 0x70000000, v11
	v_mul_f32_e32 v11, 0x7800000, v11
	s_delay_alu instid0(VALU_DEP_1) | instskip(NEXT) | instid1(VALU_DEP_1)
	v_cndmask_b32_e32 v9, v11, v13, vcc_lo
	v_and_or_b32 v8, 0x80000000, v8, v9
	s_delay_alu instid0(VALU_DEP_1)
	v_cvt_f64_f32_e32 v[8:9], v8
.LBB6_1998:
	s_mov_b32 s17, 0
	s_mov_b32 s18, -1
.LBB6_1999:
	s_and_not1_b32 vcc_lo, exec_lo, s17
	s_mov_b32 s17, 0
	s_cbranch_vccnz .LBB6_2010
; %bb.2000:
	s_cmp_gt_i32 s13, 14
	s_cbranch_scc0 .LBB6_2003
; %bb.2001:
	s_cmp_eq_u32 s13, 15
	s_cbranch_scc0 .LBB6_2006
; %bb.2002:
	global_load_u16 v8, v[6:7], off
	s_mov_b32 s16, 0
	s_mov_b32 s18, -1
	s_wait_loadcnt 0x0
	v_lshlrev_b32_e32 v8, 16, v8
	s_delay_alu instid0(VALU_DEP_1)
	v_cvt_f64_f32_e32 v[8:9], v8
	s_branch .LBB6_2008
.LBB6_2003:
	s_mov_b32 s17, -1
	s_branch .LBB6_2007
.LBB6_2004:
	s_or_saveexec_b32 s18, s18
	v_mov_b64_e32 v[8:9], 0x7ff8000020000000
	s_xor_b32 exec_lo, exec_lo, s18
	s_cbranch_execz .LBB6_1985
.LBB6_2005:
	v_cmp_ne_u16_e32 vcc_lo, 0, v11
	v_mov_b64_e32 v[8:9], 0
	s_and_not1_b32 s17, s17, exec_lo
	s_and_b32 s19, vcc_lo, exec_lo
	s_delay_alu instid0(SALU_CYCLE_1)
	s_or_b32 s17, s17, s19
	s_or_b32 exec_lo, exec_lo, s18
	s_and_saveexec_b32 s18, s17
	s_cbranch_execnz .LBB6_1986
	s_branch .LBB6_1987
.LBB6_2006:
	s_mov_b32 s16, -1
.LBB6_2007:
                                        ; implicit-def: $vgpr8_vgpr9
.LBB6_2008:
	s_and_b32 vcc_lo, exec_lo, s17
	s_mov_b32 s17, 0
	s_cbranch_vccz .LBB6_2010
; %bb.2009:
	s_cmp_lg_u32 s13, 11
	s_mov_b32 s17, -1
	s_cselect_b32 s16, -1, 0
.LBB6_2010:
	s_delay_alu instid0(SALU_CYCLE_1)
	s_and_b32 vcc_lo, exec_lo, s16
	s_cbranch_vccnz .LBB6_2075
; %bb.2011:
	s_and_not1_b32 vcc_lo, exec_lo, s17
	s_cbranch_vccnz .LBB6_2013
.LBB6_2012:
	global_load_u8 v8, v[6:7], off
	s_mov_b32 s18, -1
	s_wait_loadcnt 0x0
	v_cmp_ne_u16_e32 vcc_lo, 0, v8
	v_mov_b32_e32 v8, 0
	v_cndmask_b32_e64 v9, 0, 0x3ff00000, vcc_lo
.LBB6_2013:
	s_mov_b32 s13, 0
.LBB6_2014:
	s_delay_alu instid0(SALU_CYCLE_1)
	s_and_b32 vcc_lo, exec_lo, s13
	s_cbranch_vccz .LBB6_2063
; %bb.2015:
	s_and_b32 s13, 0xffff, s1
	s_delay_alu instid0(SALU_CYCLE_1)
	s_cmp_lt_i32 s13, 5
	s_cbranch_scc1 .LBB6_2020
; %bb.2016:
	s_cmp_lt_i32 s13, 8
	s_cbranch_scc1 .LBB6_2021
; %bb.2017:
	;; [unrolled: 3-line block ×3, first 2 shown]
	s_cmp_gt_i32 s13, 9
	s_cbranch_scc0 .LBB6_2023
; %bb.2019:
	global_load_b64 v[8:9], v[6:7], off
	s_mov_b32 s16, 0
	s_branch .LBB6_2024
.LBB6_2020:
	s_mov_b32 s16, -1
                                        ; implicit-def: $vgpr8_vgpr9
	s_branch .LBB6_2042
.LBB6_2021:
	s_mov_b32 s16, -1
                                        ; implicit-def: $vgpr8_vgpr9
	s_branch .LBB6_2030
.LBB6_2022:
	s_mov_b32 s16, -1
                                        ; implicit-def: $vgpr8_vgpr9
	s_branch .LBB6_2027
.LBB6_2023:
	s_mov_b32 s16, -1
                                        ; implicit-def: $vgpr8_vgpr9
.LBB6_2024:
	s_delay_alu instid0(SALU_CYCLE_1)
	s_and_not1_b32 vcc_lo, exec_lo, s16
	s_cbranch_vccnz .LBB6_2026
; %bb.2025:
	s_wait_loadcnt 0x0
	global_load_b32 v8, v[6:7], off
	s_wait_loadcnt 0x0
	v_cvt_f64_f32_e32 v[8:9], v8
.LBB6_2026:
	s_mov_b32 s16, 0
.LBB6_2027:
	s_delay_alu instid0(SALU_CYCLE_1)
	s_and_not1_b32 vcc_lo, exec_lo, s16
	s_cbranch_vccnz .LBB6_2029
; %bb.2028:
	s_wait_loadcnt 0x0
	global_load_b32 v8, v[6:7], off
	s_wait_loadcnt 0x0
	v_cvt_f32_f16_e32 v8, v8
	s_delay_alu instid0(VALU_DEP_1)
	v_cvt_f64_f32_e32 v[8:9], v8
.LBB6_2029:
	s_mov_b32 s16, 0
.LBB6_2030:
	s_delay_alu instid0(SALU_CYCLE_1)
	s_and_not1_b32 vcc_lo, exec_lo, s16
	s_cbranch_vccnz .LBB6_2041
; %bb.2031:
	s_cmp_lt_i32 s13, 6
	s_cbranch_scc1 .LBB6_2034
; %bb.2032:
	s_cmp_gt_i32 s13, 6
	s_cbranch_scc0 .LBB6_2035
; %bb.2033:
	s_wait_loadcnt 0x0
	global_load_b64 v[8:9], v[6:7], off
	s_mov_b32 s16, 0
	s_branch .LBB6_2036
.LBB6_2034:
	s_mov_b32 s16, -1
                                        ; implicit-def: $vgpr8_vgpr9
	s_branch .LBB6_2039
.LBB6_2035:
	s_mov_b32 s16, -1
                                        ; implicit-def: $vgpr8_vgpr9
.LBB6_2036:
	s_delay_alu instid0(SALU_CYCLE_1)
	s_and_not1_b32 vcc_lo, exec_lo, s16
	s_cbranch_vccnz .LBB6_2038
; %bb.2037:
	s_wait_loadcnt 0x0
	global_load_b32 v8, v[6:7], off
	s_wait_loadcnt 0x0
	v_cvt_f64_f32_e32 v[8:9], v8
.LBB6_2038:
	s_mov_b32 s16, 0
.LBB6_2039:
	s_delay_alu instid0(SALU_CYCLE_1)
	s_and_not1_b32 vcc_lo, exec_lo, s16
	s_cbranch_vccnz .LBB6_2041
; %bb.2040:
	s_wait_loadcnt 0x0
	global_load_u16 v8, v[6:7], off
	s_wait_loadcnt 0x0
	v_cvt_f32_f16_e32 v8, v8
	s_delay_alu instid0(VALU_DEP_1)
	v_cvt_f64_f32_e32 v[8:9], v8
.LBB6_2041:
	s_mov_b32 s16, 0
.LBB6_2042:
	s_delay_alu instid0(SALU_CYCLE_1)
	s_and_not1_b32 vcc_lo, exec_lo, s16
	s_cbranch_vccnz .LBB6_2062
; %bb.2043:
	s_cmp_lt_i32 s13, 2
	s_cbranch_scc1 .LBB6_2047
; %bb.2044:
	s_cmp_lt_i32 s13, 3
	s_cbranch_scc1 .LBB6_2048
; %bb.2045:
	s_cmp_gt_i32 s13, 3
	s_cbranch_scc0 .LBB6_2049
; %bb.2046:
	s_wait_loadcnt 0x0
	global_load_b64 v[8:9], v[6:7], off
	s_mov_b32 s16, 0
	s_wait_loadcnt 0x0
	v_cvt_f64_i32_e32 v[14:15], v9
	v_cvt_f64_u32_e32 v[8:9], v8
	s_delay_alu instid0(VALU_DEP_2) | instskip(NEXT) | instid1(VALU_DEP_1)
	v_ldexp_f64 v[14:15], v[14:15], 32
	v_add_f64_e32 v[8:9], v[14:15], v[8:9]
	s_branch .LBB6_2050
.LBB6_2047:
	s_mov_b32 s16, -1
                                        ; implicit-def: $vgpr8_vgpr9
	s_branch .LBB6_2056
.LBB6_2048:
	s_mov_b32 s16, -1
                                        ; implicit-def: $vgpr8_vgpr9
	s_branch .LBB6_2053
.LBB6_2049:
	s_mov_b32 s16, -1
                                        ; implicit-def: $vgpr8_vgpr9
.LBB6_2050:
	s_delay_alu instid0(SALU_CYCLE_1)
	s_and_not1_b32 vcc_lo, exec_lo, s16
	s_cbranch_vccnz .LBB6_2052
; %bb.2051:
	s_wait_loadcnt 0x0
	global_load_b32 v8, v[6:7], off
	s_wait_loadcnt 0x0
	v_cvt_f64_i32_e32 v[8:9], v8
.LBB6_2052:
	s_mov_b32 s16, 0
.LBB6_2053:
	s_delay_alu instid0(SALU_CYCLE_1)
	s_and_not1_b32 vcc_lo, exec_lo, s16
	s_cbranch_vccnz .LBB6_2055
; %bb.2054:
	s_wait_loadcnt 0x0
	global_load_i16 v8, v[6:7], off
	s_wait_loadcnt 0x0
	v_cvt_f64_i32_e32 v[8:9], v8
.LBB6_2055:
	s_mov_b32 s16, 0
.LBB6_2056:
	s_delay_alu instid0(SALU_CYCLE_1)
	s_and_not1_b32 vcc_lo, exec_lo, s16
	s_cbranch_vccnz .LBB6_2062
; %bb.2057:
	s_cmp_gt_i32 s13, 0
	s_mov_b32 s13, 0
	s_cbranch_scc0 .LBB6_2059
; %bb.2058:
	s_wait_loadcnt 0x0
	global_load_i8 v8, v[6:7], off
	s_wait_loadcnt 0x0
	v_cvt_f64_i32_e32 v[8:9], v8
	s_branch .LBB6_2060
.LBB6_2059:
	s_mov_b32 s13, -1
                                        ; implicit-def: $vgpr8_vgpr9
.LBB6_2060:
	s_delay_alu instid0(SALU_CYCLE_1)
	s_and_not1_b32 vcc_lo, exec_lo, s13
	s_cbranch_vccnz .LBB6_2062
; %bb.2061:
	global_load_u8 v6, v[6:7], off
	s_wait_loadcnt 0x0
	v_cvt_f64_u32_e32 v[8:9], v6
.LBB6_2062:
	s_mov_b32 s18, -1
.LBB6_2063:
	s_delay_alu instid0(SALU_CYCLE_1)
	s_and_not1_b32 vcc_lo, exec_lo, s18
	s_cbranch_vccnz .LBB6_3023
; %bb.2064:
	v_add_nc_u32_e32 v10, s9, v10
	s_cmp_lt_i32 s0, 11
	s_delay_alu instid0(VALU_DEP_1) | instskip(NEXT) | instid1(VALU_DEP_1)
	v_ashrrev_i32_e32 v11, 31, v10
	v_add_nc_u64_e32 v[14:15], s[6:7], v[10:11]
	s_cbranch_scc1 .LBB6_2071
; %bb.2065:
	s_and_b32 s13, 0xffff, s0
	s_mov_b32 s17, 0
	s_cmp_gt_i32 s13, 25
	s_cbranch_scc0 .LBB6_2072
; %bb.2066:
	s_cmp_gt_i32 s13, 28
	s_cbranch_scc0 .LBB6_2073
; %bb.2067:
	;; [unrolled: 3-line block ×4, first 2 shown]
	s_cmp_eq_u32 s13, 46
	s_mov_b32 s19, 0
	s_cbranch_scc0 .LBB6_2077
; %bb.2070:
	global_load_b32 v6, v[14:15], off
	s_mov_b32 s16, 0
	s_mov_b32 s18, -1
	s_wait_loadcnt 0x0
	v_lshlrev_b32_e32 v6, 16, v6
	s_delay_alu instid0(VALU_DEP_1)
	v_cvt_f64_f32_e32 v[6:7], v6
	s_branch .LBB6_2079
.LBB6_2071:
	s_mov_b32 s13, -1
	s_mov_b32 s18, 0
                                        ; implicit-def: $vgpr6_vgpr7
	s_branch .LBB6_2145
.LBB6_2072:
	s_mov_b32 s19, -1
	s_mov_b32 s18, 0
	s_mov_b32 s16, 0
                                        ; implicit-def: $vgpr6_vgpr7
	s_branch .LBB6_2108
.LBB6_2073:
	s_mov_b32 s19, -1
	s_mov_b32 s18, 0
	s_mov_b32 s16, 0
                                        ; implicit-def: $vgpr6_vgpr7
	s_branch .LBB6_2089
.LBB6_2074:
	s_mov_b32 s19, -1
	s_mov_b32 s18, 0
	s_mov_b32 s16, 0
                                        ; implicit-def: $vgpr6_vgpr7
	s_branch .LBB6_2084
.LBB6_2075:
	s_or_b32 s12, s12, exec_lo
	s_trap 2
	s_cbranch_execz .LBB6_2012
	s_branch .LBB6_2013
.LBB6_2076:
	s_mov_b32 s19, -1
	s_mov_b32 s18, 0
	s_mov_b32 s16, 0
	s_branch .LBB6_2078
.LBB6_2077:
	s_mov_b32 s16, -1
	s_mov_b32 s18, 0
.LBB6_2078:
                                        ; implicit-def: $vgpr6_vgpr7
.LBB6_2079:
	s_and_b32 vcc_lo, exec_lo, s19
	s_cbranch_vccz .LBB6_2083
; %bb.2080:
	s_cmp_eq_u32 s13, 44
	s_cbranch_scc0 .LBB6_2082
; %bb.2081:
	global_load_u8 v11, v[14:15], off
	s_mov_b32 s16, 0
	s_mov_b32 s18, -1
	s_wait_loadcnt 0x0
	s_wait_xcnt 0x1
	v_lshlrev_b32_e32 v6, 23, v11
	v_cmp_ne_u32_e32 vcc_lo, 0xff, v11
	s_delay_alu instid0(VALU_DEP_2) | instskip(NEXT) | instid1(VALU_DEP_1)
	v_cvt_f64_f32_e32 v[6:7], v6
	v_cndmask_b32_e32 v6, 0x20000000, v6, vcc_lo
	s_delay_alu instid0(VALU_DEP_2) | instskip(SKIP_1) | instid1(VALU_DEP_2)
	v_cndmask_b32_e32 v7, 0x7ff80000, v7, vcc_lo
	v_cmp_ne_u32_e32 vcc_lo, 0, v11
	v_cndmask_b32_e32 v7, 0x38000000, v7, vcc_lo
	s_delay_alu instid0(VALU_DEP_4)
	v_cndmask_b32_e32 v6, 0, v6, vcc_lo
	s_branch .LBB6_2083
.LBB6_2082:
	s_mov_b32 s16, -1
                                        ; implicit-def: $vgpr6_vgpr7
.LBB6_2083:
	s_mov_b32 s19, 0
.LBB6_2084:
	s_delay_alu instid0(SALU_CYCLE_1)
	s_and_b32 vcc_lo, exec_lo, s19
	s_cbranch_vccz .LBB6_2088
; %bb.2085:
	s_cmp_eq_u32 s13, 29
	s_cbranch_scc0 .LBB6_2087
; %bb.2086:
	global_load_b64 v[6:7], v[14:15], off
	s_mov_b32 s16, 0
	s_mov_b32 s18, -1
	s_mov_b32 s19, 0
	s_wait_loadcnt 0x0
	v_cvt_f64_u32_e32 v[16:17], v7
	v_cvt_f64_u32_e32 v[6:7], v6
	s_delay_alu instid0(VALU_DEP_2) | instskip(NEXT) | instid1(VALU_DEP_1)
	v_ldexp_f64 v[16:17], v[16:17], 32
	v_add_f64_e32 v[6:7], v[16:17], v[6:7]
	s_branch .LBB6_2089
.LBB6_2087:
	s_mov_b32 s16, -1
                                        ; implicit-def: $vgpr6_vgpr7
.LBB6_2088:
	s_mov_b32 s19, 0
.LBB6_2089:
	s_delay_alu instid0(SALU_CYCLE_1)
	s_and_b32 vcc_lo, exec_lo, s19
	s_cbranch_vccz .LBB6_2107
; %bb.2090:
	s_cmp_lt_i32 s13, 27
	s_cbranch_scc1 .LBB6_2093
; %bb.2091:
	s_cmp_gt_i32 s13, 27
	s_cbranch_scc0 .LBB6_2094
; %bb.2092:
	global_load_b32 v6, v[14:15], off
	s_mov_b32 s18, 0
	s_wait_loadcnt 0x0
	v_cvt_f64_u32_e32 v[6:7], v6
	s_branch .LBB6_2095
.LBB6_2093:
	s_mov_b32 s18, -1
                                        ; implicit-def: $vgpr6_vgpr7
	s_branch .LBB6_2098
.LBB6_2094:
	s_mov_b32 s18, -1
                                        ; implicit-def: $vgpr6_vgpr7
.LBB6_2095:
	s_delay_alu instid0(SALU_CYCLE_1)
	s_and_not1_b32 vcc_lo, exec_lo, s18
	s_cbranch_vccnz .LBB6_2097
; %bb.2096:
	global_load_u16 v6, v[14:15], off
	s_wait_loadcnt 0x0
	v_cvt_f64_u32_e32 v[6:7], v6
.LBB6_2097:
	s_mov_b32 s18, 0
.LBB6_2098:
	s_delay_alu instid0(SALU_CYCLE_1)
	s_and_not1_b32 vcc_lo, exec_lo, s18
	s_cbranch_vccnz .LBB6_2106
; %bb.2099:
	global_load_u8 v11, v[14:15], off
	s_mov_b32 s18, 0
	s_mov_b32 s19, exec_lo
	s_wait_loadcnt 0x0
	v_cmpx_lt_i16_e32 0x7f, v11
	s_xor_b32 s19, exec_lo, s19
	s_cbranch_execz .LBB6_2120
; %bb.2100:
	s_mov_b32 s18, -1
	s_mov_b32 s20, exec_lo
	v_cmpx_eq_u16_e32 0x80, v11
; %bb.2101:
	s_xor_b32 s18, exec_lo, -1
; %bb.2102:
	s_or_b32 exec_lo, exec_lo, s20
	s_delay_alu instid0(SALU_CYCLE_1)
	s_and_b32 s18, s18, exec_lo
	s_or_saveexec_b32 s19, s19
	v_mov_b64_e32 v[6:7], 0x7ff8000020000000
	s_xor_b32 exec_lo, exec_lo, s19
	s_cbranch_execnz .LBB6_2121
.LBB6_2103:
	s_or_b32 exec_lo, exec_lo, s19
	s_and_saveexec_b32 s19, s18
	s_cbranch_execz .LBB6_2105
.LBB6_2104:
	v_and_b32_e32 v6, 0xffff, v11
	s_delay_alu instid0(VALU_DEP_1) | instskip(SKIP_1) | instid1(VALU_DEP_2)
	v_and_b32_e32 v7, 7, v6
	v_bfe_u32 v17, v6, 3, 4
	v_clz_i32_u32_e32 v13, v7
	s_delay_alu instid0(VALU_DEP_2) | instskip(NEXT) | instid1(VALU_DEP_2)
	v_cmp_eq_u32_e32 vcc_lo, 0, v17
	v_min_u32_e32 v13, 32, v13
	s_delay_alu instid0(VALU_DEP_1) | instskip(NEXT) | instid1(VALU_DEP_1)
	v_subrev_nc_u32_e32 v16, 28, v13
	v_dual_lshlrev_b32 v6, v16, v6 :: v_dual_sub_nc_u32 v13, 29, v13
	s_delay_alu instid0(VALU_DEP_1) | instskip(NEXT) | instid1(VALU_DEP_1)
	v_dual_lshlrev_b32 v11, 24, v11 :: v_dual_bitop2_b32 v6, 7, v6 bitop3:0x40
	v_dual_cndmask_b32 v13, v17, v13 :: v_dual_cndmask_b32 v6, v7, v6
	s_delay_alu instid0(VALU_DEP_2) | instskip(NEXT) | instid1(VALU_DEP_2)
	v_and_b32_e32 v7, 0x80000000, v11
	v_lshl_add_u32 v11, v13, 23, 0x3b800000
	s_delay_alu instid0(VALU_DEP_3) | instskip(NEXT) | instid1(VALU_DEP_1)
	v_lshlrev_b32_e32 v6, 20, v6
	v_or3_b32 v6, v7, v11, v6
	s_delay_alu instid0(VALU_DEP_1)
	v_cvt_f64_f32_e32 v[6:7], v6
.LBB6_2105:
	s_or_b32 exec_lo, exec_lo, s19
.LBB6_2106:
	s_mov_b32 s18, -1
.LBB6_2107:
	s_mov_b32 s19, 0
.LBB6_2108:
	s_delay_alu instid0(SALU_CYCLE_1)
	s_and_b32 vcc_lo, exec_lo, s19
	s_cbranch_vccz .LBB6_2141
; %bb.2109:
	s_cmp_gt_i32 s13, 22
	s_cbranch_scc0 .LBB6_2119
; %bb.2110:
	s_cmp_lt_i32 s13, 24
	s_cbranch_scc1 .LBB6_2122
; %bb.2111:
	s_cmp_gt_i32 s13, 24
	s_cbranch_scc0 .LBB6_2123
; %bb.2112:
	global_load_u8 v11, v[14:15], off
	s_mov_b32 s18, exec_lo
	s_wait_loadcnt 0x0
	v_cmpx_lt_i16_e32 0x7f, v11
	s_xor_b32 s18, exec_lo, s18
	s_cbranch_execz .LBB6_2135
; %bb.2113:
	s_mov_b32 s17, -1
	s_mov_b32 s19, exec_lo
	v_cmpx_eq_u16_e32 0x80, v11
; %bb.2114:
	s_xor_b32 s17, exec_lo, -1
; %bb.2115:
	s_or_b32 exec_lo, exec_lo, s19
	s_delay_alu instid0(SALU_CYCLE_1)
	s_and_b32 s17, s17, exec_lo
	s_or_saveexec_b32 s18, s18
	v_mov_b64_e32 v[6:7], 0x7ff8000020000000
	s_xor_b32 exec_lo, exec_lo, s18
	s_cbranch_execnz .LBB6_2136
.LBB6_2116:
	s_or_b32 exec_lo, exec_lo, s18
	s_and_saveexec_b32 s18, s17
	s_cbranch_execz .LBB6_2118
.LBB6_2117:
	v_and_b32_e32 v6, 0xffff, v11
	s_delay_alu instid0(VALU_DEP_1) | instskip(SKIP_1) | instid1(VALU_DEP_2)
	v_and_b32_e32 v7, 3, v6
	v_bfe_u32 v17, v6, 2, 5
	v_clz_i32_u32_e32 v13, v7
	s_delay_alu instid0(VALU_DEP_2) | instskip(NEXT) | instid1(VALU_DEP_2)
	v_cmp_eq_u32_e32 vcc_lo, 0, v17
	v_min_u32_e32 v13, 32, v13
	s_delay_alu instid0(VALU_DEP_1) | instskip(NEXT) | instid1(VALU_DEP_1)
	v_subrev_nc_u32_e32 v16, 29, v13
	v_dual_lshlrev_b32 v6, v16, v6 :: v_dual_sub_nc_u32 v13, 30, v13
	s_delay_alu instid0(VALU_DEP_1) | instskip(NEXT) | instid1(VALU_DEP_1)
	v_dual_lshlrev_b32 v11, 24, v11 :: v_dual_bitop2_b32 v6, 3, v6 bitop3:0x40
	v_dual_cndmask_b32 v13, v17, v13 :: v_dual_cndmask_b32 v6, v7, v6
	s_delay_alu instid0(VALU_DEP_2) | instskip(NEXT) | instid1(VALU_DEP_2)
	v_and_b32_e32 v7, 0x80000000, v11
	v_lshl_add_u32 v11, v13, 23, 0x37800000
	s_delay_alu instid0(VALU_DEP_3) | instskip(NEXT) | instid1(VALU_DEP_1)
	v_lshlrev_b32_e32 v6, 21, v6
	v_or3_b32 v6, v7, v11, v6
	s_delay_alu instid0(VALU_DEP_1)
	v_cvt_f64_f32_e32 v[6:7], v6
.LBB6_2118:
	s_or_b32 exec_lo, exec_lo, s18
	s_mov_b32 s17, 0
	s_branch .LBB6_2124
.LBB6_2119:
	s_mov_b32 s17, -1
                                        ; implicit-def: $vgpr6_vgpr7
	s_branch .LBB6_2130
.LBB6_2120:
	s_or_saveexec_b32 s19, s19
	v_mov_b64_e32 v[6:7], 0x7ff8000020000000
	s_xor_b32 exec_lo, exec_lo, s19
	s_cbranch_execz .LBB6_2103
.LBB6_2121:
	v_cmp_ne_u16_e32 vcc_lo, 0, v11
	v_mov_b64_e32 v[6:7], 0
	s_and_not1_b32 s18, s18, exec_lo
	s_and_b32 s20, vcc_lo, exec_lo
	s_delay_alu instid0(SALU_CYCLE_1)
	s_or_b32 s18, s18, s20
	s_or_b32 exec_lo, exec_lo, s19
	s_and_saveexec_b32 s19, s18
	s_cbranch_execnz .LBB6_2104
	s_branch .LBB6_2105
.LBB6_2122:
	s_mov_b32 s17, -1
                                        ; implicit-def: $vgpr6_vgpr7
	s_branch .LBB6_2127
.LBB6_2123:
	s_mov_b32 s17, -1
                                        ; implicit-def: $vgpr6_vgpr7
.LBB6_2124:
	s_delay_alu instid0(SALU_CYCLE_1)
	s_and_b32 vcc_lo, exec_lo, s17
	s_cbranch_vccz .LBB6_2126
; %bb.2125:
	global_load_u8 v6, v[14:15], off
	s_wait_loadcnt 0x0
	v_lshlrev_b32_e32 v6, 24, v6
	s_delay_alu instid0(VALU_DEP_1) | instskip(NEXT) | instid1(VALU_DEP_1)
	v_and_b32_e32 v7, 0x7f000000, v6
	v_clz_i32_u32_e32 v11, v7
	v_add_nc_u32_e32 v16, 0x1000000, v7
	v_cmp_ne_u32_e32 vcc_lo, 0, v7
	s_delay_alu instid0(VALU_DEP_3) | instskip(NEXT) | instid1(VALU_DEP_1)
	v_min_u32_e32 v11, 32, v11
	v_sub_nc_u32_e64 v11, v11, 4 clamp
	s_delay_alu instid0(VALU_DEP_1) | instskip(NEXT) | instid1(VALU_DEP_1)
	v_lshlrev_b32_e32 v13, v11, v7
	v_dual_lshlrev_b32 v11, 23, v11 :: v_dual_lshrrev_b32 v13, 4, v13
	s_delay_alu instid0(VALU_DEP_1) | instskip(NEXT) | instid1(VALU_DEP_1)
	v_dual_sub_nc_u32 v11, v13, v11 :: v_dual_ashrrev_i32 v13, 8, v16
	v_add_nc_u32_e32 v11, 0x3c000000, v11
	s_delay_alu instid0(VALU_DEP_1) | instskip(NEXT) | instid1(VALU_DEP_1)
	v_and_or_b32 v11, 0x7f800000, v13, v11
	v_cndmask_b32_e32 v7, 0, v11, vcc_lo
	s_delay_alu instid0(VALU_DEP_1) | instskip(NEXT) | instid1(VALU_DEP_1)
	v_and_or_b32 v6, 0x80000000, v6, v7
	v_cvt_f64_f32_e32 v[6:7], v6
.LBB6_2126:
	s_mov_b32 s17, 0
.LBB6_2127:
	s_delay_alu instid0(SALU_CYCLE_1)
	s_and_not1_b32 vcc_lo, exec_lo, s17
	s_cbranch_vccnz .LBB6_2129
; %bb.2128:
	global_load_u8 v6, v[14:15], off
	s_wait_loadcnt 0x0
	v_lshlrev_b32_e32 v7, 25, v6
	v_lshlrev_b16 v6, 8, v6
	s_delay_alu instid0(VALU_DEP_1) | instskip(SKIP_1) | instid1(VALU_DEP_2)
	v_and_or_b32 v13, 0x7f00, v6, 0.5
	v_bfe_i32 v6, v6, 0, 16
	v_dual_add_f32 v13, -0.5, v13 :: v_dual_lshrrev_b32 v11, 4, v7
	v_cmp_gt_u32_e32 vcc_lo, 0x8000000, v7
	s_delay_alu instid0(VALU_DEP_2) | instskip(NEXT) | instid1(VALU_DEP_1)
	v_or_b32_e32 v11, 0x70000000, v11
	v_mul_f32_e32 v11, 0x7800000, v11
	s_delay_alu instid0(VALU_DEP_1) | instskip(NEXT) | instid1(VALU_DEP_1)
	v_cndmask_b32_e32 v7, v11, v13, vcc_lo
	v_and_or_b32 v6, 0x80000000, v6, v7
	s_delay_alu instid0(VALU_DEP_1)
	v_cvt_f64_f32_e32 v[6:7], v6
.LBB6_2129:
	s_mov_b32 s17, 0
	s_mov_b32 s18, -1
.LBB6_2130:
	s_and_not1_b32 vcc_lo, exec_lo, s17
	s_mov_b32 s17, 0
	s_cbranch_vccnz .LBB6_2141
; %bb.2131:
	s_cmp_gt_i32 s13, 14
	s_cbranch_scc0 .LBB6_2134
; %bb.2132:
	s_cmp_eq_u32 s13, 15
	s_cbranch_scc0 .LBB6_2137
; %bb.2133:
	global_load_u16 v6, v[14:15], off
	s_mov_b32 s16, 0
	s_mov_b32 s18, -1
	s_wait_loadcnt 0x0
	v_lshlrev_b32_e32 v6, 16, v6
	s_delay_alu instid0(VALU_DEP_1)
	v_cvt_f64_f32_e32 v[6:7], v6
	s_branch .LBB6_2139
.LBB6_2134:
	s_mov_b32 s17, -1
	s_branch .LBB6_2138
.LBB6_2135:
	s_or_saveexec_b32 s18, s18
	v_mov_b64_e32 v[6:7], 0x7ff8000020000000
	s_xor_b32 exec_lo, exec_lo, s18
	s_cbranch_execz .LBB6_2116
.LBB6_2136:
	v_cmp_ne_u16_e32 vcc_lo, 0, v11
	v_mov_b64_e32 v[6:7], 0
	s_and_not1_b32 s17, s17, exec_lo
	s_and_b32 s19, vcc_lo, exec_lo
	s_delay_alu instid0(SALU_CYCLE_1)
	s_or_b32 s17, s17, s19
	s_or_b32 exec_lo, exec_lo, s18
	s_and_saveexec_b32 s18, s17
	s_cbranch_execnz .LBB6_2117
	s_branch .LBB6_2118
.LBB6_2137:
	s_mov_b32 s16, -1
.LBB6_2138:
                                        ; implicit-def: $vgpr6_vgpr7
.LBB6_2139:
	s_and_b32 vcc_lo, exec_lo, s17
	s_mov_b32 s17, 0
	s_cbranch_vccz .LBB6_2141
; %bb.2140:
	s_cmp_lg_u32 s13, 11
	s_mov_b32 s17, -1
	s_cselect_b32 s16, -1, 0
.LBB6_2141:
	s_delay_alu instid0(SALU_CYCLE_1)
	s_and_b32 vcc_lo, exec_lo, s16
	s_cbranch_vccnz .LBB6_2206
; %bb.2142:
	s_and_not1_b32 vcc_lo, exec_lo, s17
	s_cbranch_vccnz .LBB6_2144
.LBB6_2143:
	global_load_u8 v6, v[14:15], off
	s_mov_b32 s18, -1
	s_wait_loadcnt 0x0
	v_cmp_ne_u16_e32 vcc_lo, 0, v6
	v_mov_b32_e32 v6, 0
	v_cndmask_b32_e64 v7, 0, 0x3ff00000, vcc_lo
.LBB6_2144:
	s_mov_b32 s13, 0
.LBB6_2145:
	s_delay_alu instid0(SALU_CYCLE_1)
	s_and_b32 vcc_lo, exec_lo, s13
	s_cbranch_vccz .LBB6_2194
; %bb.2146:
	s_and_b32 s13, 0xffff, s0
	s_delay_alu instid0(SALU_CYCLE_1)
	s_cmp_lt_i32 s13, 5
	s_cbranch_scc1 .LBB6_2151
; %bb.2147:
	s_cmp_lt_i32 s13, 8
	s_cbranch_scc1 .LBB6_2152
; %bb.2148:
	;; [unrolled: 3-line block ×3, first 2 shown]
	s_cmp_gt_i32 s13, 9
	s_cbranch_scc0 .LBB6_2154
; %bb.2150:
	global_load_b64 v[6:7], v[14:15], off
	s_mov_b32 s16, 0
	s_branch .LBB6_2155
.LBB6_2151:
	s_mov_b32 s16, -1
                                        ; implicit-def: $vgpr6_vgpr7
	s_branch .LBB6_2173
.LBB6_2152:
	s_mov_b32 s16, -1
                                        ; implicit-def: $vgpr6_vgpr7
	s_branch .LBB6_2161
.LBB6_2153:
	s_mov_b32 s16, -1
                                        ; implicit-def: $vgpr6_vgpr7
	s_branch .LBB6_2158
.LBB6_2154:
	s_mov_b32 s16, -1
                                        ; implicit-def: $vgpr6_vgpr7
.LBB6_2155:
	s_delay_alu instid0(SALU_CYCLE_1)
	s_and_not1_b32 vcc_lo, exec_lo, s16
	s_cbranch_vccnz .LBB6_2157
; %bb.2156:
	s_wait_loadcnt 0x0
	global_load_b32 v6, v[14:15], off
	s_wait_loadcnt 0x0
	v_cvt_f64_f32_e32 v[6:7], v6
.LBB6_2157:
	s_mov_b32 s16, 0
.LBB6_2158:
	s_delay_alu instid0(SALU_CYCLE_1)
	s_and_not1_b32 vcc_lo, exec_lo, s16
	s_cbranch_vccnz .LBB6_2160
; %bb.2159:
	s_wait_loadcnt 0x0
	global_load_b32 v6, v[14:15], off
	s_wait_loadcnt 0x0
	v_cvt_f32_f16_e32 v6, v6
	s_delay_alu instid0(VALU_DEP_1)
	v_cvt_f64_f32_e32 v[6:7], v6
.LBB6_2160:
	s_mov_b32 s16, 0
.LBB6_2161:
	s_delay_alu instid0(SALU_CYCLE_1)
	s_and_not1_b32 vcc_lo, exec_lo, s16
	s_cbranch_vccnz .LBB6_2172
; %bb.2162:
	s_cmp_lt_i32 s13, 6
	s_cbranch_scc1 .LBB6_2165
; %bb.2163:
	s_cmp_gt_i32 s13, 6
	s_cbranch_scc0 .LBB6_2166
; %bb.2164:
	s_wait_loadcnt 0x0
	global_load_b64 v[6:7], v[14:15], off
	s_mov_b32 s16, 0
	s_branch .LBB6_2167
.LBB6_2165:
	s_mov_b32 s16, -1
                                        ; implicit-def: $vgpr6_vgpr7
	s_branch .LBB6_2170
.LBB6_2166:
	s_mov_b32 s16, -1
                                        ; implicit-def: $vgpr6_vgpr7
.LBB6_2167:
	s_delay_alu instid0(SALU_CYCLE_1)
	s_and_not1_b32 vcc_lo, exec_lo, s16
	s_cbranch_vccnz .LBB6_2169
; %bb.2168:
	s_wait_loadcnt 0x0
	global_load_b32 v6, v[14:15], off
	s_wait_loadcnt 0x0
	v_cvt_f64_f32_e32 v[6:7], v6
.LBB6_2169:
	s_mov_b32 s16, 0
.LBB6_2170:
	s_delay_alu instid0(SALU_CYCLE_1)
	s_and_not1_b32 vcc_lo, exec_lo, s16
	s_cbranch_vccnz .LBB6_2172
; %bb.2171:
	s_wait_loadcnt 0x0
	global_load_u16 v6, v[14:15], off
	s_wait_loadcnt 0x0
	v_cvt_f32_f16_e32 v6, v6
	s_delay_alu instid0(VALU_DEP_1)
	v_cvt_f64_f32_e32 v[6:7], v6
.LBB6_2172:
	s_mov_b32 s16, 0
.LBB6_2173:
	s_delay_alu instid0(SALU_CYCLE_1)
	s_and_not1_b32 vcc_lo, exec_lo, s16
	s_cbranch_vccnz .LBB6_2193
; %bb.2174:
	s_cmp_lt_i32 s13, 2
	s_cbranch_scc1 .LBB6_2178
; %bb.2175:
	s_cmp_lt_i32 s13, 3
	s_cbranch_scc1 .LBB6_2179
; %bb.2176:
	s_cmp_gt_i32 s13, 3
	s_cbranch_scc0 .LBB6_2180
; %bb.2177:
	s_wait_loadcnt 0x0
	global_load_b64 v[6:7], v[14:15], off
	s_mov_b32 s16, 0
	s_wait_loadcnt 0x0
	v_cvt_f64_i32_e32 v[16:17], v7
	v_cvt_f64_u32_e32 v[6:7], v6
	s_delay_alu instid0(VALU_DEP_2) | instskip(NEXT) | instid1(VALU_DEP_1)
	v_ldexp_f64 v[16:17], v[16:17], 32
	v_add_f64_e32 v[6:7], v[16:17], v[6:7]
	s_branch .LBB6_2181
.LBB6_2178:
	s_mov_b32 s16, -1
                                        ; implicit-def: $vgpr6_vgpr7
	s_branch .LBB6_2187
.LBB6_2179:
	s_mov_b32 s16, -1
                                        ; implicit-def: $vgpr6_vgpr7
	s_branch .LBB6_2184
.LBB6_2180:
	s_mov_b32 s16, -1
                                        ; implicit-def: $vgpr6_vgpr7
.LBB6_2181:
	s_delay_alu instid0(SALU_CYCLE_1)
	s_and_not1_b32 vcc_lo, exec_lo, s16
	s_cbranch_vccnz .LBB6_2183
; %bb.2182:
	s_wait_loadcnt 0x0
	global_load_b32 v6, v[14:15], off
	s_wait_loadcnt 0x0
	v_cvt_f64_i32_e32 v[6:7], v6
.LBB6_2183:
	s_mov_b32 s16, 0
.LBB6_2184:
	s_delay_alu instid0(SALU_CYCLE_1)
	s_and_not1_b32 vcc_lo, exec_lo, s16
	s_cbranch_vccnz .LBB6_2186
; %bb.2185:
	s_wait_loadcnt 0x0
	global_load_i16 v6, v[14:15], off
	s_wait_loadcnt 0x0
	v_cvt_f64_i32_e32 v[6:7], v6
.LBB6_2186:
	s_mov_b32 s16, 0
.LBB6_2187:
	s_delay_alu instid0(SALU_CYCLE_1)
	s_and_not1_b32 vcc_lo, exec_lo, s16
	s_cbranch_vccnz .LBB6_2193
; %bb.2188:
	s_cmp_gt_i32 s13, 0
	s_mov_b32 s13, 0
	s_cbranch_scc0 .LBB6_2190
; %bb.2189:
	s_wait_loadcnt 0x0
	global_load_i8 v6, v[14:15], off
	s_wait_loadcnt 0x0
	v_cvt_f64_i32_e32 v[6:7], v6
	s_branch .LBB6_2191
.LBB6_2190:
	s_mov_b32 s13, -1
                                        ; implicit-def: $vgpr6_vgpr7
.LBB6_2191:
	s_delay_alu instid0(SALU_CYCLE_1)
	s_and_not1_b32 vcc_lo, exec_lo, s13
	s_cbranch_vccnz .LBB6_2193
; %bb.2192:
	s_wait_loadcnt 0x0
	global_load_u8 v6, v[14:15], off
	s_wait_loadcnt 0x0
	v_cvt_f64_u32_e32 v[6:7], v6
.LBB6_2193:
	s_mov_b32 s18, -1
.LBB6_2194:
	s_delay_alu instid0(SALU_CYCLE_1)
	s_and_not1_b32 vcc_lo, exec_lo, s18
	s_cbranch_vccnz .LBB6_3023
; %bb.2195:
	s_wait_xcnt 0x0
	v_add_nc_u32_e32 v14, s10, v12
	s_cmp_lt_i32 s1, 11
	s_delay_alu instid0(VALU_DEP_1) | instskip(NEXT) | instid1(VALU_DEP_1)
	v_ashrrev_i32_e32 v15, 31, v14
	v_add_nc_u64_e32 v[16:17], s[2:3], v[14:15]
	s_cbranch_scc1 .LBB6_2202
; %bb.2196:
	s_and_b32 s13, 0xffff, s1
	s_mov_b32 s17, 0
	s_cmp_gt_i32 s13, 25
	s_cbranch_scc0 .LBB6_2203
; %bb.2197:
	s_cmp_gt_i32 s13, 28
	s_cbranch_scc0 .LBB6_2204
; %bb.2198:
	;; [unrolled: 3-line block ×4, first 2 shown]
	s_cmp_eq_u32 s13, 46
	s_mov_b32 s19, 0
	s_cbranch_scc0 .LBB6_2210
; %bb.2201:
	global_load_b32 v11, v[16:17], off
	s_mov_b32 s16, 0
	s_mov_b32 s18, -1
	s_wait_loadcnt 0x0
	v_lshlrev_b32_e32 v11, 16, v11
	s_delay_alu instid0(VALU_DEP_1)
	v_cvt_f64_f32_e32 v[12:13], v11
	s_branch .LBB6_2212
.LBB6_2202:
	s_mov_b32 s13, -1
	s_mov_b32 s18, 0
                                        ; implicit-def: $vgpr12_vgpr13
	s_branch .LBB6_2278
.LBB6_2203:
	s_mov_b32 s19, -1
	s_mov_b32 s18, 0
	s_mov_b32 s16, 0
                                        ; implicit-def: $vgpr12_vgpr13
	s_branch .LBB6_2241
.LBB6_2204:
	s_mov_b32 s19, -1
	s_mov_b32 s18, 0
	s_mov_b32 s16, 0
                                        ; implicit-def: $vgpr12_vgpr13
	s_branch .LBB6_2222
.LBB6_2205:
	s_mov_b32 s19, -1
	s_mov_b32 s18, 0
	s_mov_b32 s16, 0
                                        ; implicit-def: $vgpr12_vgpr13
	s_branch .LBB6_2217
.LBB6_2206:
	s_or_b32 s12, s12, exec_lo
	s_trap 2
	s_cbranch_execz .LBB6_2143
	s_branch .LBB6_2144
.LBB6_2207:
	s_mov_b32 s19, -1
	s_mov_b32 s18, 0
	s_mov_b32 s16, 0
	s_branch .LBB6_2211
.LBB6_2208:
	s_and_not1_saveexec_b32 s31, s31
	s_cbranch_execz .LBB6_1087
.LBB6_2209:
	v_add_f32_e64 v3, 0x42800000, |v2|
	s_and_not1_b32 s30, s30, exec_lo
	s_delay_alu instid0(VALU_DEP_1) | instskip(NEXT) | instid1(VALU_DEP_1)
	v_and_b32_e32 v3, 0xff, v3
	v_cmp_ne_u32_e32 vcc_lo, 0, v3
	s_and_b32 s33, vcc_lo, exec_lo
	s_delay_alu instid0(SALU_CYCLE_1)
	s_or_b32 s30, s30, s33
	s_or_b32 exec_lo, exec_lo, s31
	v_mov_b32_e32 v6, 0
	s_and_saveexec_b32 s31, s30
	s_cbranch_execnz .LBB6_1088
	s_branch .LBB6_1089
.LBB6_2210:
	s_mov_b32 s16, -1
	s_mov_b32 s18, 0
.LBB6_2211:
                                        ; implicit-def: $vgpr12_vgpr13
.LBB6_2212:
	s_and_b32 vcc_lo, exec_lo, s19
	s_cbranch_vccz .LBB6_2216
; %bb.2213:
	s_cmp_eq_u32 s13, 44
	s_cbranch_scc0 .LBB6_2215
; %bb.2214:
	global_load_u8 v11, v[16:17], off
	s_mov_b32 s16, 0
	s_mov_b32 s18, -1
	s_wait_loadcnt 0x0
	v_cmp_ne_u32_e32 vcc_lo, 0xff, v11
	v_lshlrev_b32_e32 v12, 23, v11
	s_delay_alu instid0(VALU_DEP_1) | instskip(NEXT) | instid1(VALU_DEP_1)
	v_cvt_f64_f32_e32 v[12:13], v12
	v_cndmask_b32_e32 v12, 0x20000000, v12, vcc_lo
	s_delay_alu instid0(VALU_DEP_2) | instskip(SKIP_1) | instid1(VALU_DEP_2)
	v_cndmask_b32_e32 v13, 0x7ff80000, v13, vcc_lo
	v_cmp_ne_u32_e32 vcc_lo, 0, v11
	v_cndmask_b32_e32 v13, 0x38000000, v13, vcc_lo
	s_delay_alu instid0(VALU_DEP_4)
	v_cndmask_b32_e32 v12, 0, v12, vcc_lo
	s_branch .LBB6_2216
.LBB6_2215:
	s_mov_b32 s16, -1
                                        ; implicit-def: $vgpr12_vgpr13
.LBB6_2216:
	s_mov_b32 s19, 0
.LBB6_2217:
	s_delay_alu instid0(SALU_CYCLE_1)
	s_and_b32 vcc_lo, exec_lo, s19
	s_cbranch_vccz .LBB6_2221
; %bb.2218:
	s_cmp_eq_u32 s13, 29
	s_cbranch_scc0 .LBB6_2220
; %bb.2219:
	global_load_b64 v[12:13], v[16:17], off
	s_mov_b32 s16, 0
	s_mov_b32 s18, -1
	s_mov_b32 s19, 0
	s_wait_loadcnt 0x0
	v_cvt_f64_u32_e32 v[20:21], v13
	v_cvt_f64_u32_e32 v[12:13], v12
	s_delay_alu instid0(VALU_DEP_2) | instskip(NEXT) | instid1(VALU_DEP_1)
	v_ldexp_f64 v[20:21], v[20:21], 32
	v_add_f64_e32 v[12:13], v[20:21], v[12:13]
	s_branch .LBB6_2222
.LBB6_2220:
	s_mov_b32 s16, -1
                                        ; implicit-def: $vgpr12_vgpr13
.LBB6_2221:
	s_mov_b32 s19, 0
.LBB6_2222:
	s_delay_alu instid0(SALU_CYCLE_1)
	s_and_b32 vcc_lo, exec_lo, s19
	s_cbranch_vccz .LBB6_2240
; %bb.2223:
	s_cmp_lt_i32 s13, 27
	s_cbranch_scc1 .LBB6_2226
; %bb.2224:
	s_cmp_gt_i32 s13, 27
	s_cbranch_scc0 .LBB6_2227
; %bb.2225:
	global_load_b32 v11, v[16:17], off
	s_mov_b32 s18, 0
	s_wait_loadcnt 0x0
	v_cvt_f64_u32_e32 v[12:13], v11
	s_branch .LBB6_2228
.LBB6_2226:
	s_mov_b32 s18, -1
                                        ; implicit-def: $vgpr12_vgpr13
	s_branch .LBB6_2231
.LBB6_2227:
	s_mov_b32 s18, -1
                                        ; implicit-def: $vgpr12_vgpr13
.LBB6_2228:
	s_delay_alu instid0(SALU_CYCLE_1)
	s_and_not1_b32 vcc_lo, exec_lo, s18
	s_cbranch_vccnz .LBB6_2230
; %bb.2229:
	global_load_u16 v11, v[16:17], off
	s_wait_loadcnt 0x0
	v_cvt_f64_u32_e32 v[12:13], v11
.LBB6_2230:
	s_mov_b32 s18, 0
.LBB6_2231:
	s_delay_alu instid0(SALU_CYCLE_1)
	s_and_not1_b32 vcc_lo, exec_lo, s18
	s_cbranch_vccnz .LBB6_2239
; %bb.2232:
	global_load_u8 v11, v[16:17], off
	s_mov_b32 s18, 0
	s_mov_b32 s19, exec_lo
	s_wait_loadcnt 0x0
	v_cmpx_lt_i16_e32 0x7f, v11
	s_xor_b32 s19, exec_lo, s19
	s_cbranch_execz .LBB6_2253
; %bb.2233:
	s_mov_b32 s18, -1
	s_mov_b32 s20, exec_lo
	v_cmpx_eq_u16_e32 0x80, v11
; %bb.2234:
	s_xor_b32 s18, exec_lo, -1
; %bb.2235:
	s_or_b32 exec_lo, exec_lo, s20
	s_delay_alu instid0(SALU_CYCLE_1)
	s_and_b32 s18, s18, exec_lo
	s_or_saveexec_b32 s19, s19
	v_mov_b64_e32 v[12:13], 0x7ff8000020000000
	s_xor_b32 exec_lo, exec_lo, s19
	s_cbranch_execnz .LBB6_2254
.LBB6_2236:
	s_or_b32 exec_lo, exec_lo, s19
	s_and_saveexec_b32 s19, s18
	s_cbranch_execz .LBB6_2238
.LBB6_2237:
	v_and_b32_e32 v12, 0xffff, v11
	s_delay_alu instid0(VALU_DEP_1) | instskip(SKIP_1) | instid1(VALU_DEP_2)
	v_and_b32_e32 v13, 7, v12
	v_bfe_u32 v20, v12, 3, 4
	v_clz_i32_u32_e32 v15, v13
	s_delay_alu instid0(VALU_DEP_2) | instskip(NEXT) | instid1(VALU_DEP_2)
	v_cmp_eq_u32_e32 vcc_lo, 0, v20
	v_min_u32_e32 v15, 32, v15
	s_delay_alu instid0(VALU_DEP_1) | instskip(NEXT) | instid1(VALU_DEP_1)
	v_subrev_nc_u32_e32 v19, 28, v15
	v_dual_lshlrev_b32 v12, v19, v12 :: v_dual_sub_nc_u32 v15, 29, v15
	s_delay_alu instid0(VALU_DEP_1) | instskip(NEXT) | instid1(VALU_DEP_1)
	v_dual_lshlrev_b32 v11, 24, v11 :: v_dual_bitop2_b32 v12, 7, v12 bitop3:0x40
	v_dual_cndmask_b32 v12, v13, v12 :: v_dual_cndmask_b32 v15, v20, v15
	s_delay_alu instid0(VALU_DEP_2) | instskip(NEXT) | instid1(VALU_DEP_2)
	v_and_b32_e32 v11, 0x80000000, v11
	v_lshlrev_b32_e32 v12, 20, v12
	s_delay_alu instid0(VALU_DEP_3) | instskip(NEXT) | instid1(VALU_DEP_1)
	v_lshl_add_u32 v13, v15, 23, 0x3b800000
	v_or3_b32 v11, v11, v13, v12
	s_delay_alu instid0(VALU_DEP_1)
	v_cvt_f64_f32_e32 v[12:13], v11
.LBB6_2238:
	s_or_b32 exec_lo, exec_lo, s19
.LBB6_2239:
	s_mov_b32 s18, -1
.LBB6_2240:
	s_mov_b32 s19, 0
.LBB6_2241:
	s_delay_alu instid0(SALU_CYCLE_1)
	s_and_b32 vcc_lo, exec_lo, s19
	s_cbranch_vccz .LBB6_2274
; %bb.2242:
	s_cmp_gt_i32 s13, 22
	s_cbranch_scc0 .LBB6_2252
; %bb.2243:
	s_cmp_lt_i32 s13, 24
	s_cbranch_scc1 .LBB6_2255
; %bb.2244:
	s_cmp_gt_i32 s13, 24
	s_cbranch_scc0 .LBB6_2256
; %bb.2245:
	global_load_u8 v11, v[16:17], off
	s_mov_b32 s18, exec_lo
	s_wait_loadcnt 0x0
	v_cmpx_lt_i16_e32 0x7f, v11
	s_xor_b32 s18, exec_lo, s18
	s_cbranch_execz .LBB6_2268
; %bb.2246:
	s_mov_b32 s17, -1
	s_mov_b32 s19, exec_lo
	v_cmpx_eq_u16_e32 0x80, v11
; %bb.2247:
	s_xor_b32 s17, exec_lo, -1
; %bb.2248:
	s_or_b32 exec_lo, exec_lo, s19
	s_delay_alu instid0(SALU_CYCLE_1)
	s_and_b32 s17, s17, exec_lo
	s_or_saveexec_b32 s18, s18
	v_mov_b64_e32 v[12:13], 0x7ff8000020000000
	s_xor_b32 exec_lo, exec_lo, s18
	s_cbranch_execnz .LBB6_2269
.LBB6_2249:
	s_or_b32 exec_lo, exec_lo, s18
	s_and_saveexec_b32 s18, s17
	s_cbranch_execz .LBB6_2251
.LBB6_2250:
	v_and_b32_e32 v12, 0xffff, v11
	s_delay_alu instid0(VALU_DEP_1) | instskip(SKIP_1) | instid1(VALU_DEP_2)
	v_and_b32_e32 v13, 3, v12
	v_bfe_u32 v20, v12, 2, 5
	v_clz_i32_u32_e32 v15, v13
	s_delay_alu instid0(VALU_DEP_2) | instskip(NEXT) | instid1(VALU_DEP_2)
	v_cmp_eq_u32_e32 vcc_lo, 0, v20
	v_min_u32_e32 v15, 32, v15
	s_delay_alu instid0(VALU_DEP_1) | instskip(NEXT) | instid1(VALU_DEP_1)
	v_subrev_nc_u32_e32 v19, 29, v15
	v_dual_lshlrev_b32 v12, v19, v12 :: v_dual_sub_nc_u32 v15, 30, v15
	s_delay_alu instid0(VALU_DEP_1) | instskip(NEXT) | instid1(VALU_DEP_1)
	v_dual_lshlrev_b32 v11, 24, v11 :: v_dual_bitop2_b32 v12, 3, v12 bitop3:0x40
	v_dual_cndmask_b32 v12, v13, v12 :: v_dual_cndmask_b32 v15, v20, v15
	s_delay_alu instid0(VALU_DEP_2) | instskip(NEXT) | instid1(VALU_DEP_2)
	v_and_b32_e32 v11, 0x80000000, v11
	v_lshlrev_b32_e32 v12, 21, v12
	s_delay_alu instid0(VALU_DEP_3) | instskip(NEXT) | instid1(VALU_DEP_1)
	v_lshl_add_u32 v13, v15, 23, 0x37800000
	v_or3_b32 v11, v11, v13, v12
	s_delay_alu instid0(VALU_DEP_1)
	v_cvt_f64_f32_e32 v[12:13], v11
.LBB6_2251:
	s_or_b32 exec_lo, exec_lo, s18
	s_mov_b32 s17, 0
	s_branch .LBB6_2257
.LBB6_2252:
	s_mov_b32 s17, -1
                                        ; implicit-def: $vgpr12_vgpr13
	s_branch .LBB6_2263
.LBB6_2253:
	s_or_saveexec_b32 s19, s19
	v_mov_b64_e32 v[12:13], 0x7ff8000020000000
	s_xor_b32 exec_lo, exec_lo, s19
	s_cbranch_execz .LBB6_2236
.LBB6_2254:
	v_cmp_ne_u16_e32 vcc_lo, 0, v11
	v_mov_b64_e32 v[12:13], 0
	s_and_not1_b32 s18, s18, exec_lo
	s_and_b32 s20, vcc_lo, exec_lo
	s_delay_alu instid0(SALU_CYCLE_1)
	s_or_b32 s18, s18, s20
	s_or_b32 exec_lo, exec_lo, s19
	s_and_saveexec_b32 s19, s18
	s_cbranch_execnz .LBB6_2237
	s_branch .LBB6_2238
.LBB6_2255:
	s_mov_b32 s17, -1
                                        ; implicit-def: $vgpr12_vgpr13
	s_branch .LBB6_2260
.LBB6_2256:
	s_mov_b32 s17, -1
                                        ; implicit-def: $vgpr12_vgpr13
.LBB6_2257:
	s_delay_alu instid0(SALU_CYCLE_1)
	s_and_b32 vcc_lo, exec_lo, s17
	s_cbranch_vccz .LBB6_2259
; %bb.2258:
	global_load_u8 v11, v[16:17], off
	s_wait_loadcnt 0x0
	v_lshlrev_b32_e32 v11, 24, v11
	s_delay_alu instid0(VALU_DEP_1) | instskip(NEXT) | instid1(VALU_DEP_1)
	v_and_b32_e32 v12, 0x7f000000, v11
	v_clz_i32_u32_e32 v13, v12
	v_cmp_ne_u32_e32 vcc_lo, 0, v12
	v_add_nc_u32_e32 v19, 0x1000000, v12
	s_delay_alu instid0(VALU_DEP_3) | instskip(NEXT) | instid1(VALU_DEP_1)
	v_min_u32_e32 v13, 32, v13
	v_sub_nc_u32_e64 v13, v13, 4 clamp
	s_delay_alu instid0(VALU_DEP_1) | instskip(NEXT) | instid1(VALU_DEP_1)
	v_dual_lshlrev_b32 v15, v13, v12 :: v_dual_lshlrev_b32 v13, 23, v13
	v_lshrrev_b32_e32 v15, 4, v15
	s_delay_alu instid0(VALU_DEP_1) | instskip(NEXT) | instid1(VALU_DEP_1)
	v_dual_sub_nc_u32 v13, v15, v13 :: v_dual_ashrrev_i32 v15, 8, v19
	v_add_nc_u32_e32 v13, 0x3c000000, v13
	s_delay_alu instid0(VALU_DEP_1) | instskip(NEXT) | instid1(VALU_DEP_1)
	v_and_or_b32 v13, 0x7f800000, v15, v13
	v_cndmask_b32_e32 v12, 0, v13, vcc_lo
	s_delay_alu instid0(VALU_DEP_1) | instskip(NEXT) | instid1(VALU_DEP_1)
	v_and_or_b32 v11, 0x80000000, v11, v12
	v_cvt_f64_f32_e32 v[12:13], v11
.LBB6_2259:
	s_mov_b32 s17, 0
.LBB6_2260:
	s_delay_alu instid0(SALU_CYCLE_1)
	s_and_not1_b32 vcc_lo, exec_lo, s17
	s_cbranch_vccnz .LBB6_2262
; %bb.2261:
	global_load_u8 v11, v[16:17], off
	s_wait_loadcnt 0x0
	v_lshlrev_b32_e32 v12, 25, v11
	v_lshlrev_b16 v11, 8, v11
	s_delay_alu instid0(VALU_DEP_1) | instskip(NEXT) | instid1(VALU_DEP_3)
	v_and_or_b32 v15, 0x7f00, v11, 0.5
	v_lshrrev_b32_e32 v13, 4, v12
	v_bfe_i32 v11, v11, 0, 16
	s_delay_alu instid0(VALU_DEP_3) | instskip(NEXT) | instid1(VALU_DEP_3)
	v_add_f32_e32 v15, -0.5, v15
	v_or_b32_e32 v13, 0x70000000, v13
	s_delay_alu instid0(VALU_DEP_1) | instskip(SKIP_1) | instid1(VALU_DEP_2)
	v_mul_f32_e32 v13, 0x7800000, v13
	v_cmp_gt_u32_e32 vcc_lo, 0x8000000, v12
	v_cndmask_b32_e32 v12, v13, v15, vcc_lo
	s_delay_alu instid0(VALU_DEP_1) | instskip(NEXT) | instid1(VALU_DEP_1)
	v_and_or_b32 v11, 0x80000000, v11, v12
	v_cvt_f64_f32_e32 v[12:13], v11
.LBB6_2262:
	s_mov_b32 s17, 0
	s_mov_b32 s18, -1
.LBB6_2263:
	s_and_not1_b32 vcc_lo, exec_lo, s17
	s_mov_b32 s17, 0
	s_cbranch_vccnz .LBB6_2274
; %bb.2264:
	s_cmp_gt_i32 s13, 14
	s_cbranch_scc0 .LBB6_2267
; %bb.2265:
	s_cmp_eq_u32 s13, 15
	s_cbranch_scc0 .LBB6_2270
; %bb.2266:
	global_load_u16 v11, v[16:17], off
	s_mov_b32 s16, 0
	s_mov_b32 s18, -1
	s_wait_loadcnt 0x0
	v_lshlrev_b32_e32 v11, 16, v11
	s_delay_alu instid0(VALU_DEP_1)
	v_cvt_f64_f32_e32 v[12:13], v11
	s_branch .LBB6_2272
.LBB6_2267:
	s_mov_b32 s17, -1
	s_branch .LBB6_2271
.LBB6_2268:
	s_or_saveexec_b32 s18, s18
	v_mov_b64_e32 v[12:13], 0x7ff8000020000000
	s_xor_b32 exec_lo, exec_lo, s18
	s_cbranch_execz .LBB6_2249
.LBB6_2269:
	v_cmp_ne_u16_e32 vcc_lo, 0, v11
	v_mov_b64_e32 v[12:13], 0
	s_and_not1_b32 s17, s17, exec_lo
	s_and_b32 s19, vcc_lo, exec_lo
	s_delay_alu instid0(SALU_CYCLE_1)
	s_or_b32 s17, s17, s19
	s_or_b32 exec_lo, exec_lo, s18
	s_and_saveexec_b32 s18, s17
	s_cbranch_execnz .LBB6_2250
	s_branch .LBB6_2251
.LBB6_2270:
	s_mov_b32 s16, -1
.LBB6_2271:
                                        ; implicit-def: $vgpr12_vgpr13
.LBB6_2272:
	s_and_b32 vcc_lo, exec_lo, s17
	s_mov_b32 s17, 0
	s_cbranch_vccz .LBB6_2274
; %bb.2273:
	s_cmp_lg_u32 s13, 11
	s_mov_b32 s17, -1
	s_cselect_b32 s16, -1, 0
.LBB6_2274:
	s_delay_alu instid0(SALU_CYCLE_1)
	s_and_b32 vcc_lo, exec_lo, s16
	s_cbranch_vccnz .LBB6_2339
; %bb.2275:
	s_and_not1_b32 vcc_lo, exec_lo, s17
	s_cbranch_vccnz .LBB6_2277
.LBB6_2276:
	global_load_u8 v11, v[16:17], off
	v_mov_b32_e32 v12, 0
	s_mov_b32 s18, -1
	s_wait_loadcnt 0x0
	v_cmp_ne_u16_e32 vcc_lo, 0, v11
	v_cndmask_b32_e64 v13, 0, 0x3ff00000, vcc_lo
.LBB6_2277:
	s_mov_b32 s13, 0
.LBB6_2278:
	s_delay_alu instid0(SALU_CYCLE_1)
	s_and_b32 vcc_lo, exec_lo, s13
	s_cbranch_vccz .LBB6_2327
; %bb.2279:
	s_and_b32 s13, 0xffff, s1
	s_delay_alu instid0(SALU_CYCLE_1)
	s_cmp_lt_i32 s13, 5
	s_cbranch_scc1 .LBB6_2284
; %bb.2280:
	s_cmp_lt_i32 s13, 8
	s_cbranch_scc1 .LBB6_2285
; %bb.2281:
	;; [unrolled: 3-line block ×3, first 2 shown]
	s_cmp_gt_i32 s13, 9
	s_cbranch_scc0 .LBB6_2287
; %bb.2283:
	global_load_b64 v[12:13], v[16:17], off
	s_mov_b32 s16, 0
	s_branch .LBB6_2288
.LBB6_2284:
	s_mov_b32 s16, -1
                                        ; implicit-def: $vgpr12_vgpr13
	s_branch .LBB6_2306
.LBB6_2285:
	s_mov_b32 s16, -1
                                        ; implicit-def: $vgpr12_vgpr13
	s_branch .LBB6_2294
.LBB6_2286:
	s_mov_b32 s16, -1
                                        ; implicit-def: $vgpr12_vgpr13
	s_branch .LBB6_2291
.LBB6_2287:
	s_mov_b32 s16, -1
                                        ; implicit-def: $vgpr12_vgpr13
.LBB6_2288:
	s_delay_alu instid0(SALU_CYCLE_1)
	s_and_not1_b32 vcc_lo, exec_lo, s16
	s_cbranch_vccnz .LBB6_2290
; %bb.2289:
	global_load_b32 v11, v[16:17], off
	s_wait_loadcnt 0x0
	v_cvt_f64_f32_e32 v[12:13], v11
.LBB6_2290:
	s_mov_b32 s16, 0
.LBB6_2291:
	s_delay_alu instid0(SALU_CYCLE_1)
	s_and_not1_b32 vcc_lo, exec_lo, s16
	s_cbranch_vccnz .LBB6_2293
; %bb.2292:
	global_load_b32 v11, v[16:17], off
	s_wait_loadcnt 0x0
	v_cvt_f32_f16_e32 v11, v11
	s_delay_alu instid0(VALU_DEP_1)
	v_cvt_f64_f32_e32 v[12:13], v11
.LBB6_2293:
	s_mov_b32 s16, 0
.LBB6_2294:
	s_delay_alu instid0(SALU_CYCLE_1)
	s_and_not1_b32 vcc_lo, exec_lo, s16
	s_cbranch_vccnz .LBB6_2305
; %bb.2295:
	s_cmp_lt_i32 s13, 6
	s_cbranch_scc1 .LBB6_2298
; %bb.2296:
	s_cmp_gt_i32 s13, 6
	s_cbranch_scc0 .LBB6_2299
; %bb.2297:
	s_wait_loadcnt 0x0
	global_load_b64 v[12:13], v[16:17], off
	s_mov_b32 s16, 0
	s_branch .LBB6_2300
.LBB6_2298:
	s_mov_b32 s16, -1
                                        ; implicit-def: $vgpr12_vgpr13
	s_branch .LBB6_2303
.LBB6_2299:
	s_mov_b32 s16, -1
                                        ; implicit-def: $vgpr12_vgpr13
.LBB6_2300:
	s_delay_alu instid0(SALU_CYCLE_1)
	s_and_not1_b32 vcc_lo, exec_lo, s16
	s_cbranch_vccnz .LBB6_2302
; %bb.2301:
	global_load_b32 v11, v[16:17], off
	s_wait_loadcnt 0x0
	v_cvt_f64_f32_e32 v[12:13], v11
.LBB6_2302:
	s_mov_b32 s16, 0
.LBB6_2303:
	s_delay_alu instid0(SALU_CYCLE_1)
	s_and_not1_b32 vcc_lo, exec_lo, s16
	s_cbranch_vccnz .LBB6_2305
; %bb.2304:
	global_load_u16 v11, v[16:17], off
	s_wait_loadcnt 0x0
	v_cvt_f32_f16_e32 v11, v11
	s_delay_alu instid0(VALU_DEP_1)
	v_cvt_f64_f32_e32 v[12:13], v11
.LBB6_2305:
	s_mov_b32 s16, 0
.LBB6_2306:
	s_delay_alu instid0(SALU_CYCLE_1)
	s_and_not1_b32 vcc_lo, exec_lo, s16
	s_cbranch_vccnz .LBB6_2326
; %bb.2307:
	s_cmp_lt_i32 s13, 2
	s_cbranch_scc1 .LBB6_2311
; %bb.2308:
	s_cmp_lt_i32 s13, 3
	s_cbranch_scc1 .LBB6_2312
; %bb.2309:
	s_cmp_gt_i32 s13, 3
	s_cbranch_scc0 .LBB6_2313
; %bb.2310:
	s_wait_loadcnt 0x0
	global_load_b64 v[12:13], v[16:17], off
	s_mov_b32 s16, 0
	s_wait_loadcnt 0x0
	v_cvt_f64_i32_e32 v[20:21], v13
	v_cvt_f64_u32_e32 v[12:13], v12
	s_delay_alu instid0(VALU_DEP_2) | instskip(NEXT) | instid1(VALU_DEP_1)
	v_ldexp_f64 v[20:21], v[20:21], 32
	v_add_f64_e32 v[12:13], v[20:21], v[12:13]
	s_branch .LBB6_2314
.LBB6_2311:
	s_mov_b32 s16, -1
                                        ; implicit-def: $vgpr12_vgpr13
	s_branch .LBB6_2320
.LBB6_2312:
	s_mov_b32 s16, -1
                                        ; implicit-def: $vgpr12_vgpr13
	s_branch .LBB6_2317
.LBB6_2313:
	s_mov_b32 s16, -1
                                        ; implicit-def: $vgpr12_vgpr13
.LBB6_2314:
	s_delay_alu instid0(SALU_CYCLE_1)
	s_and_not1_b32 vcc_lo, exec_lo, s16
	s_cbranch_vccnz .LBB6_2316
; %bb.2315:
	global_load_b32 v11, v[16:17], off
	s_wait_loadcnt 0x0
	v_cvt_f64_i32_e32 v[12:13], v11
.LBB6_2316:
	s_mov_b32 s16, 0
.LBB6_2317:
	s_delay_alu instid0(SALU_CYCLE_1)
	s_and_not1_b32 vcc_lo, exec_lo, s16
	s_cbranch_vccnz .LBB6_2319
; %bb.2318:
	global_load_i16 v11, v[16:17], off
	s_wait_loadcnt 0x0
	v_cvt_f64_i32_e32 v[12:13], v11
.LBB6_2319:
	s_mov_b32 s16, 0
.LBB6_2320:
	s_delay_alu instid0(SALU_CYCLE_1)
	s_and_not1_b32 vcc_lo, exec_lo, s16
	s_cbranch_vccnz .LBB6_2326
; %bb.2321:
	s_cmp_gt_i32 s13, 0
	s_mov_b32 s13, 0
	s_cbranch_scc0 .LBB6_2323
; %bb.2322:
	global_load_i8 v11, v[16:17], off
	s_wait_loadcnt 0x0
	v_cvt_f64_i32_e32 v[12:13], v11
	s_branch .LBB6_2324
.LBB6_2323:
	s_mov_b32 s13, -1
                                        ; implicit-def: $vgpr12_vgpr13
.LBB6_2324:
	s_delay_alu instid0(SALU_CYCLE_1)
	s_and_not1_b32 vcc_lo, exec_lo, s13
	s_cbranch_vccnz .LBB6_2326
; %bb.2325:
	global_load_u8 v11, v[16:17], off
	s_wait_loadcnt 0x0
	v_cvt_f64_u32_e32 v[12:13], v11
.LBB6_2326:
	s_mov_b32 s18, -1
.LBB6_2327:
	s_delay_alu instid0(SALU_CYCLE_1)
	s_and_not1_b32 vcc_lo, exec_lo, s18
	s_cbranch_vccnz .LBB6_3023
; %bb.2328:
	v_add_nc_u32_e32 v10, s9, v10
	s_cmp_lt_i32 s0, 11
	s_delay_alu instid0(VALU_DEP_1) | instskip(SKIP_1) | instid1(VALU_DEP_1)
	v_ashrrev_i32_e32 v11, 31, v10
	s_wait_xcnt 0x0
	v_add_nc_u64_e32 v[16:17], s[6:7], v[10:11]
	s_cbranch_scc1 .LBB6_2335
; %bb.2329:
	s_and_b32 s6, 0xffff, s0
	s_mov_b32 s9, 0
	s_cmp_gt_i32 s6, 25
	s_cbranch_scc0 .LBB6_2336
; %bb.2330:
	s_cmp_gt_i32 s6, 28
	s_cbranch_scc0 .LBB6_2337
; %bb.2331:
	;; [unrolled: 3-line block ×4, first 2 shown]
	s_cmp_eq_u32 s6, 46
	s_mov_b32 s16, 0
	s_cbranch_scc0 .LBB6_2341
; %bb.2334:
	global_load_b32 v10, v[16:17], off
	s_mov_b32 s7, 0
	s_mov_b32 s13, -1
	s_wait_loadcnt 0x0
	v_lshlrev_b32_e32 v10, 16, v10
	s_delay_alu instid0(VALU_DEP_1)
	v_cvt_f64_f32_e32 v[10:11], v10
	s_branch .LBB6_2343
.LBB6_2335:
	s_mov_b32 s6, -1
	s_mov_b32 s13, 0
                                        ; implicit-def: $vgpr10_vgpr11
	s_branch .LBB6_2409
.LBB6_2336:
	s_mov_b32 s16, -1
	s_mov_b32 s13, 0
	s_mov_b32 s7, 0
                                        ; implicit-def: $vgpr10_vgpr11
	s_branch .LBB6_2372
.LBB6_2337:
	s_mov_b32 s16, -1
	s_mov_b32 s13, 0
	s_mov_b32 s7, 0
                                        ; implicit-def: $vgpr10_vgpr11
	s_branch .LBB6_2353
.LBB6_2338:
	s_mov_b32 s16, -1
	s_mov_b32 s13, 0
	s_mov_b32 s7, 0
                                        ; implicit-def: $vgpr10_vgpr11
	s_branch .LBB6_2348
.LBB6_2339:
	s_or_b32 s12, s12, exec_lo
	s_trap 2
	s_cbranch_execz .LBB6_2276
	s_branch .LBB6_2277
.LBB6_2340:
	s_mov_b32 s16, -1
	s_mov_b32 s13, 0
	s_mov_b32 s7, 0
	s_branch .LBB6_2342
.LBB6_2341:
	s_mov_b32 s7, -1
	s_mov_b32 s13, 0
.LBB6_2342:
                                        ; implicit-def: $vgpr10_vgpr11
.LBB6_2343:
	s_and_b32 vcc_lo, exec_lo, s16
	s_cbranch_vccz .LBB6_2347
; %bb.2344:
	s_cmp_eq_u32 s6, 44
	s_cbranch_scc0 .LBB6_2346
; %bb.2345:
	global_load_u8 v15, v[16:17], off
	s_mov_b32 s7, 0
	s_mov_b32 s13, -1
	s_wait_loadcnt 0x0
	v_lshlrev_b32_e32 v10, 23, v15
	v_cmp_ne_u32_e32 vcc_lo, 0xff, v15
	s_delay_alu instid0(VALU_DEP_2) | instskip(NEXT) | instid1(VALU_DEP_1)
	v_cvt_f64_f32_e32 v[10:11], v10
	v_cndmask_b32_e32 v10, 0x20000000, v10, vcc_lo
	s_delay_alu instid0(VALU_DEP_2) | instskip(SKIP_1) | instid1(VALU_DEP_2)
	v_cndmask_b32_e32 v11, 0x7ff80000, v11, vcc_lo
	v_cmp_ne_u32_e32 vcc_lo, 0, v15
	v_cndmask_b32_e32 v11, 0x38000000, v11, vcc_lo
	s_delay_alu instid0(VALU_DEP_4)
	v_cndmask_b32_e32 v10, 0, v10, vcc_lo
	s_branch .LBB6_2347
.LBB6_2346:
	s_mov_b32 s7, -1
                                        ; implicit-def: $vgpr10_vgpr11
.LBB6_2347:
	s_mov_b32 s16, 0
.LBB6_2348:
	s_delay_alu instid0(SALU_CYCLE_1)
	s_and_b32 vcc_lo, exec_lo, s16
	s_cbranch_vccz .LBB6_2352
; %bb.2349:
	s_cmp_eq_u32 s6, 29
	s_cbranch_scc0 .LBB6_2351
; %bb.2350:
	global_load_b64 v[10:11], v[16:17], off
	s_mov_b32 s7, 0
	s_mov_b32 s13, -1
	s_mov_b32 s16, 0
	s_wait_loadcnt 0x0
	v_cvt_f64_u32_e32 v[20:21], v11
	v_cvt_f64_u32_e32 v[10:11], v10
	s_delay_alu instid0(VALU_DEP_2) | instskip(NEXT) | instid1(VALU_DEP_1)
	v_ldexp_f64 v[20:21], v[20:21], 32
	v_add_f64_e32 v[10:11], v[20:21], v[10:11]
	s_branch .LBB6_2353
.LBB6_2351:
	s_mov_b32 s7, -1
                                        ; implicit-def: $vgpr10_vgpr11
.LBB6_2352:
	s_mov_b32 s16, 0
.LBB6_2353:
	s_delay_alu instid0(SALU_CYCLE_1)
	s_and_b32 vcc_lo, exec_lo, s16
	s_cbranch_vccz .LBB6_2371
; %bb.2354:
	s_cmp_lt_i32 s6, 27
	s_cbranch_scc1 .LBB6_2357
; %bb.2355:
	s_cmp_gt_i32 s6, 27
	s_cbranch_scc0 .LBB6_2358
; %bb.2356:
	global_load_b32 v10, v[16:17], off
	s_mov_b32 s13, 0
	s_wait_loadcnt 0x0
	v_cvt_f64_u32_e32 v[10:11], v10
	s_branch .LBB6_2359
.LBB6_2357:
	s_mov_b32 s13, -1
                                        ; implicit-def: $vgpr10_vgpr11
	s_branch .LBB6_2362
.LBB6_2358:
	s_mov_b32 s13, -1
                                        ; implicit-def: $vgpr10_vgpr11
.LBB6_2359:
	s_delay_alu instid0(SALU_CYCLE_1)
	s_and_not1_b32 vcc_lo, exec_lo, s13
	s_cbranch_vccnz .LBB6_2361
; %bb.2360:
	global_load_u16 v10, v[16:17], off
	s_wait_loadcnt 0x0
	v_cvt_f64_u32_e32 v[10:11], v10
.LBB6_2361:
	s_mov_b32 s13, 0
.LBB6_2362:
	s_delay_alu instid0(SALU_CYCLE_1)
	s_and_not1_b32 vcc_lo, exec_lo, s13
	s_cbranch_vccnz .LBB6_2370
; %bb.2363:
	global_load_u8 v15, v[16:17], off
	s_mov_b32 s13, 0
	s_mov_b32 s16, exec_lo
	s_wait_loadcnt 0x0
	v_cmpx_lt_i16_e32 0x7f, v15
	s_xor_b32 s16, exec_lo, s16
	s_cbranch_execz .LBB6_2384
; %bb.2364:
	s_mov_b32 s13, -1
	s_mov_b32 s17, exec_lo
	v_cmpx_eq_u16_e32 0x80, v15
; %bb.2365:
	s_xor_b32 s13, exec_lo, -1
; %bb.2366:
	s_or_b32 exec_lo, exec_lo, s17
	s_delay_alu instid0(SALU_CYCLE_1)
	s_and_b32 s13, s13, exec_lo
	s_or_saveexec_b32 s16, s16
	v_mov_b64_e32 v[10:11], 0x7ff8000020000000
	s_xor_b32 exec_lo, exec_lo, s16
	s_cbranch_execnz .LBB6_2385
.LBB6_2367:
	s_or_b32 exec_lo, exec_lo, s16
	s_and_saveexec_b32 s16, s13
	s_cbranch_execz .LBB6_2369
.LBB6_2368:
	v_and_b32_e32 v10, 0xffff, v15
	s_delay_alu instid0(VALU_DEP_1) | instskip(SKIP_1) | instid1(VALU_DEP_2)
	v_and_b32_e32 v11, 7, v10
	v_bfe_u32 v21, v10, 3, 4
	v_clz_i32_u32_e32 v19, v11
	s_delay_alu instid0(VALU_DEP_2) | instskip(NEXT) | instid1(VALU_DEP_2)
	v_cmp_eq_u32_e32 vcc_lo, 0, v21
	v_min_u32_e32 v19, 32, v19
	s_delay_alu instid0(VALU_DEP_1) | instskip(NEXT) | instid1(VALU_DEP_1)
	v_subrev_nc_u32_e32 v20, 28, v19
	v_dual_lshlrev_b32 v10, v20, v10 :: v_dual_sub_nc_u32 v19, 29, v19
	s_delay_alu instid0(VALU_DEP_1) | instskip(NEXT) | instid1(VALU_DEP_1)
	v_dual_lshlrev_b32 v15, 24, v15 :: v_dual_bitop2_b32 v10, 7, v10 bitop3:0x40
	v_dual_cndmask_b32 v10, v11, v10 :: v_dual_cndmask_b32 v19, v21, v19
	s_delay_alu instid0(VALU_DEP_2) | instskip(NEXT) | instid1(VALU_DEP_2)
	v_and_b32_e32 v11, 0x80000000, v15
	v_lshlrev_b32_e32 v10, 20, v10
	s_delay_alu instid0(VALU_DEP_3) | instskip(NEXT) | instid1(VALU_DEP_1)
	v_lshl_add_u32 v15, v19, 23, 0x3b800000
	v_or3_b32 v10, v11, v15, v10
	s_delay_alu instid0(VALU_DEP_1)
	v_cvt_f64_f32_e32 v[10:11], v10
.LBB6_2369:
	s_or_b32 exec_lo, exec_lo, s16
.LBB6_2370:
	s_mov_b32 s13, -1
.LBB6_2371:
	s_mov_b32 s16, 0
.LBB6_2372:
	s_delay_alu instid0(SALU_CYCLE_1)
	s_and_b32 vcc_lo, exec_lo, s16
	s_cbranch_vccz .LBB6_2405
; %bb.2373:
	s_cmp_gt_i32 s6, 22
	s_cbranch_scc0 .LBB6_2383
; %bb.2374:
	s_cmp_lt_i32 s6, 24
	s_cbranch_scc1 .LBB6_2386
; %bb.2375:
	s_cmp_gt_i32 s6, 24
	s_cbranch_scc0 .LBB6_2387
; %bb.2376:
	global_load_u8 v15, v[16:17], off
	s_mov_b32 s13, exec_lo
	s_wait_loadcnt 0x0
	v_cmpx_lt_i16_e32 0x7f, v15
	s_xor_b32 s13, exec_lo, s13
	s_cbranch_execz .LBB6_2399
; %bb.2377:
	s_mov_b32 s9, -1
	s_mov_b32 s16, exec_lo
	v_cmpx_eq_u16_e32 0x80, v15
; %bb.2378:
	s_xor_b32 s9, exec_lo, -1
; %bb.2379:
	s_or_b32 exec_lo, exec_lo, s16
	s_delay_alu instid0(SALU_CYCLE_1)
	s_and_b32 s9, s9, exec_lo
	s_or_saveexec_b32 s13, s13
	v_mov_b64_e32 v[10:11], 0x7ff8000020000000
	s_xor_b32 exec_lo, exec_lo, s13
	s_cbranch_execnz .LBB6_2400
.LBB6_2380:
	s_or_b32 exec_lo, exec_lo, s13
	s_and_saveexec_b32 s13, s9
	s_cbranch_execz .LBB6_2382
.LBB6_2381:
	v_and_b32_e32 v10, 0xffff, v15
	s_delay_alu instid0(VALU_DEP_1) | instskip(SKIP_1) | instid1(VALU_DEP_2)
	v_and_b32_e32 v11, 3, v10
	v_bfe_u32 v21, v10, 2, 5
	v_clz_i32_u32_e32 v19, v11
	s_delay_alu instid0(VALU_DEP_2) | instskip(NEXT) | instid1(VALU_DEP_2)
	v_cmp_eq_u32_e32 vcc_lo, 0, v21
	v_min_u32_e32 v19, 32, v19
	s_delay_alu instid0(VALU_DEP_1) | instskip(NEXT) | instid1(VALU_DEP_1)
	v_subrev_nc_u32_e32 v20, 29, v19
	v_dual_lshlrev_b32 v10, v20, v10 :: v_dual_sub_nc_u32 v19, 30, v19
	s_delay_alu instid0(VALU_DEP_1) | instskip(NEXT) | instid1(VALU_DEP_1)
	v_dual_lshlrev_b32 v15, 24, v15 :: v_dual_bitop2_b32 v10, 3, v10 bitop3:0x40
	v_dual_cndmask_b32 v10, v11, v10 :: v_dual_cndmask_b32 v19, v21, v19
	s_delay_alu instid0(VALU_DEP_2) | instskip(NEXT) | instid1(VALU_DEP_2)
	v_and_b32_e32 v11, 0x80000000, v15
	v_lshlrev_b32_e32 v10, 21, v10
	s_delay_alu instid0(VALU_DEP_3) | instskip(NEXT) | instid1(VALU_DEP_1)
	v_lshl_add_u32 v15, v19, 23, 0x37800000
	v_or3_b32 v10, v11, v15, v10
	s_delay_alu instid0(VALU_DEP_1)
	v_cvt_f64_f32_e32 v[10:11], v10
.LBB6_2382:
	s_or_b32 exec_lo, exec_lo, s13
	s_mov_b32 s9, 0
	s_branch .LBB6_2388
.LBB6_2383:
	s_mov_b32 s9, -1
                                        ; implicit-def: $vgpr10_vgpr11
	s_branch .LBB6_2394
.LBB6_2384:
	s_or_saveexec_b32 s16, s16
	v_mov_b64_e32 v[10:11], 0x7ff8000020000000
	s_xor_b32 exec_lo, exec_lo, s16
	s_cbranch_execz .LBB6_2367
.LBB6_2385:
	v_cmp_ne_u16_e32 vcc_lo, 0, v15
	v_mov_b64_e32 v[10:11], 0
	s_and_not1_b32 s13, s13, exec_lo
	s_and_b32 s17, vcc_lo, exec_lo
	s_delay_alu instid0(SALU_CYCLE_1)
	s_or_b32 s13, s13, s17
	s_or_b32 exec_lo, exec_lo, s16
	s_and_saveexec_b32 s16, s13
	s_cbranch_execnz .LBB6_2368
	s_branch .LBB6_2369
.LBB6_2386:
	s_mov_b32 s9, -1
                                        ; implicit-def: $vgpr10_vgpr11
	s_branch .LBB6_2391
.LBB6_2387:
	s_mov_b32 s9, -1
                                        ; implicit-def: $vgpr10_vgpr11
.LBB6_2388:
	s_delay_alu instid0(SALU_CYCLE_1)
	s_and_b32 vcc_lo, exec_lo, s9
	s_cbranch_vccz .LBB6_2390
; %bb.2389:
	global_load_u8 v10, v[16:17], off
	s_wait_loadcnt 0x0
	v_lshlrev_b32_e32 v10, 24, v10
	s_delay_alu instid0(VALU_DEP_1) | instskip(NEXT) | instid1(VALU_DEP_1)
	v_and_b32_e32 v11, 0x7f000000, v10
	v_clz_i32_u32_e32 v15, v11
	v_add_nc_u32_e32 v20, 0x1000000, v11
	v_cmp_ne_u32_e32 vcc_lo, 0, v11
	s_delay_alu instid0(VALU_DEP_3) | instskip(NEXT) | instid1(VALU_DEP_1)
	v_min_u32_e32 v15, 32, v15
	v_sub_nc_u32_e64 v15, v15, 4 clamp
	s_delay_alu instid0(VALU_DEP_1) | instskip(SKIP_1) | instid1(VALU_DEP_2)
	v_lshlrev_b32_e32 v19, v15, v11
	v_lshlrev_b32_e32 v15, 23, v15
	v_lshrrev_b32_e32 v19, 4, v19
	s_delay_alu instid0(VALU_DEP_1) | instskip(NEXT) | instid1(VALU_DEP_1)
	v_dual_sub_nc_u32 v15, v19, v15 :: v_dual_ashrrev_i32 v19, 8, v20
	v_add_nc_u32_e32 v15, 0x3c000000, v15
	s_delay_alu instid0(VALU_DEP_1) | instskip(NEXT) | instid1(VALU_DEP_1)
	v_and_or_b32 v15, 0x7f800000, v19, v15
	v_cndmask_b32_e32 v11, 0, v15, vcc_lo
	s_delay_alu instid0(VALU_DEP_1) | instskip(NEXT) | instid1(VALU_DEP_1)
	v_and_or_b32 v10, 0x80000000, v10, v11
	v_cvt_f64_f32_e32 v[10:11], v10
.LBB6_2390:
	s_mov_b32 s9, 0
.LBB6_2391:
	s_delay_alu instid0(SALU_CYCLE_1)
	s_and_not1_b32 vcc_lo, exec_lo, s9
	s_cbranch_vccnz .LBB6_2393
; %bb.2392:
	global_load_u8 v10, v[16:17], off
	s_wait_loadcnt 0x0
	v_lshlrev_b32_e32 v11, 25, v10
	v_lshlrev_b16 v10, 8, v10
	s_delay_alu instid0(VALU_DEP_1) | instskip(SKIP_1) | instid1(VALU_DEP_2)
	v_and_or_b32 v19, 0x7f00, v10, 0.5
	v_bfe_i32 v10, v10, 0, 16
	v_add_f32_e32 v19, -0.5, v19
	v_lshrrev_b32_e32 v15, 4, v11
	v_cmp_gt_u32_e32 vcc_lo, 0x8000000, v11
	s_delay_alu instid0(VALU_DEP_2) | instskip(NEXT) | instid1(VALU_DEP_1)
	v_or_b32_e32 v15, 0x70000000, v15
	v_mul_f32_e32 v15, 0x7800000, v15
	s_delay_alu instid0(VALU_DEP_1) | instskip(NEXT) | instid1(VALU_DEP_1)
	v_cndmask_b32_e32 v11, v15, v19, vcc_lo
	v_and_or_b32 v10, 0x80000000, v10, v11
	s_delay_alu instid0(VALU_DEP_1)
	v_cvt_f64_f32_e32 v[10:11], v10
.LBB6_2393:
	s_mov_b32 s9, 0
	s_mov_b32 s13, -1
.LBB6_2394:
	s_and_not1_b32 vcc_lo, exec_lo, s9
	s_mov_b32 s9, 0
	s_cbranch_vccnz .LBB6_2405
; %bb.2395:
	s_cmp_gt_i32 s6, 14
	s_cbranch_scc0 .LBB6_2398
; %bb.2396:
	s_cmp_eq_u32 s6, 15
	s_cbranch_scc0 .LBB6_2401
; %bb.2397:
	global_load_u16 v10, v[16:17], off
	s_mov_b32 s7, 0
	s_mov_b32 s13, -1
	s_wait_loadcnt 0x0
	v_lshlrev_b32_e32 v10, 16, v10
	s_delay_alu instid0(VALU_DEP_1)
	v_cvt_f64_f32_e32 v[10:11], v10
	s_branch .LBB6_2403
.LBB6_2398:
	s_mov_b32 s9, -1
	s_branch .LBB6_2402
.LBB6_2399:
	s_or_saveexec_b32 s13, s13
	v_mov_b64_e32 v[10:11], 0x7ff8000020000000
	s_xor_b32 exec_lo, exec_lo, s13
	s_cbranch_execz .LBB6_2380
.LBB6_2400:
	v_cmp_ne_u16_e32 vcc_lo, 0, v15
	v_mov_b64_e32 v[10:11], 0
	s_and_not1_b32 s9, s9, exec_lo
	s_and_b32 s16, vcc_lo, exec_lo
	s_delay_alu instid0(SALU_CYCLE_1)
	s_or_b32 s9, s9, s16
	s_or_b32 exec_lo, exec_lo, s13
	s_and_saveexec_b32 s13, s9
	s_cbranch_execnz .LBB6_2381
	s_branch .LBB6_2382
.LBB6_2401:
	s_mov_b32 s7, -1
.LBB6_2402:
                                        ; implicit-def: $vgpr10_vgpr11
.LBB6_2403:
	s_and_b32 vcc_lo, exec_lo, s9
	s_mov_b32 s9, 0
	s_cbranch_vccz .LBB6_2405
; %bb.2404:
	s_cmp_lg_u32 s6, 11
	s_mov_b32 s9, -1
	s_cselect_b32 s7, -1, 0
.LBB6_2405:
	s_delay_alu instid0(SALU_CYCLE_1)
	s_and_b32 vcc_lo, exec_lo, s7
	s_cbranch_vccnz .LBB6_2470
; %bb.2406:
	s_and_not1_b32 vcc_lo, exec_lo, s9
	s_cbranch_vccnz .LBB6_2408
.LBB6_2407:
	global_load_u8 v10, v[16:17], off
	s_mov_b32 s13, -1
	s_wait_loadcnt 0x0
	v_cmp_ne_u16_e32 vcc_lo, 0, v10
	v_mov_b32_e32 v10, 0
	v_cndmask_b32_e64 v11, 0, 0x3ff00000, vcc_lo
.LBB6_2408:
	s_mov_b32 s6, 0
.LBB6_2409:
	s_delay_alu instid0(SALU_CYCLE_1)
	s_and_b32 vcc_lo, exec_lo, s6
	s_cbranch_vccz .LBB6_2458
; %bb.2410:
	s_and_b32 s0, 0xffff, s0
	s_delay_alu instid0(SALU_CYCLE_1)
	s_cmp_lt_i32 s0, 5
	s_cbranch_scc1 .LBB6_2415
; %bb.2411:
	s_cmp_lt_i32 s0, 8
	s_cbranch_scc1 .LBB6_2416
; %bb.2412:
	s_cmp_lt_i32 s0, 9
	s_cbranch_scc1 .LBB6_2417
; %bb.2413:
	s_cmp_gt_i32 s0, 9
	s_cbranch_scc0 .LBB6_2418
; %bb.2414:
	global_load_b64 v[10:11], v[16:17], off
	s_mov_b32 s6, 0
	s_branch .LBB6_2419
.LBB6_2415:
	s_mov_b32 s6, -1
                                        ; implicit-def: $vgpr10_vgpr11
	s_branch .LBB6_2437
.LBB6_2416:
	s_mov_b32 s6, -1
                                        ; implicit-def: $vgpr10_vgpr11
	s_branch .LBB6_2425
.LBB6_2417:
	s_mov_b32 s6, -1
                                        ; implicit-def: $vgpr10_vgpr11
	s_branch .LBB6_2422
.LBB6_2418:
	s_mov_b32 s6, -1
                                        ; implicit-def: $vgpr10_vgpr11
.LBB6_2419:
	s_delay_alu instid0(SALU_CYCLE_1)
	s_and_not1_b32 vcc_lo, exec_lo, s6
	s_cbranch_vccnz .LBB6_2421
; %bb.2420:
	s_wait_loadcnt 0x0
	global_load_b32 v10, v[16:17], off
	s_wait_loadcnt 0x0
	v_cvt_f64_f32_e32 v[10:11], v10
.LBB6_2421:
	s_mov_b32 s6, 0
.LBB6_2422:
	s_delay_alu instid0(SALU_CYCLE_1)
	s_and_not1_b32 vcc_lo, exec_lo, s6
	s_cbranch_vccnz .LBB6_2424
; %bb.2423:
	s_wait_loadcnt 0x0
	global_load_b32 v10, v[16:17], off
	s_wait_loadcnt 0x0
	v_cvt_f32_f16_e32 v10, v10
	s_delay_alu instid0(VALU_DEP_1)
	v_cvt_f64_f32_e32 v[10:11], v10
.LBB6_2424:
	s_mov_b32 s6, 0
.LBB6_2425:
	s_delay_alu instid0(SALU_CYCLE_1)
	s_and_not1_b32 vcc_lo, exec_lo, s6
	s_cbranch_vccnz .LBB6_2436
; %bb.2426:
	s_cmp_lt_i32 s0, 6
	s_cbranch_scc1 .LBB6_2429
; %bb.2427:
	s_cmp_gt_i32 s0, 6
	s_cbranch_scc0 .LBB6_2430
; %bb.2428:
	s_wait_loadcnt 0x0
	global_load_b64 v[10:11], v[16:17], off
	s_mov_b32 s6, 0
	s_branch .LBB6_2431
.LBB6_2429:
	s_mov_b32 s6, -1
                                        ; implicit-def: $vgpr10_vgpr11
	s_branch .LBB6_2434
.LBB6_2430:
	s_mov_b32 s6, -1
                                        ; implicit-def: $vgpr10_vgpr11
.LBB6_2431:
	s_delay_alu instid0(SALU_CYCLE_1)
	s_and_not1_b32 vcc_lo, exec_lo, s6
	s_cbranch_vccnz .LBB6_2433
; %bb.2432:
	s_wait_loadcnt 0x0
	global_load_b32 v10, v[16:17], off
	s_wait_loadcnt 0x0
	v_cvt_f64_f32_e32 v[10:11], v10
.LBB6_2433:
	s_mov_b32 s6, 0
.LBB6_2434:
	s_delay_alu instid0(SALU_CYCLE_1)
	s_and_not1_b32 vcc_lo, exec_lo, s6
	s_cbranch_vccnz .LBB6_2436
; %bb.2435:
	s_wait_loadcnt 0x0
	global_load_u16 v10, v[16:17], off
	s_wait_loadcnt 0x0
	v_cvt_f32_f16_e32 v10, v10
	s_delay_alu instid0(VALU_DEP_1)
	v_cvt_f64_f32_e32 v[10:11], v10
.LBB6_2436:
	s_mov_b32 s6, 0
.LBB6_2437:
	s_delay_alu instid0(SALU_CYCLE_1)
	s_and_not1_b32 vcc_lo, exec_lo, s6
	s_cbranch_vccnz .LBB6_2457
; %bb.2438:
	s_cmp_lt_i32 s0, 2
	s_cbranch_scc1 .LBB6_2442
; %bb.2439:
	s_cmp_lt_i32 s0, 3
	s_cbranch_scc1 .LBB6_2443
; %bb.2440:
	s_cmp_gt_i32 s0, 3
	s_cbranch_scc0 .LBB6_2444
; %bb.2441:
	s_wait_loadcnt 0x0
	global_load_b64 v[10:11], v[16:17], off
	s_mov_b32 s6, 0
	s_wait_loadcnt 0x0
	v_cvt_f64_i32_e32 v[20:21], v11
	v_cvt_f64_u32_e32 v[10:11], v10
	s_delay_alu instid0(VALU_DEP_2) | instskip(NEXT) | instid1(VALU_DEP_1)
	v_ldexp_f64 v[20:21], v[20:21], 32
	v_add_f64_e32 v[10:11], v[20:21], v[10:11]
	s_branch .LBB6_2445
.LBB6_2442:
	s_mov_b32 s6, -1
                                        ; implicit-def: $vgpr10_vgpr11
	s_branch .LBB6_2451
.LBB6_2443:
	s_mov_b32 s6, -1
                                        ; implicit-def: $vgpr10_vgpr11
	s_branch .LBB6_2448
.LBB6_2444:
	s_mov_b32 s6, -1
                                        ; implicit-def: $vgpr10_vgpr11
.LBB6_2445:
	s_delay_alu instid0(SALU_CYCLE_1)
	s_and_not1_b32 vcc_lo, exec_lo, s6
	s_cbranch_vccnz .LBB6_2447
; %bb.2446:
	s_wait_loadcnt 0x0
	global_load_b32 v10, v[16:17], off
	s_wait_loadcnt 0x0
	v_cvt_f64_i32_e32 v[10:11], v10
.LBB6_2447:
	s_mov_b32 s6, 0
.LBB6_2448:
	s_delay_alu instid0(SALU_CYCLE_1)
	s_and_not1_b32 vcc_lo, exec_lo, s6
	s_cbranch_vccnz .LBB6_2450
; %bb.2449:
	s_wait_loadcnt 0x0
	global_load_i16 v10, v[16:17], off
	s_wait_loadcnt 0x0
	v_cvt_f64_i32_e32 v[10:11], v10
.LBB6_2450:
	s_mov_b32 s6, 0
.LBB6_2451:
	s_delay_alu instid0(SALU_CYCLE_1)
	s_and_not1_b32 vcc_lo, exec_lo, s6
	s_cbranch_vccnz .LBB6_2457
; %bb.2452:
	s_cmp_gt_i32 s0, 0
	s_mov_b32 s0, 0
	s_cbranch_scc0 .LBB6_2454
; %bb.2453:
	s_wait_loadcnt 0x0
	global_load_i8 v10, v[16:17], off
	s_wait_loadcnt 0x0
	v_cvt_f64_i32_e32 v[10:11], v10
	s_branch .LBB6_2455
.LBB6_2454:
	s_mov_b32 s0, -1
                                        ; implicit-def: $vgpr10_vgpr11
.LBB6_2455:
	s_delay_alu instid0(SALU_CYCLE_1)
	s_and_not1_b32 vcc_lo, exec_lo, s0
	s_cbranch_vccnz .LBB6_2457
; %bb.2456:
	s_wait_loadcnt 0x0
	global_load_u8 v10, v[16:17], off
	s_wait_loadcnt 0x0
	v_cvt_f64_u32_e32 v[10:11], v10
.LBB6_2457:
	s_mov_b32 s13, -1
.LBB6_2458:
	s_delay_alu instid0(SALU_CYCLE_1)
	s_and_not1_b32 vcc_lo, exec_lo, s13
	s_cbranch_vccnz .LBB6_3023
; %bb.2459:
	v_add_nc_u32_e32 v14, s10, v14
	s_cmp_lt_i32 s1, 11
	s_delay_alu instid0(VALU_DEP_1) | instskip(SKIP_1) | instid1(VALU_DEP_1)
	v_ashrrev_i32_e32 v15, 31, v14
	s_wait_xcnt 0x0
	v_add_nc_u64_e32 v[16:17], s[2:3], v[14:15]
	s_cbranch_scc1 .LBB6_2466
; %bb.2460:
	s_and_b32 s0, 0xffff, s1
	s_mov_b32 s3, 0
	s_cmp_gt_i32 s0, 25
	s_cbranch_scc0 .LBB6_2467
; %bb.2461:
	s_cmp_gt_i32 s0, 28
	s_cbranch_scc0 .LBB6_2468
; %bb.2462:
	;; [unrolled: 3-line block ×4, first 2 shown]
	s_cmp_eq_u32 s0, 46
	s_mov_b32 s7, 0
	s_cbranch_scc0 .LBB6_2472
; %bb.2465:
	global_load_b32 v14, v[16:17], off
	s_mov_b32 s2, 0
	s_mov_b32 s6, -1
	s_wait_loadcnt 0x0
	v_lshlrev_b32_e32 v14, 16, v14
	s_delay_alu instid0(VALU_DEP_1)
	v_cvt_f64_f32_e32 v[14:15], v14
	s_branch .LBB6_2474
.LBB6_2466:
	s_mov_b32 s0, -1
	s_mov_b32 s6, 0
                                        ; implicit-def: $vgpr14_vgpr15
	s_branch .LBB6_2540
.LBB6_2467:
	s_mov_b32 s7, -1
	s_mov_b32 s6, 0
	s_mov_b32 s2, 0
                                        ; implicit-def: $vgpr14_vgpr15
	s_branch .LBB6_2503
.LBB6_2468:
	s_mov_b32 s7, -1
	s_mov_b32 s6, 0
	s_mov_b32 s2, 0
                                        ; implicit-def: $vgpr14_vgpr15
	s_branch .LBB6_2484
.LBB6_2469:
	s_mov_b32 s7, -1
	s_mov_b32 s6, 0
	s_mov_b32 s2, 0
                                        ; implicit-def: $vgpr14_vgpr15
	s_branch .LBB6_2479
.LBB6_2470:
	s_or_b32 s12, s12, exec_lo
	s_trap 2
	s_cbranch_execz .LBB6_2407
	s_branch .LBB6_2408
.LBB6_2471:
	s_mov_b32 s7, -1
	s_mov_b32 s6, 0
	s_mov_b32 s2, 0
	s_branch .LBB6_2473
.LBB6_2472:
	s_mov_b32 s2, -1
	s_mov_b32 s6, 0
.LBB6_2473:
                                        ; implicit-def: $vgpr14_vgpr15
.LBB6_2474:
	s_and_b32 vcc_lo, exec_lo, s7
	s_cbranch_vccz .LBB6_2478
; %bb.2475:
	s_cmp_eq_u32 s0, 44
	s_cbranch_scc0 .LBB6_2477
; %bb.2476:
	global_load_u8 v19, v[16:17], off
	s_mov_b32 s2, 0
	s_mov_b32 s6, -1
	s_wait_loadcnt 0x0
	v_lshlrev_b32_e32 v14, 23, v19
	v_cmp_ne_u32_e32 vcc_lo, 0xff, v19
	s_delay_alu instid0(VALU_DEP_2) | instskip(NEXT) | instid1(VALU_DEP_1)
	v_cvt_f64_f32_e32 v[14:15], v14
	v_cndmask_b32_e32 v14, 0x20000000, v14, vcc_lo
	s_delay_alu instid0(VALU_DEP_2) | instskip(SKIP_1) | instid1(VALU_DEP_2)
	v_cndmask_b32_e32 v15, 0x7ff80000, v15, vcc_lo
	v_cmp_ne_u32_e32 vcc_lo, 0, v19
	v_cndmask_b32_e32 v15, 0x38000000, v15, vcc_lo
	s_delay_alu instid0(VALU_DEP_4)
	v_cndmask_b32_e32 v14, 0, v14, vcc_lo
	s_branch .LBB6_2478
.LBB6_2477:
	s_mov_b32 s2, -1
                                        ; implicit-def: $vgpr14_vgpr15
.LBB6_2478:
	s_mov_b32 s7, 0
.LBB6_2479:
	s_delay_alu instid0(SALU_CYCLE_1)
	s_and_b32 vcc_lo, exec_lo, s7
	s_cbranch_vccz .LBB6_2483
; %bb.2480:
	s_cmp_eq_u32 s0, 29
	s_cbranch_scc0 .LBB6_2482
; %bb.2481:
	global_load_b64 v[14:15], v[16:17], off
	s_mov_b32 s2, 0
	s_mov_b32 s6, -1
	s_mov_b32 s7, 0
	s_wait_loadcnt 0x0
	v_cvt_f64_u32_e32 v[20:21], v15
	v_cvt_f64_u32_e32 v[14:15], v14
	s_delay_alu instid0(VALU_DEP_2) | instskip(NEXT) | instid1(VALU_DEP_1)
	v_ldexp_f64 v[20:21], v[20:21], 32
	v_add_f64_e32 v[14:15], v[20:21], v[14:15]
	s_branch .LBB6_2484
.LBB6_2482:
	s_mov_b32 s2, -1
                                        ; implicit-def: $vgpr14_vgpr15
.LBB6_2483:
	s_mov_b32 s7, 0
.LBB6_2484:
	s_delay_alu instid0(SALU_CYCLE_1)
	s_and_b32 vcc_lo, exec_lo, s7
	s_cbranch_vccz .LBB6_2502
; %bb.2485:
	s_cmp_lt_i32 s0, 27
	s_cbranch_scc1 .LBB6_2488
; %bb.2486:
	s_cmp_gt_i32 s0, 27
	s_cbranch_scc0 .LBB6_2489
; %bb.2487:
	global_load_b32 v14, v[16:17], off
	s_mov_b32 s6, 0
	s_wait_loadcnt 0x0
	v_cvt_f64_u32_e32 v[14:15], v14
	s_branch .LBB6_2490
.LBB6_2488:
	s_mov_b32 s6, -1
                                        ; implicit-def: $vgpr14_vgpr15
	s_branch .LBB6_2493
.LBB6_2489:
	s_mov_b32 s6, -1
                                        ; implicit-def: $vgpr14_vgpr15
.LBB6_2490:
	s_delay_alu instid0(SALU_CYCLE_1)
	s_and_not1_b32 vcc_lo, exec_lo, s6
	s_cbranch_vccnz .LBB6_2492
; %bb.2491:
	global_load_u16 v14, v[16:17], off
	s_wait_loadcnt 0x0
	v_cvt_f64_u32_e32 v[14:15], v14
.LBB6_2492:
	s_mov_b32 s6, 0
.LBB6_2493:
	s_delay_alu instid0(SALU_CYCLE_1)
	s_and_not1_b32 vcc_lo, exec_lo, s6
	s_cbranch_vccnz .LBB6_2501
; %bb.2494:
	global_load_u8 v19, v[16:17], off
	s_mov_b32 s6, 0
	s_mov_b32 s7, exec_lo
	s_wait_loadcnt 0x0
	v_cmpx_lt_i16_e32 0x7f, v19
	s_xor_b32 s7, exec_lo, s7
	s_cbranch_execz .LBB6_2515
; %bb.2495:
	s_mov_b32 s6, -1
	s_mov_b32 s9, exec_lo
	v_cmpx_eq_u16_e32 0x80, v19
; %bb.2496:
	s_xor_b32 s6, exec_lo, -1
; %bb.2497:
	s_or_b32 exec_lo, exec_lo, s9
	s_delay_alu instid0(SALU_CYCLE_1)
	s_and_b32 s6, s6, exec_lo
	s_or_saveexec_b32 s7, s7
	v_mov_b64_e32 v[14:15], 0x7ff8000020000000
	s_xor_b32 exec_lo, exec_lo, s7
	s_cbranch_execnz .LBB6_2516
.LBB6_2498:
	s_or_b32 exec_lo, exec_lo, s7
	s_and_saveexec_b32 s7, s6
	s_cbranch_execz .LBB6_2500
.LBB6_2499:
	v_and_b32_e32 v14, 0xffff, v19
	s_delay_alu instid0(VALU_DEP_1) | instskip(SKIP_1) | instid1(VALU_DEP_2)
	v_and_b32_e32 v15, 7, v14
	v_bfe_u32 v22, v14, 3, 4
	v_clz_i32_u32_e32 v20, v15
	s_delay_alu instid0(VALU_DEP_2) | instskip(NEXT) | instid1(VALU_DEP_2)
	v_cmp_eq_u32_e32 vcc_lo, 0, v22
	v_min_u32_e32 v20, 32, v20
	s_delay_alu instid0(VALU_DEP_1) | instskip(NEXT) | instid1(VALU_DEP_1)
	v_subrev_nc_u32_e32 v21, 28, v20
	v_dual_lshlrev_b32 v14, v21, v14 :: v_dual_sub_nc_u32 v20, 29, v20
	s_delay_alu instid0(VALU_DEP_1) | instskip(NEXT) | instid1(VALU_DEP_1)
	v_dual_lshlrev_b32 v19, 24, v19 :: v_dual_bitop2_b32 v14, 7, v14 bitop3:0x40
	v_dual_cndmask_b32 v20, v22, v20, vcc_lo :: v_dual_cndmask_b32 v14, v15, v14, vcc_lo
	s_delay_alu instid0(VALU_DEP_2) | instskip(NEXT) | instid1(VALU_DEP_2)
	v_and_b32_e32 v15, 0x80000000, v19
	v_lshl_add_u32 v19, v20, 23, 0x3b800000
	s_delay_alu instid0(VALU_DEP_3) | instskip(NEXT) | instid1(VALU_DEP_1)
	v_lshlrev_b32_e32 v14, 20, v14
	v_or3_b32 v14, v15, v19, v14
	s_delay_alu instid0(VALU_DEP_1)
	v_cvt_f64_f32_e32 v[14:15], v14
.LBB6_2500:
	s_or_b32 exec_lo, exec_lo, s7
.LBB6_2501:
	s_mov_b32 s6, -1
.LBB6_2502:
	s_mov_b32 s7, 0
.LBB6_2503:
	s_delay_alu instid0(SALU_CYCLE_1)
	s_and_b32 vcc_lo, exec_lo, s7
	s_cbranch_vccz .LBB6_2536
; %bb.2504:
	s_cmp_gt_i32 s0, 22
	s_cbranch_scc0 .LBB6_2514
; %bb.2505:
	s_cmp_lt_i32 s0, 24
	s_cbranch_scc1 .LBB6_2517
; %bb.2506:
	s_cmp_gt_i32 s0, 24
	s_cbranch_scc0 .LBB6_2518
; %bb.2507:
	global_load_u8 v19, v[16:17], off
	s_mov_b32 s6, exec_lo
	s_wait_loadcnt 0x0
	v_cmpx_lt_i16_e32 0x7f, v19
	s_xor_b32 s6, exec_lo, s6
	s_cbranch_execz .LBB6_2530
; %bb.2508:
	s_mov_b32 s3, -1
	s_mov_b32 s7, exec_lo
	v_cmpx_eq_u16_e32 0x80, v19
; %bb.2509:
	s_xor_b32 s3, exec_lo, -1
; %bb.2510:
	s_or_b32 exec_lo, exec_lo, s7
	s_delay_alu instid0(SALU_CYCLE_1)
	s_and_b32 s3, s3, exec_lo
	s_or_saveexec_b32 s6, s6
	v_mov_b64_e32 v[14:15], 0x7ff8000020000000
	s_xor_b32 exec_lo, exec_lo, s6
	s_cbranch_execnz .LBB6_2531
.LBB6_2511:
	s_or_b32 exec_lo, exec_lo, s6
	s_and_saveexec_b32 s6, s3
	s_cbranch_execz .LBB6_2513
.LBB6_2512:
	v_and_b32_e32 v14, 0xffff, v19
	s_delay_alu instid0(VALU_DEP_1) | instskip(SKIP_1) | instid1(VALU_DEP_2)
	v_and_b32_e32 v15, 3, v14
	v_bfe_u32 v22, v14, 2, 5
	v_clz_i32_u32_e32 v20, v15
	s_delay_alu instid0(VALU_DEP_2) | instskip(NEXT) | instid1(VALU_DEP_2)
	v_cmp_eq_u32_e32 vcc_lo, 0, v22
	v_min_u32_e32 v20, 32, v20
	s_delay_alu instid0(VALU_DEP_1) | instskip(NEXT) | instid1(VALU_DEP_1)
	v_subrev_nc_u32_e32 v21, 29, v20
	v_dual_lshlrev_b32 v14, v21, v14 :: v_dual_sub_nc_u32 v20, 30, v20
	s_delay_alu instid0(VALU_DEP_1) | instskip(NEXT) | instid1(VALU_DEP_1)
	v_dual_lshlrev_b32 v19, 24, v19 :: v_dual_bitop2_b32 v14, 3, v14 bitop3:0x40
	v_dual_cndmask_b32 v20, v22, v20, vcc_lo :: v_dual_cndmask_b32 v14, v15, v14, vcc_lo
	s_delay_alu instid0(VALU_DEP_2) | instskip(NEXT) | instid1(VALU_DEP_2)
	v_and_b32_e32 v15, 0x80000000, v19
	v_lshl_add_u32 v19, v20, 23, 0x37800000
	s_delay_alu instid0(VALU_DEP_3) | instskip(NEXT) | instid1(VALU_DEP_1)
	v_lshlrev_b32_e32 v14, 21, v14
	v_or3_b32 v14, v15, v19, v14
	s_delay_alu instid0(VALU_DEP_1)
	v_cvt_f64_f32_e32 v[14:15], v14
.LBB6_2513:
	s_or_b32 exec_lo, exec_lo, s6
	s_mov_b32 s3, 0
	s_branch .LBB6_2519
.LBB6_2514:
	s_mov_b32 s3, -1
                                        ; implicit-def: $vgpr14_vgpr15
	s_branch .LBB6_2525
.LBB6_2515:
	s_or_saveexec_b32 s7, s7
	v_mov_b64_e32 v[14:15], 0x7ff8000020000000
	s_xor_b32 exec_lo, exec_lo, s7
	s_cbranch_execz .LBB6_2498
.LBB6_2516:
	v_cmp_ne_u16_e32 vcc_lo, 0, v19
	v_mov_b64_e32 v[14:15], 0
	s_and_not1_b32 s6, s6, exec_lo
	s_and_b32 s9, vcc_lo, exec_lo
	s_delay_alu instid0(SALU_CYCLE_1)
	s_or_b32 s6, s6, s9
	s_or_b32 exec_lo, exec_lo, s7
	s_and_saveexec_b32 s7, s6
	s_cbranch_execnz .LBB6_2499
	s_branch .LBB6_2500
.LBB6_2517:
	s_mov_b32 s3, -1
                                        ; implicit-def: $vgpr14_vgpr15
	s_branch .LBB6_2522
.LBB6_2518:
	s_mov_b32 s3, -1
                                        ; implicit-def: $vgpr14_vgpr15
.LBB6_2519:
	s_delay_alu instid0(SALU_CYCLE_1)
	s_and_b32 vcc_lo, exec_lo, s3
	s_cbranch_vccz .LBB6_2521
; %bb.2520:
	global_load_u8 v14, v[16:17], off
	s_wait_loadcnt 0x0
	v_lshlrev_b32_e32 v14, 24, v14
	s_delay_alu instid0(VALU_DEP_1) | instskip(NEXT) | instid1(VALU_DEP_1)
	v_and_b32_e32 v15, 0x7f000000, v14
	v_clz_i32_u32_e32 v19, v15
	v_add_nc_u32_e32 v21, 0x1000000, v15
	v_cmp_ne_u32_e32 vcc_lo, 0, v15
	s_delay_alu instid0(VALU_DEP_3) | instskip(NEXT) | instid1(VALU_DEP_1)
	v_min_u32_e32 v19, 32, v19
	v_sub_nc_u32_e64 v19, v19, 4 clamp
	s_delay_alu instid0(VALU_DEP_1) | instskip(NEXT) | instid1(VALU_DEP_1)
	v_lshlrev_b32_e32 v20, v19, v15
	v_dual_lshlrev_b32 v19, 23, v19 :: v_dual_lshrrev_b32 v20, 4, v20
	s_delay_alu instid0(VALU_DEP_1) | instskip(NEXT) | instid1(VALU_DEP_1)
	v_dual_sub_nc_u32 v19, v20, v19 :: v_dual_ashrrev_i32 v20, 8, v21
	v_add_nc_u32_e32 v19, 0x3c000000, v19
	s_delay_alu instid0(VALU_DEP_1) | instskip(NEXT) | instid1(VALU_DEP_1)
	v_and_or_b32 v19, 0x7f800000, v20, v19
	v_cndmask_b32_e32 v15, 0, v19, vcc_lo
	s_delay_alu instid0(VALU_DEP_1) | instskip(NEXT) | instid1(VALU_DEP_1)
	v_and_or_b32 v14, 0x80000000, v14, v15
	v_cvt_f64_f32_e32 v[14:15], v14
.LBB6_2521:
	s_mov_b32 s3, 0
.LBB6_2522:
	s_delay_alu instid0(SALU_CYCLE_1)
	s_and_not1_b32 vcc_lo, exec_lo, s3
	s_cbranch_vccnz .LBB6_2524
; %bb.2523:
	global_load_u8 v14, v[16:17], off
	s_wait_loadcnt 0x0
	v_lshlrev_b32_e32 v15, 25, v14
	v_lshlrev_b16 v14, 8, v14
	s_delay_alu instid0(VALU_DEP_1) | instskip(SKIP_1) | instid1(VALU_DEP_2)
	v_and_or_b32 v20, 0x7f00, v14, 0.5
	v_bfe_i32 v14, v14, 0, 16
	v_dual_add_f32 v20, -0.5, v20 :: v_dual_lshrrev_b32 v19, 4, v15
	v_cmp_gt_u32_e32 vcc_lo, 0x8000000, v15
	s_delay_alu instid0(VALU_DEP_2) | instskip(NEXT) | instid1(VALU_DEP_1)
	v_or_b32_e32 v19, 0x70000000, v19
	v_mul_f32_e32 v19, 0x7800000, v19
	s_delay_alu instid0(VALU_DEP_1) | instskip(NEXT) | instid1(VALU_DEP_1)
	v_cndmask_b32_e32 v15, v19, v20, vcc_lo
	v_and_or_b32 v14, 0x80000000, v14, v15
	s_delay_alu instid0(VALU_DEP_1)
	v_cvt_f64_f32_e32 v[14:15], v14
.LBB6_2524:
	s_mov_b32 s3, 0
	s_mov_b32 s6, -1
.LBB6_2525:
	s_and_not1_b32 vcc_lo, exec_lo, s3
	s_mov_b32 s3, 0
	s_cbranch_vccnz .LBB6_2536
; %bb.2526:
	s_cmp_gt_i32 s0, 14
	s_cbranch_scc0 .LBB6_2529
; %bb.2527:
	s_cmp_eq_u32 s0, 15
	s_cbranch_scc0 .LBB6_2532
; %bb.2528:
	global_load_u16 v14, v[16:17], off
	s_mov_b32 s2, 0
	s_mov_b32 s6, -1
	s_wait_loadcnt 0x0
	v_lshlrev_b32_e32 v14, 16, v14
	s_delay_alu instid0(VALU_DEP_1)
	v_cvt_f64_f32_e32 v[14:15], v14
	s_branch .LBB6_2534
.LBB6_2529:
	s_mov_b32 s3, -1
	s_branch .LBB6_2533
.LBB6_2530:
	s_or_saveexec_b32 s6, s6
	v_mov_b64_e32 v[14:15], 0x7ff8000020000000
	s_xor_b32 exec_lo, exec_lo, s6
	s_cbranch_execz .LBB6_2511
.LBB6_2531:
	v_cmp_ne_u16_e32 vcc_lo, 0, v19
	v_mov_b64_e32 v[14:15], 0
	s_and_not1_b32 s3, s3, exec_lo
	s_and_b32 s7, vcc_lo, exec_lo
	s_delay_alu instid0(SALU_CYCLE_1)
	s_or_b32 s3, s3, s7
	s_or_b32 exec_lo, exec_lo, s6
	s_and_saveexec_b32 s6, s3
	s_cbranch_execnz .LBB6_2512
	s_branch .LBB6_2513
.LBB6_2532:
	s_mov_b32 s2, -1
.LBB6_2533:
                                        ; implicit-def: $vgpr14_vgpr15
.LBB6_2534:
	s_and_b32 vcc_lo, exec_lo, s3
	s_mov_b32 s3, 0
	s_cbranch_vccz .LBB6_2536
; %bb.2535:
	s_cmp_lg_u32 s0, 11
	s_mov_b32 s3, -1
	s_cselect_b32 s2, -1, 0
.LBB6_2536:
	s_delay_alu instid0(SALU_CYCLE_1)
	s_and_b32 vcc_lo, exec_lo, s2
	s_cbranch_vccnz .LBB6_3069
; %bb.2537:
	s_and_not1_b32 vcc_lo, exec_lo, s3
	s_cbranch_vccnz .LBB6_2539
.LBB6_2538:
	global_load_u8 v14, v[16:17], off
	s_mov_b32 s6, -1
	s_wait_loadcnt 0x0
	v_cmp_ne_u16_e32 vcc_lo, 0, v14
	v_mov_b32_e32 v14, 0
	v_cndmask_b32_e64 v15, 0, 0x3ff00000, vcc_lo
.LBB6_2539:
	s_mov_b32 s0, 0
.LBB6_2540:
	s_delay_alu instid0(SALU_CYCLE_1)
	s_and_b32 vcc_lo, exec_lo, s0
	s_cbranch_vccz .LBB6_2589
; %bb.2541:
	s_and_b32 s0, 0xffff, s1
	s_delay_alu instid0(SALU_CYCLE_1)
	s_cmp_lt_i32 s0, 5
	s_cbranch_scc1 .LBB6_2546
; %bb.2542:
	s_cmp_lt_i32 s0, 8
	s_cbranch_scc1 .LBB6_2547
; %bb.2543:
	;; [unrolled: 3-line block ×3, first 2 shown]
	s_cmp_gt_i32 s0, 9
	s_cbranch_scc0 .LBB6_2549
; %bb.2545:
	global_load_b64 v[14:15], v[16:17], off
	s_mov_b32 s1, 0
	s_branch .LBB6_2550
.LBB6_2546:
	s_mov_b32 s1, -1
                                        ; implicit-def: $vgpr14_vgpr15
	s_branch .LBB6_2568
.LBB6_2547:
	s_mov_b32 s1, -1
                                        ; implicit-def: $vgpr14_vgpr15
	s_branch .LBB6_2556
.LBB6_2548:
	s_mov_b32 s1, -1
                                        ; implicit-def: $vgpr14_vgpr15
	s_branch .LBB6_2553
.LBB6_2549:
	s_mov_b32 s1, -1
                                        ; implicit-def: $vgpr14_vgpr15
.LBB6_2550:
	s_delay_alu instid0(SALU_CYCLE_1)
	s_and_not1_b32 vcc_lo, exec_lo, s1
	s_cbranch_vccnz .LBB6_2552
; %bb.2551:
	s_wait_loadcnt 0x0
	global_load_b32 v14, v[16:17], off
	s_wait_loadcnt 0x0
	v_cvt_f64_f32_e32 v[14:15], v14
.LBB6_2552:
	s_mov_b32 s1, 0
.LBB6_2553:
	s_delay_alu instid0(SALU_CYCLE_1)
	s_and_not1_b32 vcc_lo, exec_lo, s1
	s_cbranch_vccnz .LBB6_2555
; %bb.2554:
	s_wait_loadcnt 0x0
	global_load_b32 v14, v[16:17], off
	s_wait_loadcnt 0x0
	v_cvt_f32_f16_e32 v14, v14
	s_delay_alu instid0(VALU_DEP_1)
	v_cvt_f64_f32_e32 v[14:15], v14
.LBB6_2555:
	s_mov_b32 s1, 0
.LBB6_2556:
	s_delay_alu instid0(SALU_CYCLE_1)
	s_and_not1_b32 vcc_lo, exec_lo, s1
	s_cbranch_vccnz .LBB6_2567
; %bb.2557:
	s_cmp_lt_i32 s0, 6
	s_cbranch_scc1 .LBB6_2560
; %bb.2558:
	s_cmp_gt_i32 s0, 6
	s_cbranch_scc0 .LBB6_2561
; %bb.2559:
	s_wait_loadcnt 0x0
	global_load_b64 v[14:15], v[16:17], off
	s_mov_b32 s1, 0
	s_branch .LBB6_2562
.LBB6_2560:
	s_mov_b32 s1, -1
                                        ; implicit-def: $vgpr14_vgpr15
	s_branch .LBB6_2565
.LBB6_2561:
	s_mov_b32 s1, -1
                                        ; implicit-def: $vgpr14_vgpr15
.LBB6_2562:
	s_delay_alu instid0(SALU_CYCLE_1)
	s_and_not1_b32 vcc_lo, exec_lo, s1
	s_cbranch_vccnz .LBB6_2564
; %bb.2563:
	s_wait_loadcnt 0x0
	global_load_b32 v14, v[16:17], off
	s_wait_loadcnt 0x0
	v_cvt_f64_f32_e32 v[14:15], v14
.LBB6_2564:
	s_mov_b32 s1, 0
.LBB6_2565:
	s_delay_alu instid0(SALU_CYCLE_1)
	s_and_not1_b32 vcc_lo, exec_lo, s1
	s_cbranch_vccnz .LBB6_2567
; %bb.2566:
	s_wait_loadcnt 0x0
	global_load_u16 v14, v[16:17], off
	s_wait_loadcnt 0x0
	v_cvt_f32_f16_e32 v14, v14
	s_delay_alu instid0(VALU_DEP_1)
	v_cvt_f64_f32_e32 v[14:15], v14
.LBB6_2567:
	s_mov_b32 s1, 0
.LBB6_2568:
	s_delay_alu instid0(SALU_CYCLE_1)
	s_and_not1_b32 vcc_lo, exec_lo, s1
	s_cbranch_vccnz .LBB6_2588
; %bb.2569:
	s_cmp_lt_i32 s0, 2
	s_cbranch_scc1 .LBB6_2573
; %bb.2570:
	s_cmp_lt_i32 s0, 3
	s_cbranch_scc1 .LBB6_2574
; %bb.2571:
	s_cmp_gt_i32 s0, 3
	s_cbranch_scc0 .LBB6_2575
; %bb.2572:
	s_wait_loadcnt 0x0
	global_load_b64 v[14:15], v[16:17], off
	s_mov_b32 s1, 0
	s_wait_loadcnt 0x0
	v_cvt_f64_i32_e32 v[20:21], v15
	v_cvt_f64_u32_e32 v[14:15], v14
	s_delay_alu instid0(VALU_DEP_2) | instskip(NEXT) | instid1(VALU_DEP_1)
	v_ldexp_f64 v[20:21], v[20:21], 32
	v_add_f64_e32 v[14:15], v[20:21], v[14:15]
	s_branch .LBB6_2576
.LBB6_2573:
	s_mov_b32 s1, -1
                                        ; implicit-def: $vgpr14_vgpr15
	s_branch .LBB6_2582
.LBB6_2574:
	s_mov_b32 s1, -1
                                        ; implicit-def: $vgpr14_vgpr15
	s_branch .LBB6_2579
.LBB6_2575:
	s_mov_b32 s1, -1
                                        ; implicit-def: $vgpr14_vgpr15
.LBB6_2576:
	s_delay_alu instid0(SALU_CYCLE_1)
	s_and_not1_b32 vcc_lo, exec_lo, s1
	s_cbranch_vccnz .LBB6_2578
; %bb.2577:
	s_wait_loadcnt 0x0
	global_load_b32 v14, v[16:17], off
	s_wait_loadcnt 0x0
	v_cvt_f64_i32_e32 v[14:15], v14
.LBB6_2578:
	s_mov_b32 s1, 0
.LBB6_2579:
	s_delay_alu instid0(SALU_CYCLE_1)
	s_and_not1_b32 vcc_lo, exec_lo, s1
	s_cbranch_vccnz .LBB6_2581
; %bb.2580:
	s_wait_loadcnt 0x0
	global_load_i16 v14, v[16:17], off
	s_wait_loadcnt 0x0
	v_cvt_f64_i32_e32 v[14:15], v14
.LBB6_2581:
	s_mov_b32 s1, 0
.LBB6_2582:
	s_delay_alu instid0(SALU_CYCLE_1)
	s_and_not1_b32 vcc_lo, exec_lo, s1
	s_cbranch_vccnz .LBB6_2588
; %bb.2583:
	s_cmp_gt_i32 s0, 0
	s_mov_b32 s0, 0
	s_cbranch_scc0 .LBB6_2585
; %bb.2584:
	s_wait_loadcnt 0x0
	global_load_i8 v14, v[16:17], off
	s_wait_loadcnt 0x0
	v_cvt_f64_i32_e32 v[14:15], v14
	s_branch .LBB6_2586
.LBB6_2585:
	s_mov_b32 s0, -1
                                        ; implicit-def: $vgpr14_vgpr15
.LBB6_2586:
	s_delay_alu instid0(SALU_CYCLE_1)
	s_and_not1_b32 vcc_lo, exec_lo, s0
	s_cbranch_vccnz .LBB6_2588
; %bb.2587:
	s_wait_loadcnt 0x0
	global_load_u8 v14, v[16:17], off
	s_wait_loadcnt 0x0
	v_cvt_f64_u32_e32 v[14:15], v14
.LBB6_2588:
	s_mov_b32 s6, -1
.LBB6_2589:
	s_delay_alu instid0(SALU_CYCLE_1)
	s_and_not1_b32 vcc_lo, exec_lo, s6
	s_cbranch_vccnz .LBB6_3023
; %bb.2590:
	s_wait_loadcnt 0x0
	v_cmp_lt_f64_e32 vcc_lo, 0, v[0:1]
	s_wait_xcnt 0x0
	v_mul_lo_u32 v16, s8, v18
	v_mul_f64_e32 v[2:3], v[0:1], v[2:3]
	s_and_b32 s16, s11, 0xff
	s_delay_alu instid0(SALU_CYCLE_1) | instskip(NEXT) | instid1(VALU_DEP_2)
	s_cmp_lt_i32 s16, 11
	v_ashrrev_i32_e32 v17, 31, v16
	s_delay_alu instid0(VALU_DEP_1) | instskip(NEXT) | instid1(VALU_DEP_3)
	v_add_nc_u64_e32 v[18:19], s[4:5], v[16:17]
	v_dual_cndmask_b32 v1, v3, v1 :: v_dual_cndmask_b32 v0, v2, v0
	s_cbranch_scc1 .LBB6_2668
; %bb.2591:
	s_and_b32 s1, 0xffff, s16
	s_mov_b32 s6, -1
	s_mov_b32 s2, 0
	s_cmp_gt_i32 s1, 25
	s_mov_b32 s3, 0
	s_mov_b32 s0, 0
	s_cbranch_scc0 .LBB6_2624
; %bb.2592:
	s_cmp_gt_i32 s1, 28
	s_cbranch_scc0 .LBB6_2607
; %bb.2593:
	s_cmp_gt_i32 s1, 43
	;; [unrolled: 3-line block ×3, first 2 shown]
	s_cbranch_scc0 .LBB6_2597
; %bb.2595:
	s_mov_b32 s0, -1
	s_mov_b32 s6, 0
	s_cmp_eq_u32 s1, 46
	s_cbranch_scc0 .LBB6_2597
; %bb.2596:
	v_cvt_f32_f64_e32 v2, v[0:1]
	s_mov_b32 s0, 0
	s_mov_b32 s3, -1
	s_delay_alu instid0(VALU_DEP_1) | instskip(SKIP_1) | instid1(VALU_DEP_2)
	v_bfe_u32 v3, v2, 16, 1
	v_cmp_o_f32_e32 vcc_lo, v2, v2
	v_add3_u32 v3, v2, v3, 0x7fff
	s_delay_alu instid0(VALU_DEP_1) | instskip(NEXT) | instid1(VALU_DEP_1)
	v_lshrrev_b32_e32 v3, 16, v3
	v_cndmask_b32_e32 v2, 0x7fc0, v3, vcc_lo
	global_store_b32 v[18:19], v2, off
.LBB6_2597:
	s_and_b32 vcc_lo, exec_lo, s6
	s_cbranch_vccz .LBB6_2602
; %bb.2598:
	s_cmp_eq_u32 s1, 44
	s_mov_b32 s0, -1
	s_cbranch_scc0 .LBB6_2602
; %bb.2599:
	s_wait_xcnt 0x0
	v_cvt_f32_f64_e32 v2, v[0:1]
	v_mov_b32_e32 v3, 0xff
	s_mov_b32 s3, exec_lo
	s_delay_alu instid0(VALU_DEP_2) | instskip(NEXT) | instid1(VALU_DEP_1)
	v_bfe_u32 v17, v2, 23, 8
	v_cmpx_ne_u32_e32 0xff, v17
	s_cbranch_execz .LBB6_2601
; %bb.2600:
	v_and_b32_e32 v3, 0x400000, v2
	v_and_or_b32 v17, 0x3fffff, v2, v17
	v_lshrrev_b32_e32 v2, 23, v2
	s_delay_alu instid0(VALU_DEP_3) | instskip(NEXT) | instid1(VALU_DEP_3)
	v_cmp_ne_u32_e32 vcc_lo, 0, v3
	v_cmp_ne_u32_e64 s0, 0, v17
	s_and_b32 s0, vcc_lo, s0
	s_delay_alu instid0(SALU_CYCLE_1) | instskip(NEXT) | instid1(VALU_DEP_1)
	v_cndmask_b32_e64 v3, 0, 1, s0
	v_add_nc_u32_e32 v3, v2, v3
.LBB6_2601:
	s_or_b32 exec_lo, exec_lo, s3
	s_mov_b32 s0, 0
	s_mov_b32 s3, -1
	global_store_b8 v[18:19], v3, off
.LBB6_2602:
	s_mov_b32 s6, 0
.LBB6_2603:
	s_delay_alu instid0(SALU_CYCLE_1)
	s_and_b32 vcc_lo, exec_lo, s6
	s_cbranch_vccz .LBB6_2606
; %bb.2604:
	s_cmp_eq_u32 s1, 29
	s_mov_b32 s0, -1
	s_cbranch_scc0 .LBB6_2606
; %bb.2605:
	s_wait_xcnt 0x0
	v_trunc_f64_e32 v[2:3], v[0:1]
	s_mov_b32 s0, 0
	s_mov_b32 s3, -1
	s_delay_alu instid0(VALU_DEP_1) | instskip(NEXT) | instid1(VALU_DEP_1)
	v_ldexp_f64 v[20:21], v[2:3], 0xffffffe0
	v_floor_f64_e32 v[20:21], v[20:21]
	s_delay_alu instid0(VALU_DEP_1) | instskip(SKIP_1) | instid1(VALU_DEP_2)
	v_fmamk_f64 v[2:3], v[20:21], 0xc1f00000, v[2:3]
	v_cvt_u32_f64_e32 v21, v[20:21]
	v_cvt_u32_f64_e32 v20, v[2:3]
	global_store_b64 v[18:19], v[20:21], off
.LBB6_2606:
	s_mov_b32 s6, 0
.LBB6_2607:
	s_delay_alu instid0(SALU_CYCLE_1)
	s_and_b32 vcc_lo, exec_lo, s6
	s_cbranch_vccz .LBB6_2623
; %bb.2608:
	s_cmp_lt_i32 s1, 27
	s_mov_b32 s3, -1
	s_cbranch_scc1 .LBB6_2614
; %bb.2609:
	s_wait_xcnt 0x0
	v_cvt_u32_f64_e32 v2, v[0:1]
	s_cmp_gt_i32 s1, 27
	s_cbranch_scc0 .LBB6_2611
; %bb.2610:
	s_mov_b32 s3, 0
	global_store_b32 v[18:19], v2, off
.LBB6_2611:
	s_and_not1_b32 vcc_lo, exec_lo, s3
	s_cbranch_vccnz .LBB6_2613
; %bb.2612:
	global_store_b16 v[18:19], v2, off
.LBB6_2613:
	s_mov_b32 s3, 0
.LBB6_2614:
	s_delay_alu instid0(SALU_CYCLE_1)
	s_and_not1_b32 vcc_lo, exec_lo, s3
	s_cbranch_vccnz .LBB6_2622
; %bb.2615:
	s_wait_xcnt 0x0
	v_cvt_f32_f64_e32 v2, v[0:1]
	v_mov_b32_e32 v17, 0x80
	s_mov_b32 s3, exec_lo
	s_delay_alu instid0(VALU_DEP_2) | instskip(NEXT) | instid1(VALU_DEP_1)
	v_and_b32_e32 v3, 0x7fffffff, v2
	v_cmpx_gt_u32_e32 0x43800000, v3
	s_cbranch_execz .LBB6_2621
; %bb.2616:
	v_cmp_lt_u32_e32 vcc_lo, 0x3bffffff, v3
	s_mov_b32 s6, 0
                                        ; implicit-def: $vgpr3
	s_and_saveexec_b32 s7, vcc_lo
	s_delay_alu instid0(SALU_CYCLE_1)
	s_xor_b32 s7, exec_lo, s7
	s_cbranch_execz .LBB6_3070
; %bb.2617:
	v_bfe_u32 v3, v2, 20, 1
	s_mov_b32 s6, exec_lo
	s_delay_alu instid0(VALU_DEP_1) | instskip(NEXT) | instid1(VALU_DEP_1)
	v_add3_u32 v3, v2, v3, 0x487ffff
	v_lshrrev_b32_e32 v3, 20, v3
	s_and_not1_saveexec_b32 s7, s7
	s_cbranch_execnz .LBB6_3071
.LBB6_2618:
	s_or_b32 exec_lo, exec_lo, s7
	v_mov_b32_e32 v17, 0
	s_and_saveexec_b32 s7, s6
.LBB6_2619:
	v_lshrrev_b32_e32 v2, 24, v2
	s_delay_alu instid0(VALU_DEP_1)
	v_and_or_b32 v17, 0x80, v2, v3
.LBB6_2620:
	s_or_b32 exec_lo, exec_lo, s7
.LBB6_2621:
	s_delay_alu instid0(SALU_CYCLE_1)
	s_or_b32 exec_lo, exec_lo, s3
	global_store_b8 v[18:19], v17, off
.LBB6_2622:
	s_mov_b32 s3, -1
.LBB6_2623:
	s_mov_b32 s6, 0
.LBB6_2624:
	s_delay_alu instid0(SALU_CYCLE_1)
	s_and_b32 vcc_lo, exec_lo, s6
	s_cbranch_vccz .LBB6_2664
; %bb.2625:
	s_cmp_gt_i32 s1, 22
	s_mov_b32 s2, -1
	s_cbranch_scc0 .LBB6_2657
; %bb.2626:
	s_cmp_lt_i32 s1, 24
	s_cbranch_scc1 .LBB6_2646
; %bb.2627:
	s_cmp_gt_i32 s1, 24
	s_cbranch_scc0 .LBB6_2635
; %bb.2628:
	s_wait_xcnt 0x0
	v_cvt_f32_f64_e32 v2, v[0:1]
	v_mov_b32_e32 v17, 0x80
	s_mov_b32 s2, exec_lo
	s_delay_alu instid0(VALU_DEP_2) | instskip(NEXT) | instid1(VALU_DEP_1)
	v_and_b32_e32 v3, 0x7fffffff, v2
	v_cmpx_gt_u32_e32 0x47800000, v3
	s_cbranch_execz .LBB6_2634
; %bb.2629:
	v_cmp_lt_u32_e32 vcc_lo, 0x37ffffff, v3
	s_mov_b32 s3, 0
                                        ; implicit-def: $vgpr3
	s_and_saveexec_b32 s6, vcc_lo
	s_delay_alu instid0(SALU_CYCLE_1)
	s_xor_b32 s6, exec_lo, s6
	s_cbranch_execz .LBB6_3073
; %bb.2630:
	v_bfe_u32 v3, v2, 21, 1
	s_mov_b32 s3, exec_lo
	s_delay_alu instid0(VALU_DEP_1) | instskip(NEXT) | instid1(VALU_DEP_1)
	v_add3_u32 v3, v2, v3, 0x88fffff
	v_lshrrev_b32_e32 v3, 21, v3
	s_and_not1_saveexec_b32 s6, s6
	s_cbranch_execnz .LBB6_3074
.LBB6_2631:
	s_or_b32 exec_lo, exec_lo, s6
	v_mov_b32_e32 v17, 0
	s_and_saveexec_b32 s6, s3
.LBB6_2632:
	v_lshrrev_b32_e32 v2, 24, v2
	s_delay_alu instid0(VALU_DEP_1)
	v_and_or_b32 v17, 0x80, v2, v3
.LBB6_2633:
	s_or_b32 exec_lo, exec_lo, s6
.LBB6_2634:
	s_delay_alu instid0(SALU_CYCLE_1)
	s_or_b32 exec_lo, exec_lo, s2
	s_mov_b32 s2, 0
	global_store_b8 v[18:19], v17, off
.LBB6_2635:
	s_and_b32 vcc_lo, exec_lo, s2
	s_cbranch_vccz .LBB6_2645
; %bb.2636:
	s_wait_xcnt 0x0
	v_cvt_f32_f64_e32 v2, v[0:1]
	s_mov_b32 s2, exec_lo
                                        ; implicit-def: $vgpr3
	s_delay_alu instid0(VALU_DEP_1) | instskip(NEXT) | instid1(VALU_DEP_1)
	v_and_b32_e32 v17, 0x7fffffff, v2
	v_cmpx_gt_u32_e32 0x43f00000, v17
	s_xor_b32 s2, exec_lo, s2
	s_cbranch_execz .LBB6_2642
; %bb.2637:
	s_mov_b32 s3, exec_lo
                                        ; implicit-def: $vgpr3
	v_cmpx_lt_u32_e32 0x3c7fffff, v17
	s_xor_b32 s3, exec_lo, s3
; %bb.2638:
	v_bfe_u32 v3, v2, 20, 1
	s_delay_alu instid0(VALU_DEP_1) | instskip(NEXT) | instid1(VALU_DEP_1)
	v_add3_u32 v3, v2, v3, 0x407ffff
	v_and_b32_e32 v17, 0xff00000, v3
	v_lshrrev_b32_e32 v3, 20, v3
	s_delay_alu instid0(VALU_DEP_2) | instskip(NEXT) | instid1(VALU_DEP_2)
	v_cmp_ne_u32_e32 vcc_lo, 0x7f00000, v17
	v_cndmask_b32_e32 v3, 0x7e, v3, vcc_lo
; %bb.2639:
	s_and_not1_saveexec_b32 s3, s3
; %bb.2640:
	v_add_f32_e64 v3, 0x46800000, |v2|
; %bb.2641:
	s_or_b32 exec_lo, exec_lo, s3
                                        ; implicit-def: $vgpr17
.LBB6_2642:
	s_and_not1_saveexec_b32 s2, s2
; %bb.2643:
	v_mov_b32_e32 v3, 0x7f
	v_cmp_lt_u32_e32 vcc_lo, 0x7f800000, v17
	s_delay_alu instid0(VALU_DEP_2)
	v_cndmask_b32_e32 v3, 0x7e, v3, vcc_lo
; %bb.2644:
	s_or_b32 exec_lo, exec_lo, s2
	v_lshrrev_b32_e32 v2, 24, v2
	s_delay_alu instid0(VALU_DEP_1)
	v_and_or_b32 v2, 0x80, v2, v3
	global_store_b8 v[18:19], v2, off
.LBB6_2645:
	s_mov_b32 s2, 0
.LBB6_2646:
	s_delay_alu instid0(SALU_CYCLE_1)
	s_and_not1_b32 vcc_lo, exec_lo, s2
	s_cbranch_vccnz .LBB6_2656
; %bb.2647:
	s_wait_xcnt 0x0
	v_cvt_f32_f64_e32 v2, v[0:1]
	s_mov_b32 s2, exec_lo
                                        ; implicit-def: $vgpr3
	s_delay_alu instid0(VALU_DEP_1) | instskip(NEXT) | instid1(VALU_DEP_1)
	v_and_b32_e32 v17, 0x7fffffff, v2
	v_cmpx_gt_u32_e32 0x47800000, v17
	s_xor_b32 s2, exec_lo, s2
	s_cbranch_execz .LBB6_2653
; %bb.2648:
	s_mov_b32 s3, exec_lo
                                        ; implicit-def: $vgpr3
	v_cmpx_lt_u32_e32 0x387fffff, v17
	s_xor_b32 s3, exec_lo, s3
; %bb.2649:
	v_bfe_u32 v3, v2, 21, 1
	s_delay_alu instid0(VALU_DEP_1) | instskip(NEXT) | instid1(VALU_DEP_1)
	v_add3_u32 v3, v2, v3, 0x80fffff
	v_lshrrev_b32_e32 v3, 21, v3
; %bb.2650:
	s_and_not1_saveexec_b32 s3, s3
; %bb.2651:
	v_add_f32_e64 v3, 0x43000000, |v2|
; %bb.2652:
	s_or_b32 exec_lo, exec_lo, s3
                                        ; implicit-def: $vgpr17
.LBB6_2653:
	s_and_not1_saveexec_b32 s2, s2
; %bb.2654:
	v_mov_b32_e32 v3, 0x7f
	v_cmp_lt_u32_e32 vcc_lo, 0x7f800000, v17
	s_delay_alu instid0(VALU_DEP_2)
	v_cndmask_b32_e32 v3, 0x7c, v3, vcc_lo
; %bb.2655:
	s_or_b32 exec_lo, exec_lo, s2
	v_lshrrev_b32_e32 v2, 24, v2
	s_delay_alu instid0(VALU_DEP_1)
	v_and_or_b32 v2, 0x80, v2, v3
	global_store_b8 v[18:19], v2, off
.LBB6_2656:
	s_mov_b32 s2, 0
	s_mov_b32 s3, -1
.LBB6_2657:
	s_and_not1_b32 vcc_lo, exec_lo, s2
	s_mov_b32 s2, 0
	s_cbranch_vccnz .LBB6_2664
; %bb.2658:
	s_cmp_gt_i32 s1, 14
	s_mov_b32 s2, -1
	s_cbranch_scc0 .LBB6_2662
; %bb.2659:
	s_cmp_eq_u32 s1, 15
	s_mov_b32 s0, -1
	s_cbranch_scc0 .LBB6_2661
; %bb.2660:
	s_wait_xcnt 0x0
	v_cvt_f32_f64_e32 v2, v[0:1]
	s_mov_b32 s0, 0
	s_mov_b32 s3, -1
	s_delay_alu instid0(VALU_DEP_1) | instskip(SKIP_1) | instid1(VALU_DEP_2)
	v_bfe_u32 v3, v2, 16, 1
	v_cmp_o_f32_e32 vcc_lo, v2, v2
	v_add3_u32 v3, v2, v3, 0x7fff
	s_delay_alu instid0(VALU_DEP_1) | instskip(NEXT) | instid1(VALU_DEP_1)
	v_lshrrev_b32_e32 v3, 16, v3
	v_cndmask_b32_e32 v2, 0x7fc0, v3, vcc_lo
	global_store_b16 v[18:19], v2, off
.LBB6_2661:
	s_mov_b32 s2, 0
.LBB6_2662:
	s_delay_alu instid0(SALU_CYCLE_1)
	s_and_b32 vcc_lo, exec_lo, s2
	s_mov_b32 s2, 0
	s_cbranch_vccz .LBB6_2664
; %bb.2663:
	s_cmp_lg_u32 s1, 11
	s_mov_b32 s2, -1
	s_cselect_b32 s0, -1, 0
.LBB6_2664:
	s_delay_alu instid0(SALU_CYCLE_1)
	s_and_b32 vcc_lo, exec_lo, s0
	s_cbranch_vccnz .LBB6_3072
; %bb.2665:
	s_and_not1_b32 vcc_lo, exec_lo, s2
	s_cbranch_vccnz .LBB6_2667
.LBB6_2666:
	v_cmp_neq_f64_e32 vcc_lo, 0, v[0:1]
	s_mov_b32 s3, -1
	s_wait_xcnt 0x0
	v_cndmask_b32_e64 v2, 0, 1, vcc_lo
	global_store_b8 v[18:19], v2, off
.LBB6_2667:
	s_mov_b32 s0, 0
	s_branch .LBB6_2669
.LBB6_2668:
	s_mov_b32 s0, -1
	s_mov_b32 s3, 0
.LBB6_2669:
	s_and_b32 vcc_lo, exec_lo, s0
	s_cbranch_vccz .LBB6_2708
; %bb.2670:
	s_and_b32 s0, 0xffff, s16
	s_mov_b32 s1, -1
	s_cmp_lt_i32 s0, 5
	s_cbranch_scc1 .LBB6_2691
; %bb.2671:
	s_cmp_lt_i32 s0, 8
	s_cbranch_scc1 .LBB6_2681
; %bb.2672:
	;; [unrolled: 3-line block ×3, first 2 shown]
	s_cmp_gt_i32 s0, 9
	s_cbranch_scc0 .LBB6_2675
; %bb.2674:
	s_wait_xcnt 0x0
	v_mov_b32_e32 v2, 0
	s_mov_b32 s1, 0
	s_delay_alu instid0(VALU_DEP_1)
	v_mov_b32_e32 v3, v2
	global_store_b128 v[18:19], v[0:3], off
.LBB6_2675:
	s_and_not1_b32 vcc_lo, exec_lo, s1
	s_cbranch_vccnz .LBB6_2677
; %bb.2676:
	s_wait_xcnt 0x0
	v_cvt_f32_f64_e32 v2, v[0:1]
	v_mov_b32_e32 v3, 0
	global_store_b64 v[18:19], v[2:3], off
.LBB6_2677:
	s_mov_b32 s1, 0
.LBB6_2678:
	s_delay_alu instid0(SALU_CYCLE_1)
	s_and_not1_b32 vcc_lo, exec_lo, s1
	s_cbranch_vccnz .LBB6_2680
; %bb.2679:
	s_wait_xcnt 0x0
	v_and_or_b32 v2, 0x1ff, v1, v0
	v_lshrrev_b32_e32 v3, 8, v1
	v_bfe_u32 v17, v1, 20, 11
	s_delay_alu instid0(VALU_DEP_3) | instskip(NEXT) | instid1(VALU_DEP_2)
	v_cmp_ne_u32_e32 vcc_lo, 0, v2
	v_sub_nc_u32_e32 v20, 0x3f1, v17
	v_add_nc_u32_e32 v17, 0xfffffc10, v17
	v_cndmask_b32_e64 v2, 0, 1, vcc_lo
	s_delay_alu instid0(VALU_DEP_1) | instskip(NEXT) | instid1(VALU_DEP_4)
	v_and_or_b32 v2, 0xffe, v3, v2
	v_med3_i32 v3, v20, 0, 13
	s_delay_alu instid0(VALU_DEP_2) | instskip(NEXT) | instid1(VALU_DEP_1)
	v_or_b32_e32 v20, 0x1000, v2
	v_lshrrev_b32_e32 v21, v3, v20
	s_delay_alu instid0(VALU_DEP_1) | instskip(NEXT) | instid1(VALU_DEP_1)
	v_lshlrev_b32_e32 v3, v3, v21
	v_cmp_ne_u32_e32 vcc_lo, v3, v20
	v_lshl_or_b32 v20, v17, 12, v2
	v_cndmask_b32_e64 v3, 0, 1, vcc_lo
	v_cmp_gt_i32_e32 vcc_lo, 1, v17
	s_delay_alu instid0(VALU_DEP_2) | instskip(NEXT) | instid1(VALU_DEP_1)
	v_or_b32_e32 v3, v21, v3
	v_cndmask_b32_e32 v3, v20, v3, vcc_lo
	s_delay_alu instid0(VALU_DEP_1) | instskip(NEXT) | instid1(VALU_DEP_1)
	v_dual_lshrrev_b32 v3, 2, v3 :: v_dual_bitop2_b32 v20, 7, v3 bitop3:0x40
	v_cmp_lt_i32_e32 vcc_lo, 5, v20
	v_cndmask_b32_e64 v21, 0, 1, vcc_lo
	v_cmp_eq_u32_e32 vcc_lo, 3, v20
	v_cndmask_b32_e64 v20, 0, 1, vcc_lo
	v_cmp_ne_u32_e32 vcc_lo, 0, v2
	s_delay_alu instid0(VALU_DEP_2) | instskip(SKIP_1) | instid1(VALU_DEP_1)
	v_or_b32_e32 v20, v20, v21
	v_mov_b32_e32 v21, 0x7e00
	v_dual_cndmask_b32 v2, 0x7c00, v21 :: v_dual_add_nc_u32 v3, v3, v20
	v_cmp_gt_i32_e32 vcc_lo, 31, v17
	s_delay_alu instid0(VALU_DEP_2) | instskip(SKIP_1) | instid1(VALU_DEP_2)
	v_dual_cndmask_b32 v3, 0x7c00, v3 :: v_dual_lshrrev_b32 v20, 16, v1
	v_cmp_eq_u32_e32 vcc_lo, 0x40f, v17
	v_cndmask_b32_e32 v2, v3, v2, vcc_lo
	s_delay_alu instid0(VALU_DEP_3) | instskip(NEXT) | instid1(VALU_DEP_1)
	v_and_b32_e32 v3, 0x8000, v20
	v_bitop3_b32 v2, v3, 0xffff, v2 bitop3:0xc8
	global_store_b32 v[18:19], v2, off
.LBB6_2680:
	s_mov_b32 s1, 0
.LBB6_2681:
	s_delay_alu instid0(SALU_CYCLE_1)
	s_and_not1_b32 vcc_lo, exec_lo, s1
	s_cbranch_vccnz .LBB6_2690
; %bb.2682:
	s_cmp_lt_i32 s0, 6
	s_mov_b32 s1, -1
	s_cbranch_scc1 .LBB6_2688
; %bb.2683:
	s_cmp_gt_i32 s0, 6
	s_cbranch_scc0 .LBB6_2685
; %bb.2684:
	s_mov_b32 s1, 0
	global_store_b64 v[18:19], v[0:1], off
.LBB6_2685:
	s_and_not1_b32 vcc_lo, exec_lo, s1
	s_cbranch_vccnz .LBB6_2687
; %bb.2686:
	s_wait_xcnt 0x0
	v_cvt_f32_f64_e32 v2, v[0:1]
	global_store_b32 v[18:19], v2, off
.LBB6_2687:
	s_mov_b32 s1, 0
.LBB6_2688:
	s_delay_alu instid0(SALU_CYCLE_1)
	s_and_not1_b32 vcc_lo, exec_lo, s1
	s_cbranch_vccnz .LBB6_2690
; %bb.2689:
	s_wait_xcnt 0x0
	v_and_or_b32 v2, 0x1ff, v1, v0
	v_lshrrev_b32_e32 v3, 8, v1
	v_bfe_u32 v17, v1, 20, 11
	s_delay_alu instid0(VALU_DEP_3) | instskip(NEXT) | instid1(VALU_DEP_2)
	v_cmp_ne_u32_e32 vcc_lo, 0, v2
	v_sub_nc_u32_e32 v20, 0x3f1, v17
	v_add_nc_u32_e32 v17, 0xfffffc10, v17
	v_cndmask_b32_e64 v2, 0, 1, vcc_lo
	s_delay_alu instid0(VALU_DEP_1) | instskip(NEXT) | instid1(VALU_DEP_4)
	v_and_or_b32 v2, 0xffe, v3, v2
	v_med3_i32 v3, v20, 0, 13
	s_delay_alu instid0(VALU_DEP_2) | instskip(NEXT) | instid1(VALU_DEP_1)
	v_or_b32_e32 v20, 0x1000, v2
	v_lshrrev_b32_e32 v21, v3, v20
	s_delay_alu instid0(VALU_DEP_1) | instskip(NEXT) | instid1(VALU_DEP_1)
	v_lshlrev_b32_e32 v3, v3, v21
	v_cmp_ne_u32_e32 vcc_lo, v3, v20
	v_lshl_or_b32 v20, v17, 12, v2
	v_cndmask_b32_e64 v3, 0, 1, vcc_lo
	v_cmp_gt_i32_e32 vcc_lo, 1, v17
	s_delay_alu instid0(VALU_DEP_2) | instskip(NEXT) | instid1(VALU_DEP_1)
	v_or_b32_e32 v3, v21, v3
	v_cndmask_b32_e32 v3, v20, v3, vcc_lo
	s_delay_alu instid0(VALU_DEP_1) | instskip(NEXT) | instid1(VALU_DEP_1)
	v_dual_lshrrev_b32 v3, 2, v3 :: v_dual_bitop2_b32 v20, 7, v3 bitop3:0x40
	v_cmp_lt_i32_e32 vcc_lo, 5, v20
	v_cndmask_b32_e64 v21, 0, 1, vcc_lo
	v_cmp_eq_u32_e32 vcc_lo, 3, v20
	v_cndmask_b32_e64 v20, 0, 1, vcc_lo
	v_cmp_ne_u32_e32 vcc_lo, 0, v2
	s_delay_alu instid0(VALU_DEP_2) | instskip(SKIP_1) | instid1(VALU_DEP_1)
	v_or_b32_e32 v20, v20, v21
	v_mov_b32_e32 v21, 0x7e00
	v_dual_cndmask_b32 v2, 0x7c00, v21 :: v_dual_add_nc_u32 v3, v3, v20
	v_cmp_gt_i32_e32 vcc_lo, 31, v17
	s_delay_alu instid0(VALU_DEP_2) | instskip(SKIP_1) | instid1(VALU_DEP_2)
	v_cndmask_b32_e32 v3, 0x7c00, v3, vcc_lo
	v_cmp_eq_u32_e32 vcc_lo, 0x40f, v17
	v_dual_cndmask_b32 v2, v3, v2 :: v_dual_lshrrev_b32 v3, 16, v1
	s_delay_alu instid0(VALU_DEP_1)
	v_and_or_b32 v2, 0x8000, v3, v2
	global_store_b16 v[18:19], v2, off
.LBB6_2690:
	s_mov_b32 s1, 0
.LBB6_2691:
	s_delay_alu instid0(SALU_CYCLE_1)
	s_and_not1_b32 vcc_lo, exec_lo, s1
	s_cbranch_vccnz .LBB6_2707
; %bb.2692:
	s_cmp_lt_i32 s0, 2
	s_mov_b32 s1, -1
	s_cbranch_scc1 .LBB6_2702
; %bb.2693:
	s_cmp_lt_i32 s0, 3
	s_cbranch_scc1 .LBB6_2699
; %bb.2694:
	s_cmp_gt_i32 s0, 3
	s_cbranch_scc0 .LBB6_2696
; %bb.2695:
	s_wait_xcnt 0x0
	v_trunc_f64_e32 v[2:3], v[0:1]
	s_mov_b32 s1, 0
	s_delay_alu instid0(VALU_DEP_1) | instskip(NEXT) | instid1(VALU_DEP_1)
	v_ldexp_f64 v[20:21], v[2:3], 0xffffffe0
	v_floor_f64_e32 v[20:21], v[20:21]
	s_delay_alu instid0(VALU_DEP_1) | instskip(SKIP_1) | instid1(VALU_DEP_2)
	v_fmamk_f64 v[2:3], v[20:21], 0xc1f00000, v[2:3]
	v_cvt_i32_f64_e32 v21, v[20:21]
	v_cvt_u32_f64_e32 v20, v[2:3]
	global_store_b64 v[18:19], v[20:21], off
.LBB6_2696:
	s_and_not1_b32 vcc_lo, exec_lo, s1
	s_cbranch_vccnz .LBB6_2698
; %bb.2697:
	s_wait_xcnt 0x0
	v_cvt_i32_f64_e32 v2, v[0:1]
	global_store_b32 v[18:19], v2, off
.LBB6_2698:
	s_mov_b32 s1, 0
.LBB6_2699:
	s_delay_alu instid0(SALU_CYCLE_1)
	s_and_not1_b32 vcc_lo, exec_lo, s1
	s_cbranch_vccnz .LBB6_2701
; %bb.2700:
	s_wait_xcnt 0x0
	v_cvt_i32_f64_e32 v2, v[0:1]
	global_store_b16 v[18:19], v2, off
.LBB6_2701:
	s_mov_b32 s1, 0
.LBB6_2702:
	s_delay_alu instid0(SALU_CYCLE_1)
	s_and_not1_b32 vcc_lo, exec_lo, s1
	s_cbranch_vccnz .LBB6_2707
; %bb.2703:
	s_cmp_gt_i32 s0, 0
	s_mov_b32 s0, -1
	s_cbranch_scc0 .LBB6_2705
; %bb.2704:
	s_wait_xcnt 0x0
	v_cvt_i32_f64_e32 v2, v[0:1]
	s_mov_b32 s0, 0
	global_store_b8 v[18:19], v2, off
.LBB6_2705:
	s_and_not1_b32 vcc_lo, exec_lo, s0
	s_cbranch_vccnz .LBB6_2707
; %bb.2706:
	s_wait_xcnt 0x0
	v_trunc_f64_e32 v[0:1], v[0:1]
	s_delay_alu instid0(VALU_DEP_1) | instskip(NEXT) | instid1(VALU_DEP_1)
	v_ldexp_f64 v[2:3], v[0:1], 0xffffffe0
	v_floor_f64_e32 v[2:3], v[2:3]
	s_delay_alu instid0(VALU_DEP_1) | instskip(NEXT) | instid1(VALU_DEP_1)
	v_fmamk_f64 v[0:1], v[2:3], 0xc1f00000, v[0:1]
	v_cvt_u32_f64_e32 v0, v[0:1]
	global_store_b8 v[18:19], v0, off
.LBB6_2707:
	s_mov_b32 s3, -1
.LBB6_2708:
	s_delay_alu instid0(SALU_CYCLE_1)
	s_and_not1_b32 vcc_lo, exec_lo, s3
	s_cbranch_vccnz .LBB6_3023
; %bb.2709:
	s_wait_xcnt 0x0
	v_mul_f64_e32 v[0:1], v[4:5], v[8:9]
	v_cmp_lt_f64_e32 vcc_lo, 0, v[4:5]
	s_lshl_b32 s1, s8, 7
	s_cmp_lt_i32 s16, 11
	s_delay_alu instid0(VALU_DEP_2) | instskip(NEXT) | instid1(VALU_DEP_1)
	v_dual_cndmask_b32 v1, v1, v5 :: v_dual_add_nc_u32 v8, s1, v16
	v_ashrrev_i32_e32 v9, 31, v8
	s_delay_alu instid0(VALU_DEP_4) | instskip(NEXT) | instid1(VALU_DEP_2)
	v_cndmask_b32_e32 v0, v0, v4, vcc_lo
	v_add_nc_u64_e32 v[16:17], s[4:5], v[8:9]
	s_cbranch_scc1 .LBB6_2787
; %bb.2710:
	s_and_b32 s2, 0xffff, s16
	s_mov_b32 s7, -1
	s_mov_b32 s3, 0
	s_cmp_gt_i32 s2, 25
	s_mov_b32 s6, 0
	s_mov_b32 s0, 0
	s_cbranch_scc0 .LBB6_2743
; %bb.2711:
	s_cmp_gt_i32 s2, 28
	s_cbranch_scc0 .LBB6_2726
; %bb.2712:
	s_cmp_gt_i32 s2, 43
	;; [unrolled: 3-line block ×3, first 2 shown]
	s_cbranch_scc0 .LBB6_2716
; %bb.2714:
	s_mov_b32 s0, -1
	s_mov_b32 s7, 0
	s_cmp_eq_u32 s2, 46
	s_cbranch_scc0 .LBB6_2716
; %bb.2715:
	v_cvt_f32_f64_e32 v2, v[0:1]
	s_mov_b32 s0, 0
	s_mov_b32 s6, -1
	s_delay_alu instid0(VALU_DEP_1) | instskip(SKIP_1) | instid1(VALU_DEP_2)
	v_bfe_u32 v3, v2, 16, 1
	v_cmp_o_f32_e32 vcc_lo, v2, v2
	v_add3_u32 v3, v2, v3, 0x7fff
	s_delay_alu instid0(VALU_DEP_1) | instskip(NEXT) | instid1(VALU_DEP_1)
	v_lshrrev_b32_e32 v3, 16, v3
	v_cndmask_b32_e32 v2, 0x7fc0, v3, vcc_lo
	global_store_b32 v[16:17], v2, off
.LBB6_2716:
	s_and_b32 vcc_lo, exec_lo, s7
	s_cbranch_vccz .LBB6_2721
; %bb.2717:
	s_cmp_eq_u32 s2, 44
	s_mov_b32 s0, -1
	s_cbranch_scc0 .LBB6_2721
; %bb.2718:
	s_wait_xcnt 0x0
	v_cvt_f32_f64_e32 v2, v[0:1]
	v_mov_b32_e32 v3, 0xff
	s_mov_b32 s6, exec_lo
	s_delay_alu instid0(VALU_DEP_2) | instskip(NEXT) | instid1(VALU_DEP_1)
	v_bfe_u32 v4, v2, 23, 8
	v_cmpx_ne_u32_e32 0xff, v4
	s_cbranch_execz .LBB6_2720
; %bb.2719:
	v_and_b32_e32 v3, 0x400000, v2
	v_and_or_b32 v4, 0x3fffff, v2, v4
	v_lshrrev_b32_e32 v2, 23, v2
	s_delay_alu instid0(VALU_DEP_3) | instskip(NEXT) | instid1(VALU_DEP_3)
	v_cmp_ne_u32_e32 vcc_lo, 0, v3
	v_cmp_ne_u32_e64 s0, 0, v4
	s_and_b32 s0, vcc_lo, s0
	s_delay_alu instid0(SALU_CYCLE_1) | instskip(NEXT) | instid1(VALU_DEP_1)
	v_cndmask_b32_e64 v3, 0, 1, s0
	v_add_nc_u32_e32 v3, v2, v3
.LBB6_2720:
	s_or_b32 exec_lo, exec_lo, s6
	s_mov_b32 s0, 0
	s_mov_b32 s6, -1
	global_store_b8 v[16:17], v3, off
.LBB6_2721:
	s_mov_b32 s7, 0
.LBB6_2722:
	s_delay_alu instid0(SALU_CYCLE_1)
	s_and_b32 vcc_lo, exec_lo, s7
	s_cbranch_vccz .LBB6_2725
; %bb.2723:
	s_cmp_eq_u32 s2, 29
	s_mov_b32 s0, -1
	s_cbranch_scc0 .LBB6_2725
; %bb.2724:
	s_wait_xcnt 0x0
	v_trunc_f64_e32 v[2:3], v[0:1]
	s_mov_b32 s0, 0
	s_mov_b32 s6, -1
	s_delay_alu instid0(VALU_DEP_1) | instskip(NEXT) | instid1(VALU_DEP_1)
	v_ldexp_f64 v[4:5], v[2:3], 0xffffffe0
	v_floor_f64_e32 v[4:5], v[4:5]
	s_delay_alu instid0(VALU_DEP_1) | instskip(SKIP_1) | instid1(VALU_DEP_2)
	v_fmamk_f64 v[2:3], v[4:5], 0xc1f00000, v[2:3]
	v_cvt_u32_f64_e32 v5, v[4:5]
	v_cvt_u32_f64_e32 v4, v[2:3]
	global_store_b64 v[16:17], v[4:5], off
.LBB6_2725:
	s_mov_b32 s7, 0
.LBB6_2726:
	s_delay_alu instid0(SALU_CYCLE_1)
	s_and_b32 vcc_lo, exec_lo, s7
	s_cbranch_vccz .LBB6_2742
; %bb.2727:
	s_cmp_lt_i32 s2, 27
	s_mov_b32 s6, -1
	s_cbranch_scc1 .LBB6_2733
; %bb.2728:
	s_wait_xcnt 0x0
	v_cvt_u32_f64_e32 v2, v[0:1]
	s_cmp_gt_i32 s2, 27
	s_cbranch_scc0 .LBB6_2730
; %bb.2729:
	s_mov_b32 s6, 0
	global_store_b32 v[16:17], v2, off
.LBB6_2730:
	s_and_not1_b32 vcc_lo, exec_lo, s6
	s_cbranch_vccnz .LBB6_2732
; %bb.2731:
	global_store_b16 v[16:17], v2, off
.LBB6_2732:
	s_mov_b32 s6, 0
.LBB6_2733:
	s_delay_alu instid0(SALU_CYCLE_1)
	s_and_not1_b32 vcc_lo, exec_lo, s6
	s_cbranch_vccnz .LBB6_2741
; %bb.2734:
	s_wait_xcnt 0x0
	v_cvt_f32_f64_e32 v2, v[0:1]
	v_mov_b32_e32 v4, 0x80
	s_mov_b32 s6, exec_lo
	s_delay_alu instid0(VALU_DEP_2) | instskip(NEXT) | instid1(VALU_DEP_1)
	v_and_b32_e32 v3, 0x7fffffff, v2
	v_cmpx_gt_u32_e32 0x43800000, v3
	s_cbranch_execz .LBB6_2740
; %bb.2735:
	v_cmp_lt_u32_e32 vcc_lo, 0x3bffffff, v3
	s_mov_b32 s7, 0
                                        ; implicit-def: $vgpr3
	s_and_saveexec_b32 s8, vcc_lo
	s_delay_alu instid0(SALU_CYCLE_1)
	s_xor_b32 s8, exec_lo, s8
	s_cbranch_execz .LBB6_3075
; %bb.2736:
	v_bfe_u32 v3, v2, 20, 1
	s_mov_b32 s7, exec_lo
	s_delay_alu instid0(VALU_DEP_1) | instskip(NEXT) | instid1(VALU_DEP_1)
	v_add3_u32 v3, v2, v3, 0x487ffff
	v_lshrrev_b32_e32 v3, 20, v3
	s_and_not1_saveexec_b32 s8, s8
	s_cbranch_execnz .LBB6_3076
.LBB6_2737:
	s_or_b32 exec_lo, exec_lo, s8
	v_mov_b32_e32 v4, 0
	s_and_saveexec_b32 s8, s7
.LBB6_2738:
	v_lshrrev_b32_e32 v2, 24, v2
	s_delay_alu instid0(VALU_DEP_1)
	v_and_or_b32 v4, 0x80, v2, v3
.LBB6_2739:
	s_or_b32 exec_lo, exec_lo, s8
.LBB6_2740:
	s_delay_alu instid0(SALU_CYCLE_1)
	s_or_b32 exec_lo, exec_lo, s6
	global_store_b8 v[16:17], v4, off
.LBB6_2741:
	s_mov_b32 s6, -1
.LBB6_2742:
	s_mov_b32 s7, 0
.LBB6_2743:
	s_delay_alu instid0(SALU_CYCLE_1)
	s_and_b32 vcc_lo, exec_lo, s7
	s_cbranch_vccz .LBB6_2783
; %bb.2744:
	s_cmp_gt_i32 s2, 22
	s_mov_b32 s3, -1
	s_cbranch_scc0 .LBB6_2776
; %bb.2745:
	s_cmp_lt_i32 s2, 24
	s_cbranch_scc1 .LBB6_2765
; %bb.2746:
	s_cmp_gt_i32 s2, 24
	s_cbranch_scc0 .LBB6_2754
; %bb.2747:
	s_wait_xcnt 0x0
	v_cvt_f32_f64_e32 v2, v[0:1]
	v_mov_b32_e32 v4, 0x80
	s_mov_b32 s3, exec_lo
	s_delay_alu instid0(VALU_DEP_2) | instskip(NEXT) | instid1(VALU_DEP_1)
	v_and_b32_e32 v3, 0x7fffffff, v2
	v_cmpx_gt_u32_e32 0x47800000, v3
	s_cbranch_execz .LBB6_2753
; %bb.2748:
	v_cmp_lt_u32_e32 vcc_lo, 0x37ffffff, v3
	s_mov_b32 s6, 0
                                        ; implicit-def: $vgpr3
	s_and_saveexec_b32 s7, vcc_lo
	s_delay_alu instid0(SALU_CYCLE_1)
	s_xor_b32 s7, exec_lo, s7
	s_cbranch_execz .LBB6_3078
; %bb.2749:
	v_bfe_u32 v3, v2, 21, 1
	s_mov_b32 s6, exec_lo
	s_delay_alu instid0(VALU_DEP_1) | instskip(NEXT) | instid1(VALU_DEP_1)
	v_add3_u32 v3, v2, v3, 0x88fffff
	v_lshrrev_b32_e32 v3, 21, v3
	s_and_not1_saveexec_b32 s7, s7
	s_cbranch_execnz .LBB6_3079
.LBB6_2750:
	s_or_b32 exec_lo, exec_lo, s7
	v_mov_b32_e32 v4, 0
	s_and_saveexec_b32 s7, s6
.LBB6_2751:
	v_lshrrev_b32_e32 v2, 24, v2
	s_delay_alu instid0(VALU_DEP_1)
	v_and_or_b32 v4, 0x80, v2, v3
.LBB6_2752:
	s_or_b32 exec_lo, exec_lo, s7
.LBB6_2753:
	s_delay_alu instid0(SALU_CYCLE_1)
	s_or_b32 exec_lo, exec_lo, s3
	s_mov_b32 s3, 0
	global_store_b8 v[16:17], v4, off
.LBB6_2754:
	s_and_b32 vcc_lo, exec_lo, s3
	s_cbranch_vccz .LBB6_2764
; %bb.2755:
	s_wait_xcnt 0x0
	v_cvt_f32_f64_e32 v2, v[0:1]
	s_mov_b32 s3, exec_lo
                                        ; implicit-def: $vgpr3
	s_delay_alu instid0(VALU_DEP_1) | instskip(NEXT) | instid1(VALU_DEP_1)
	v_and_b32_e32 v4, 0x7fffffff, v2
	v_cmpx_gt_u32_e32 0x43f00000, v4
	s_xor_b32 s3, exec_lo, s3
	s_cbranch_execz .LBB6_2761
; %bb.2756:
	s_mov_b32 s6, exec_lo
                                        ; implicit-def: $vgpr3
	v_cmpx_lt_u32_e32 0x3c7fffff, v4
	s_xor_b32 s6, exec_lo, s6
; %bb.2757:
	v_bfe_u32 v3, v2, 20, 1
	s_delay_alu instid0(VALU_DEP_1) | instskip(NEXT) | instid1(VALU_DEP_1)
	v_add3_u32 v3, v2, v3, 0x407ffff
	v_and_b32_e32 v4, 0xff00000, v3
	v_lshrrev_b32_e32 v3, 20, v3
	s_delay_alu instid0(VALU_DEP_2) | instskip(NEXT) | instid1(VALU_DEP_2)
	v_cmp_ne_u32_e32 vcc_lo, 0x7f00000, v4
	v_cndmask_b32_e32 v3, 0x7e, v3, vcc_lo
; %bb.2758:
	s_and_not1_saveexec_b32 s6, s6
; %bb.2759:
	v_add_f32_e64 v3, 0x46800000, |v2|
; %bb.2760:
	s_or_b32 exec_lo, exec_lo, s6
                                        ; implicit-def: $vgpr4
.LBB6_2761:
	s_and_not1_saveexec_b32 s3, s3
; %bb.2762:
	v_mov_b32_e32 v3, 0x7f
	v_cmp_lt_u32_e32 vcc_lo, 0x7f800000, v4
	s_delay_alu instid0(VALU_DEP_2)
	v_cndmask_b32_e32 v3, 0x7e, v3, vcc_lo
; %bb.2763:
	s_or_b32 exec_lo, exec_lo, s3
	v_lshrrev_b32_e32 v2, 24, v2
	s_delay_alu instid0(VALU_DEP_1)
	v_and_or_b32 v2, 0x80, v2, v3
	global_store_b8 v[16:17], v2, off
.LBB6_2764:
	s_mov_b32 s3, 0
.LBB6_2765:
	s_delay_alu instid0(SALU_CYCLE_1)
	s_and_not1_b32 vcc_lo, exec_lo, s3
	s_cbranch_vccnz .LBB6_2775
; %bb.2766:
	s_wait_xcnt 0x0
	v_cvt_f32_f64_e32 v2, v[0:1]
	s_mov_b32 s3, exec_lo
                                        ; implicit-def: $vgpr3
	s_delay_alu instid0(VALU_DEP_1) | instskip(NEXT) | instid1(VALU_DEP_1)
	v_and_b32_e32 v4, 0x7fffffff, v2
	v_cmpx_gt_u32_e32 0x47800000, v4
	s_xor_b32 s3, exec_lo, s3
	s_cbranch_execz .LBB6_2772
; %bb.2767:
	s_mov_b32 s6, exec_lo
                                        ; implicit-def: $vgpr3
	v_cmpx_lt_u32_e32 0x387fffff, v4
	s_xor_b32 s6, exec_lo, s6
; %bb.2768:
	v_bfe_u32 v3, v2, 21, 1
	s_delay_alu instid0(VALU_DEP_1) | instskip(NEXT) | instid1(VALU_DEP_1)
	v_add3_u32 v3, v2, v3, 0x80fffff
	v_lshrrev_b32_e32 v3, 21, v3
; %bb.2769:
	s_and_not1_saveexec_b32 s6, s6
; %bb.2770:
	v_add_f32_e64 v3, 0x43000000, |v2|
; %bb.2771:
	s_or_b32 exec_lo, exec_lo, s6
                                        ; implicit-def: $vgpr4
.LBB6_2772:
	s_and_not1_saveexec_b32 s3, s3
; %bb.2773:
	v_mov_b32_e32 v3, 0x7f
	v_cmp_lt_u32_e32 vcc_lo, 0x7f800000, v4
	s_delay_alu instid0(VALU_DEP_2)
	v_cndmask_b32_e32 v3, 0x7c, v3, vcc_lo
; %bb.2774:
	s_or_b32 exec_lo, exec_lo, s3
	v_lshrrev_b32_e32 v2, 24, v2
	s_delay_alu instid0(VALU_DEP_1)
	v_and_or_b32 v2, 0x80, v2, v3
	global_store_b8 v[16:17], v2, off
.LBB6_2775:
	s_mov_b32 s3, 0
	s_mov_b32 s6, -1
.LBB6_2776:
	s_and_not1_b32 vcc_lo, exec_lo, s3
	s_mov_b32 s3, 0
	s_cbranch_vccnz .LBB6_2783
; %bb.2777:
	s_cmp_gt_i32 s2, 14
	s_mov_b32 s3, -1
	s_cbranch_scc0 .LBB6_2781
; %bb.2778:
	s_cmp_eq_u32 s2, 15
	s_mov_b32 s0, -1
	s_cbranch_scc0 .LBB6_2780
; %bb.2779:
	s_wait_xcnt 0x0
	v_cvt_f32_f64_e32 v2, v[0:1]
	s_mov_b32 s0, 0
	s_mov_b32 s6, -1
	s_delay_alu instid0(VALU_DEP_1) | instskip(SKIP_1) | instid1(VALU_DEP_2)
	v_bfe_u32 v3, v2, 16, 1
	v_cmp_o_f32_e32 vcc_lo, v2, v2
	v_add3_u32 v3, v2, v3, 0x7fff
	s_delay_alu instid0(VALU_DEP_1) | instskip(NEXT) | instid1(VALU_DEP_1)
	v_lshrrev_b32_e32 v3, 16, v3
	v_cndmask_b32_e32 v2, 0x7fc0, v3, vcc_lo
	global_store_b16 v[16:17], v2, off
.LBB6_2780:
	s_mov_b32 s3, 0
.LBB6_2781:
	s_delay_alu instid0(SALU_CYCLE_1)
	s_and_b32 vcc_lo, exec_lo, s3
	s_mov_b32 s3, 0
	s_cbranch_vccz .LBB6_2783
; %bb.2782:
	s_cmp_lg_u32 s2, 11
	s_mov_b32 s3, -1
	s_cselect_b32 s0, -1, 0
.LBB6_2783:
	s_delay_alu instid0(SALU_CYCLE_1)
	s_and_b32 vcc_lo, exec_lo, s0
	s_cbranch_vccnz .LBB6_3077
; %bb.2784:
	s_and_not1_b32 vcc_lo, exec_lo, s3
	s_cbranch_vccnz .LBB6_2786
.LBB6_2785:
	v_cmp_neq_f64_e32 vcc_lo, 0, v[0:1]
	s_mov_b32 s6, -1
	s_wait_xcnt 0x0
	v_cndmask_b32_e64 v2, 0, 1, vcc_lo
	global_store_b8 v[16:17], v2, off
.LBB6_2786:
	s_mov_b32 s0, 0
	s_branch .LBB6_2788
.LBB6_2787:
	s_mov_b32 s0, -1
	s_mov_b32 s6, 0
.LBB6_2788:
	s_and_b32 vcc_lo, exec_lo, s0
	s_cbranch_vccz .LBB6_2827
; %bb.2789:
	s_and_b32 s0, 0xffff, s16
	s_mov_b32 s2, -1
	s_cmp_lt_i32 s0, 5
	s_cbranch_scc1 .LBB6_2810
; %bb.2790:
	s_cmp_lt_i32 s0, 8
	s_cbranch_scc1 .LBB6_2800
; %bb.2791:
	;; [unrolled: 3-line block ×3, first 2 shown]
	s_cmp_gt_i32 s0, 9
	s_cbranch_scc0 .LBB6_2794
; %bb.2793:
	s_wait_xcnt 0x0
	v_mov_b32_e32 v2, 0
	s_mov_b32 s2, 0
	s_delay_alu instid0(VALU_DEP_1)
	v_mov_b32_e32 v3, v2
	global_store_b128 v[16:17], v[0:3], off
.LBB6_2794:
	s_and_not1_b32 vcc_lo, exec_lo, s2
	s_cbranch_vccnz .LBB6_2796
; %bb.2795:
	s_wait_xcnt 0x0
	v_cvt_f32_f64_e32 v2, v[0:1]
	v_mov_b32_e32 v3, 0
	global_store_b64 v[16:17], v[2:3], off
.LBB6_2796:
	s_mov_b32 s2, 0
.LBB6_2797:
	s_delay_alu instid0(SALU_CYCLE_1)
	s_and_not1_b32 vcc_lo, exec_lo, s2
	s_cbranch_vccnz .LBB6_2799
; %bb.2798:
	s_wait_xcnt 0x0
	v_and_or_b32 v2, 0x1ff, v1, v0
	v_lshrrev_b32_e32 v3, 8, v1
	v_bfe_u32 v4, v1, 20, 11
	s_delay_alu instid0(VALU_DEP_3) | instskip(NEXT) | instid1(VALU_DEP_2)
	v_cmp_ne_u32_e32 vcc_lo, 0, v2
	v_sub_nc_u32_e32 v5, 0x3f1, v4
	v_add_nc_u32_e32 v4, 0xfffffc10, v4
	v_cndmask_b32_e64 v2, 0, 1, vcc_lo
	s_delay_alu instid0(VALU_DEP_1) | instskip(NEXT) | instid1(VALU_DEP_4)
	v_and_or_b32 v2, 0xffe, v3, v2
	v_med3_i32 v3, v5, 0, 13
	s_delay_alu instid0(VALU_DEP_2) | instskip(NEXT) | instid1(VALU_DEP_1)
	v_or_b32_e32 v5, 0x1000, v2
	v_lshrrev_b32_e32 v9, v3, v5
	s_delay_alu instid0(VALU_DEP_1) | instskip(NEXT) | instid1(VALU_DEP_1)
	v_lshlrev_b32_e32 v3, v3, v9
	v_cmp_ne_u32_e32 vcc_lo, v3, v5
	v_lshl_or_b32 v5, v4, 12, v2
	v_cndmask_b32_e64 v3, 0, 1, vcc_lo
	v_cmp_gt_i32_e32 vcc_lo, 1, v4
	s_delay_alu instid0(VALU_DEP_2) | instskip(NEXT) | instid1(VALU_DEP_1)
	v_or_b32_e32 v3, v9, v3
	v_cndmask_b32_e32 v3, v5, v3, vcc_lo
	s_delay_alu instid0(VALU_DEP_1) | instskip(NEXT) | instid1(VALU_DEP_1)
	v_dual_lshrrev_b32 v3, 2, v3 :: v_dual_bitop2_b32 v5, 7, v3 bitop3:0x40
	v_cmp_lt_i32_e32 vcc_lo, 5, v5
	v_cndmask_b32_e64 v9, 0, 1, vcc_lo
	v_cmp_eq_u32_e32 vcc_lo, 3, v5
	v_cndmask_b32_e64 v5, 0, 1, vcc_lo
	v_cmp_ne_u32_e32 vcc_lo, 0, v2
	s_delay_alu instid0(VALU_DEP_2) | instskip(SKIP_1) | instid1(VALU_DEP_2)
	v_or_b32_e32 v5, v5, v9
	v_mov_b32_e32 v9, 0x7e00
	v_add_nc_u32_e32 v3, v3, v5
	s_delay_alu instid0(VALU_DEP_2) | instskip(SKIP_2) | instid1(VALU_DEP_4)
	v_cndmask_b32_e32 v2, 0x7c00, v9, vcc_lo
	v_cmp_gt_i32_e32 vcc_lo, 31, v4
	v_lshrrev_b32_e32 v5, 16, v1
	v_cndmask_b32_e32 v3, 0x7c00, v3, vcc_lo
	v_cmp_eq_u32_e32 vcc_lo, 0x40f, v4
	s_delay_alu instid0(VALU_DEP_2) | instskip(NEXT) | instid1(VALU_DEP_4)
	v_cndmask_b32_e32 v2, v3, v2, vcc_lo
	v_and_b32_e32 v3, 0x8000, v5
	s_delay_alu instid0(VALU_DEP_1)
	v_bitop3_b32 v2, v3, 0xffff, v2 bitop3:0xc8
	global_store_b32 v[16:17], v2, off
.LBB6_2799:
	s_mov_b32 s2, 0
.LBB6_2800:
	s_delay_alu instid0(SALU_CYCLE_1)
	s_and_not1_b32 vcc_lo, exec_lo, s2
	s_cbranch_vccnz .LBB6_2809
; %bb.2801:
	s_cmp_lt_i32 s0, 6
	s_mov_b32 s2, -1
	s_cbranch_scc1 .LBB6_2807
; %bb.2802:
	s_cmp_gt_i32 s0, 6
	s_cbranch_scc0 .LBB6_2804
; %bb.2803:
	s_mov_b32 s2, 0
	global_store_b64 v[16:17], v[0:1], off
.LBB6_2804:
	s_and_not1_b32 vcc_lo, exec_lo, s2
	s_cbranch_vccnz .LBB6_2806
; %bb.2805:
	s_wait_xcnt 0x0
	v_cvt_f32_f64_e32 v2, v[0:1]
	global_store_b32 v[16:17], v2, off
.LBB6_2806:
	s_mov_b32 s2, 0
.LBB6_2807:
	s_delay_alu instid0(SALU_CYCLE_1)
	s_and_not1_b32 vcc_lo, exec_lo, s2
	s_cbranch_vccnz .LBB6_2809
; %bb.2808:
	s_wait_xcnt 0x0
	v_and_or_b32 v2, 0x1ff, v1, v0
	v_lshrrev_b32_e32 v3, 8, v1
	v_bfe_u32 v4, v1, 20, 11
	s_delay_alu instid0(VALU_DEP_3) | instskip(NEXT) | instid1(VALU_DEP_2)
	v_cmp_ne_u32_e32 vcc_lo, 0, v2
	v_sub_nc_u32_e32 v5, 0x3f1, v4
	v_add_nc_u32_e32 v4, 0xfffffc10, v4
	v_cndmask_b32_e64 v2, 0, 1, vcc_lo
	s_delay_alu instid0(VALU_DEP_1) | instskip(NEXT) | instid1(VALU_DEP_4)
	v_and_or_b32 v2, 0xffe, v3, v2
	v_med3_i32 v3, v5, 0, 13
	s_delay_alu instid0(VALU_DEP_2) | instskip(NEXT) | instid1(VALU_DEP_1)
	v_or_b32_e32 v5, 0x1000, v2
	v_lshrrev_b32_e32 v9, v3, v5
	s_delay_alu instid0(VALU_DEP_1) | instskip(NEXT) | instid1(VALU_DEP_1)
	v_lshlrev_b32_e32 v3, v3, v9
	v_cmp_ne_u32_e32 vcc_lo, v3, v5
	v_lshl_or_b32 v5, v4, 12, v2
	v_cndmask_b32_e64 v3, 0, 1, vcc_lo
	v_cmp_gt_i32_e32 vcc_lo, 1, v4
	s_delay_alu instid0(VALU_DEP_2) | instskip(NEXT) | instid1(VALU_DEP_1)
	v_or_b32_e32 v3, v9, v3
	v_cndmask_b32_e32 v3, v5, v3, vcc_lo
	s_delay_alu instid0(VALU_DEP_1) | instskip(NEXT) | instid1(VALU_DEP_1)
	v_dual_lshrrev_b32 v3, 2, v3 :: v_dual_bitop2_b32 v5, 7, v3 bitop3:0x40
	v_cmp_lt_i32_e32 vcc_lo, 5, v5
	v_cndmask_b32_e64 v9, 0, 1, vcc_lo
	v_cmp_eq_u32_e32 vcc_lo, 3, v5
	v_cndmask_b32_e64 v5, 0, 1, vcc_lo
	v_cmp_ne_u32_e32 vcc_lo, 0, v2
	s_delay_alu instid0(VALU_DEP_2) | instskip(SKIP_1) | instid1(VALU_DEP_2)
	v_or_b32_e32 v5, v5, v9
	v_mov_b32_e32 v9, 0x7e00
	v_add_nc_u32_e32 v3, v3, v5
	s_delay_alu instid0(VALU_DEP_2) | instskip(SKIP_1) | instid1(VALU_DEP_3)
	v_cndmask_b32_e32 v2, 0x7c00, v9, vcc_lo
	v_cmp_gt_i32_e32 vcc_lo, 31, v4
	v_cndmask_b32_e32 v3, 0x7c00, v3, vcc_lo
	v_cmp_eq_u32_e32 vcc_lo, 0x40f, v4
	s_delay_alu instid0(VALU_DEP_2) | instskip(NEXT) | instid1(VALU_DEP_1)
	v_dual_cndmask_b32 v2, v3, v2 :: v_dual_lshrrev_b32 v3, 16, v1
	v_and_or_b32 v2, 0x8000, v3, v2
	global_store_b16 v[16:17], v2, off
.LBB6_2809:
	s_mov_b32 s2, 0
.LBB6_2810:
	s_delay_alu instid0(SALU_CYCLE_1)
	s_and_not1_b32 vcc_lo, exec_lo, s2
	s_cbranch_vccnz .LBB6_2826
; %bb.2811:
	s_cmp_lt_i32 s0, 2
	s_mov_b32 s2, -1
	s_cbranch_scc1 .LBB6_2821
; %bb.2812:
	s_cmp_lt_i32 s0, 3
	s_cbranch_scc1 .LBB6_2818
; %bb.2813:
	s_cmp_gt_i32 s0, 3
	s_cbranch_scc0 .LBB6_2815
; %bb.2814:
	s_wait_xcnt 0x0
	v_trunc_f64_e32 v[2:3], v[0:1]
	s_mov_b32 s2, 0
	s_delay_alu instid0(VALU_DEP_1) | instskip(NEXT) | instid1(VALU_DEP_1)
	v_ldexp_f64 v[4:5], v[2:3], 0xffffffe0
	v_floor_f64_e32 v[4:5], v[4:5]
	s_delay_alu instid0(VALU_DEP_1) | instskip(SKIP_1) | instid1(VALU_DEP_2)
	v_fmamk_f64 v[2:3], v[4:5], 0xc1f00000, v[2:3]
	v_cvt_i32_f64_e32 v5, v[4:5]
	v_cvt_u32_f64_e32 v4, v[2:3]
	global_store_b64 v[16:17], v[4:5], off
.LBB6_2815:
	s_and_not1_b32 vcc_lo, exec_lo, s2
	s_cbranch_vccnz .LBB6_2817
; %bb.2816:
	s_wait_xcnt 0x0
	v_cvt_i32_f64_e32 v2, v[0:1]
	global_store_b32 v[16:17], v2, off
.LBB6_2817:
	s_mov_b32 s2, 0
.LBB6_2818:
	s_delay_alu instid0(SALU_CYCLE_1)
	s_and_not1_b32 vcc_lo, exec_lo, s2
	s_cbranch_vccnz .LBB6_2820
; %bb.2819:
	s_wait_xcnt 0x0
	v_cvt_i32_f64_e32 v2, v[0:1]
	global_store_b16 v[16:17], v2, off
.LBB6_2820:
	s_mov_b32 s2, 0
.LBB6_2821:
	s_delay_alu instid0(SALU_CYCLE_1)
	s_and_not1_b32 vcc_lo, exec_lo, s2
	s_cbranch_vccnz .LBB6_2826
; %bb.2822:
	s_cmp_gt_i32 s0, 0
	s_mov_b32 s0, -1
	s_cbranch_scc0 .LBB6_2824
; %bb.2823:
	s_wait_xcnt 0x0
	v_cvt_i32_f64_e32 v2, v[0:1]
	s_mov_b32 s0, 0
	global_store_b8 v[16:17], v2, off
.LBB6_2824:
	s_and_not1_b32 vcc_lo, exec_lo, s0
	s_cbranch_vccnz .LBB6_2826
; %bb.2825:
	s_wait_xcnt 0x0
	v_trunc_f64_e32 v[0:1], v[0:1]
	s_delay_alu instid0(VALU_DEP_1) | instskip(NEXT) | instid1(VALU_DEP_1)
	v_ldexp_f64 v[2:3], v[0:1], 0xffffffe0
	v_floor_f64_e32 v[2:3], v[2:3]
	s_delay_alu instid0(VALU_DEP_1) | instskip(NEXT) | instid1(VALU_DEP_1)
	v_fmamk_f64 v[0:1], v[2:3], 0xc1f00000, v[0:1]
	v_cvt_u32_f64_e32 v0, v[0:1]
	global_store_b8 v[16:17], v0, off
.LBB6_2826:
	s_mov_b32 s6, -1
.LBB6_2827:
	s_delay_alu instid0(SALU_CYCLE_1)
	s_and_not1_b32 vcc_lo, exec_lo, s6
	s_cbranch_vccnz .LBB6_3023
; %bb.2828:
	s_wait_xcnt 0x0
	v_mul_f64_e32 v[0:1], v[6:7], v[12:13]
	v_cmp_lt_f64_e32 vcc_lo, 0, v[6:7]
	v_add_nc_u32_e32 v4, s1, v8
	s_cmp_lt_i32 s16, 11
	s_delay_alu instid0(VALU_DEP_1) | instskip(NEXT) | instid1(VALU_DEP_4)
	v_dual_cndmask_b32 v1, v1, v7, vcc_lo :: v_dual_ashrrev_i32 v5, 31, v4
	v_cndmask_b32_e32 v0, v0, v6, vcc_lo
	s_delay_alu instid0(VALU_DEP_2)
	v_add_nc_u64_e32 v[8:9], s[4:5], v[4:5]
	s_cbranch_scc1 .LBB6_2906
; %bb.2829:
	s_and_b32 s2, 0xffff, s16
	s_mov_b32 s7, -1
	s_mov_b32 s3, 0
	s_cmp_gt_i32 s2, 25
	s_mov_b32 s6, 0
	s_mov_b32 s0, 0
	s_cbranch_scc0 .LBB6_2862
; %bb.2830:
	s_cmp_gt_i32 s2, 28
	s_cbranch_scc0 .LBB6_2845
; %bb.2831:
	s_cmp_gt_i32 s2, 43
	;; [unrolled: 3-line block ×3, first 2 shown]
	s_cbranch_scc0 .LBB6_2835
; %bb.2833:
	s_mov_b32 s0, -1
	s_mov_b32 s7, 0
	s_cmp_eq_u32 s2, 46
	s_cbranch_scc0 .LBB6_2835
; %bb.2834:
	v_cvt_f32_f64_e32 v2, v[0:1]
	s_mov_b32 s0, 0
	s_mov_b32 s6, -1
	s_delay_alu instid0(VALU_DEP_1) | instskip(SKIP_1) | instid1(VALU_DEP_2)
	v_bfe_u32 v3, v2, 16, 1
	v_cmp_o_f32_e32 vcc_lo, v2, v2
	v_add3_u32 v3, v2, v3, 0x7fff
	s_delay_alu instid0(VALU_DEP_1) | instskip(NEXT) | instid1(VALU_DEP_1)
	v_lshrrev_b32_e32 v3, 16, v3
	v_cndmask_b32_e32 v2, 0x7fc0, v3, vcc_lo
	global_store_b32 v[8:9], v2, off
.LBB6_2835:
	s_and_b32 vcc_lo, exec_lo, s7
	s_cbranch_vccz .LBB6_2840
; %bb.2836:
	s_cmp_eq_u32 s2, 44
	s_mov_b32 s0, -1
	s_cbranch_scc0 .LBB6_2840
; %bb.2837:
	s_wait_xcnt 0x0
	v_cvt_f32_f64_e32 v2, v[0:1]
	v_mov_b32_e32 v3, 0xff
	s_mov_b32 s6, exec_lo
	s_delay_alu instid0(VALU_DEP_2) | instskip(NEXT) | instid1(VALU_DEP_1)
	v_bfe_u32 v5, v2, 23, 8
	v_cmpx_ne_u32_e32 0xff, v5
	s_cbranch_execz .LBB6_2839
; %bb.2838:
	v_and_b32_e32 v3, 0x400000, v2
	v_and_or_b32 v5, 0x3fffff, v2, v5
	v_lshrrev_b32_e32 v2, 23, v2
	s_delay_alu instid0(VALU_DEP_3) | instskip(NEXT) | instid1(VALU_DEP_3)
	v_cmp_ne_u32_e32 vcc_lo, 0, v3
	v_cmp_ne_u32_e64 s0, 0, v5
	s_and_b32 s0, vcc_lo, s0
	s_delay_alu instid0(SALU_CYCLE_1) | instskip(NEXT) | instid1(VALU_DEP_1)
	v_cndmask_b32_e64 v3, 0, 1, s0
	v_add_nc_u32_e32 v3, v2, v3
.LBB6_2839:
	s_or_b32 exec_lo, exec_lo, s6
	s_mov_b32 s0, 0
	s_mov_b32 s6, -1
	global_store_b8 v[8:9], v3, off
.LBB6_2840:
	s_mov_b32 s7, 0
.LBB6_2841:
	s_delay_alu instid0(SALU_CYCLE_1)
	s_and_b32 vcc_lo, exec_lo, s7
	s_cbranch_vccz .LBB6_2844
; %bb.2842:
	s_cmp_eq_u32 s2, 29
	s_mov_b32 s0, -1
	s_cbranch_scc0 .LBB6_2844
; %bb.2843:
	s_wait_xcnt 0x0
	v_trunc_f64_e32 v[2:3], v[0:1]
	s_mov_b32 s0, 0
	s_mov_b32 s6, -1
	s_delay_alu instid0(VALU_DEP_1) | instskip(NEXT) | instid1(VALU_DEP_1)
	v_ldexp_f64 v[6:7], v[2:3], 0xffffffe0
	v_floor_f64_e32 v[6:7], v[6:7]
	s_delay_alu instid0(VALU_DEP_1) | instskip(SKIP_1) | instid1(VALU_DEP_2)
	v_fmamk_f64 v[2:3], v[6:7], 0xc1f00000, v[2:3]
	v_cvt_u32_f64_e32 v7, v[6:7]
	v_cvt_u32_f64_e32 v6, v[2:3]
	global_store_b64 v[8:9], v[6:7], off
.LBB6_2844:
	s_mov_b32 s7, 0
.LBB6_2845:
	s_delay_alu instid0(SALU_CYCLE_1)
	s_and_b32 vcc_lo, exec_lo, s7
	s_cbranch_vccz .LBB6_2861
; %bb.2846:
	s_cmp_lt_i32 s2, 27
	s_mov_b32 s6, -1
	s_cbranch_scc1 .LBB6_2852
; %bb.2847:
	s_wait_xcnt 0x0
	v_cvt_u32_f64_e32 v2, v[0:1]
	s_cmp_gt_i32 s2, 27
	s_cbranch_scc0 .LBB6_2849
; %bb.2848:
	s_mov_b32 s6, 0
	global_store_b32 v[8:9], v2, off
.LBB6_2849:
	s_and_not1_b32 vcc_lo, exec_lo, s6
	s_cbranch_vccnz .LBB6_2851
; %bb.2850:
	global_store_b16 v[8:9], v2, off
.LBB6_2851:
	s_mov_b32 s6, 0
.LBB6_2852:
	s_delay_alu instid0(SALU_CYCLE_1)
	s_and_not1_b32 vcc_lo, exec_lo, s6
	s_cbranch_vccnz .LBB6_2860
; %bb.2853:
	s_wait_xcnt 0x0
	v_cvt_f32_f64_e32 v2, v[0:1]
	v_mov_b32_e32 v5, 0x80
	s_mov_b32 s6, exec_lo
	s_delay_alu instid0(VALU_DEP_2) | instskip(NEXT) | instid1(VALU_DEP_1)
	v_and_b32_e32 v3, 0x7fffffff, v2
	v_cmpx_gt_u32_e32 0x43800000, v3
	s_cbranch_execz .LBB6_2859
; %bb.2854:
	v_cmp_lt_u32_e32 vcc_lo, 0x3bffffff, v3
	s_mov_b32 s7, 0
                                        ; implicit-def: $vgpr3
	s_and_saveexec_b32 s8, vcc_lo
	s_delay_alu instid0(SALU_CYCLE_1)
	s_xor_b32 s8, exec_lo, s8
	s_cbranch_execz .LBB6_3080
; %bb.2855:
	v_bfe_u32 v3, v2, 20, 1
	s_mov_b32 s7, exec_lo
	s_delay_alu instid0(VALU_DEP_1) | instskip(NEXT) | instid1(VALU_DEP_1)
	v_add3_u32 v3, v2, v3, 0x487ffff
	v_lshrrev_b32_e32 v3, 20, v3
	s_and_not1_saveexec_b32 s8, s8
	s_cbranch_execnz .LBB6_3081
.LBB6_2856:
	s_or_b32 exec_lo, exec_lo, s8
	v_mov_b32_e32 v5, 0
	s_and_saveexec_b32 s8, s7
.LBB6_2857:
	v_lshrrev_b32_e32 v2, 24, v2
	s_delay_alu instid0(VALU_DEP_1)
	v_and_or_b32 v5, 0x80, v2, v3
.LBB6_2858:
	s_or_b32 exec_lo, exec_lo, s8
.LBB6_2859:
	s_delay_alu instid0(SALU_CYCLE_1)
	s_or_b32 exec_lo, exec_lo, s6
	global_store_b8 v[8:9], v5, off
.LBB6_2860:
	s_mov_b32 s6, -1
.LBB6_2861:
	s_mov_b32 s7, 0
.LBB6_2862:
	s_delay_alu instid0(SALU_CYCLE_1)
	s_and_b32 vcc_lo, exec_lo, s7
	s_cbranch_vccz .LBB6_2902
; %bb.2863:
	s_cmp_gt_i32 s2, 22
	s_mov_b32 s3, -1
	s_cbranch_scc0 .LBB6_2895
; %bb.2864:
	s_cmp_lt_i32 s2, 24
	s_cbranch_scc1 .LBB6_2884
; %bb.2865:
	s_cmp_gt_i32 s2, 24
	s_cbranch_scc0 .LBB6_2873
; %bb.2866:
	s_wait_xcnt 0x0
	v_cvt_f32_f64_e32 v2, v[0:1]
	v_mov_b32_e32 v5, 0x80
	s_mov_b32 s3, exec_lo
	s_delay_alu instid0(VALU_DEP_2) | instskip(NEXT) | instid1(VALU_DEP_1)
	v_and_b32_e32 v3, 0x7fffffff, v2
	v_cmpx_gt_u32_e32 0x47800000, v3
	s_cbranch_execz .LBB6_2872
; %bb.2867:
	v_cmp_lt_u32_e32 vcc_lo, 0x37ffffff, v3
	s_mov_b32 s6, 0
                                        ; implicit-def: $vgpr3
	s_and_saveexec_b32 s7, vcc_lo
	s_delay_alu instid0(SALU_CYCLE_1)
	s_xor_b32 s7, exec_lo, s7
	s_cbranch_execz .LBB6_3083
; %bb.2868:
	v_bfe_u32 v3, v2, 21, 1
	s_mov_b32 s6, exec_lo
	s_delay_alu instid0(VALU_DEP_1) | instskip(NEXT) | instid1(VALU_DEP_1)
	v_add3_u32 v3, v2, v3, 0x88fffff
	v_lshrrev_b32_e32 v3, 21, v3
	s_and_not1_saveexec_b32 s7, s7
	s_cbranch_execnz .LBB6_3084
.LBB6_2869:
	s_or_b32 exec_lo, exec_lo, s7
	v_mov_b32_e32 v5, 0
	s_and_saveexec_b32 s7, s6
.LBB6_2870:
	v_lshrrev_b32_e32 v2, 24, v2
	s_delay_alu instid0(VALU_DEP_1)
	v_and_or_b32 v5, 0x80, v2, v3
.LBB6_2871:
	s_or_b32 exec_lo, exec_lo, s7
.LBB6_2872:
	s_delay_alu instid0(SALU_CYCLE_1)
	s_or_b32 exec_lo, exec_lo, s3
	s_mov_b32 s3, 0
	global_store_b8 v[8:9], v5, off
.LBB6_2873:
	s_and_b32 vcc_lo, exec_lo, s3
	s_cbranch_vccz .LBB6_2883
; %bb.2874:
	s_wait_xcnt 0x0
	v_cvt_f32_f64_e32 v2, v[0:1]
	s_mov_b32 s3, exec_lo
                                        ; implicit-def: $vgpr3
	s_delay_alu instid0(VALU_DEP_1) | instskip(NEXT) | instid1(VALU_DEP_1)
	v_and_b32_e32 v5, 0x7fffffff, v2
	v_cmpx_gt_u32_e32 0x43f00000, v5
	s_xor_b32 s3, exec_lo, s3
	s_cbranch_execz .LBB6_2880
; %bb.2875:
	s_mov_b32 s6, exec_lo
                                        ; implicit-def: $vgpr3
	v_cmpx_lt_u32_e32 0x3c7fffff, v5
	s_xor_b32 s6, exec_lo, s6
; %bb.2876:
	v_bfe_u32 v3, v2, 20, 1
	s_delay_alu instid0(VALU_DEP_1) | instskip(NEXT) | instid1(VALU_DEP_1)
	v_add3_u32 v3, v2, v3, 0x407ffff
	v_and_b32_e32 v5, 0xff00000, v3
	v_lshrrev_b32_e32 v3, 20, v3
	s_delay_alu instid0(VALU_DEP_2) | instskip(NEXT) | instid1(VALU_DEP_2)
	v_cmp_ne_u32_e32 vcc_lo, 0x7f00000, v5
	v_cndmask_b32_e32 v3, 0x7e, v3, vcc_lo
; %bb.2877:
	s_and_not1_saveexec_b32 s6, s6
; %bb.2878:
	v_add_f32_e64 v3, 0x46800000, |v2|
; %bb.2879:
	s_or_b32 exec_lo, exec_lo, s6
                                        ; implicit-def: $vgpr5
.LBB6_2880:
	s_and_not1_saveexec_b32 s3, s3
; %bb.2881:
	v_mov_b32_e32 v3, 0x7f
	v_cmp_lt_u32_e32 vcc_lo, 0x7f800000, v5
	s_delay_alu instid0(VALU_DEP_2)
	v_cndmask_b32_e32 v3, 0x7e, v3, vcc_lo
; %bb.2882:
	s_or_b32 exec_lo, exec_lo, s3
	v_lshrrev_b32_e32 v2, 24, v2
	s_delay_alu instid0(VALU_DEP_1)
	v_and_or_b32 v2, 0x80, v2, v3
	global_store_b8 v[8:9], v2, off
.LBB6_2883:
	s_mov_b32 s3, 0
.LBB6_2884:
	s_delay_alu instid0(SALU_CYCLE_1)
	s_and_not1_b32 vcc_lo, exec_lo, s3
	s_cbranch_vccnz .LBB6_2894
; %bb.2885:
	s_wait_xcnt 0x0
	v_cvt_f32_f64_e32 v2, v[0:1]
	s_mov_b32 s3, exec_lo
                                        ; implicit-def: $vgpr3
	s_delay_alu instid0(VALU_DEP_1) | instskip(NEXT) | instid1(VALU_DEP_1)
	v_and_b32_e32 v5, 0x7fffffff, v2
	v_cmpx_gt_u32_e32 0x47800000, v5
	s_xor_b32 s3, exec_lo, s3
	s_cbranch_execz .LBB6_2891
; %bb.2886:
	s_mov_b32 s6, exec_lo
                                        ; implicit-def: $vgpr3
	v_cmpx_lt_u32_e32 0x387fffff, v5
	s_xor_b32 s6, exec_lo, s6
; %bb.2887:
	v_bfe_u32 v3, v2, 21, 1
	s_delay_alu instid0(VALU_DEP_1) | instskip(NEXT) | instid1(VALU_DEP_1)
	v_add3_u32 v3, v2, v3, 0x80fffff
	v_lshrrev_b32_e32 v3, 21, v3
; %bb.2888:
	s_and_not1_saveexec_b32 s6, s6
; %bb.2889:
	v_add_f32_e64 v3, 0x43000000, |v2|
; %bb.2890:
	s_or_b32 exec_lo, exec_lo, s6
                                        ; implicit-def: $vgpr5
.LBB6_2891:
	s_and_not1_saveexec_b32 s3, s3
; %bb.2892:
	v_mov_b32_e32 v3, 0x7f
	v_cmp_lt_u32_e32 vcc_lo, 0x7f800000, v5
	s_delay_alu instid0(VALU_DEP_2)
	v_cndmask_b32_e32 v3, 0x7c, v3, vcc_lo
; %bb.2893:
	s_or_b32 exec_lo, exec_lo, s3
	v_lshrrev_b32_e32 v2, 24, v2
	s_delay_alu instid0(VALU_DEP_1)
	v_and_or_b32 v2, 0x80, v2, v3
	global_store_b8 v[8:9], v2, off
.LBB6_2894:
	s_mov_b32 s3, 0
	s_mov_b32 s6, -1
.LBB6_2895:
	s_and_not1_b32 vcc_lo, exec_lo, s3
	s_mov_b32 s3, 0
	s_cbranch_vccnz .LBB6_2902
; %bb.2896:
	s_cmp_gt_i32 s2, 14
	s_mov_b32 s3, -1
	s_cbranch_scc0 .LBB6_2900
; %bb.2897:
	s_cmp_eq_u32 s2, 15
	s_mov_b32 s0, -1
	s_cbranch_scc0 .LBB6_2899
; %bb.2898:
	s_wait_xcnt 0x0
	v_cvt_f32_f64_e32 v2, v[0:1]
	s_mov_b32 s0, 0
	s_mov_b32 s6, -1
	s_delay_alu instid0(VALU_DEP_1) | instskip(SKIP_1) | instid1(VALU_DEP_2)
	v_bfe_u32 v3, v2, 16, 1
	v_cmp_o_f32_e32 vcc_lo, v2, v2
	v_add3_u32 v3, v2, v3, 0x7fff
	s_delay_alu instid0(VALU_DEP_1) | instskip(NEXT) | instid1(VALU_DEP_1)
	v_lshrrev_b32_e32 v3, 16, v3
	v_cndmask_b32_e32 v2, 0x7fc0, v3, vcc_lo
	global_store_b16 v[8:9], v2, off
.LBB6_2899:
	s_mov_b32 s3, 0
.LBB6_2900:
	s_delay_alu instid0(SALU_CYCLE_1)
	s_and_b32 vcc_lo, exec_lo, s3
	s_mov_b32 s3, 0
	s_cbranch_vccz .LBB6_2902
; %bb.2901:
	s_cmp_lg_u32 s2, 11
	s_mov_b32 s3, -1
	s_cselect_b32 s0, -1, 0
.LBB6_2902:
	s_delay_alu instid0(SALU_CYCLE_1)
	s_and_b32 vcc_lo, exec_lo, s0
	s_cbranch_vccnz .LBB6_3082
; %bb.2903:
	s_and_not1_b32 vcc_lo, exec_lo, s3
	s_cbranch_vccnz .LBB6_2905
.LBB6_2904:
	v_cmp_neq_f64_e32 vcc_lo, 0, v[0:1]
	s_mov_b32 s6, -1
	s_wait_xcnt 0x0
	v_cndmask_b32_e64 v2, 0, 1, vcc_lo
	global_store_b8 v[8:9], v2, off
.LBB6_2905:
	s_mov_b32 s0, 0
	s_branch .LBB6_2907
.LBB6_2906:
	s_mov_b32 s0, -1
	s_mov_b32 s6, 0
.LBB6_2907:
	s_and_b32 vcc_lo, exec_lo, s0
	s_cbranch_vccz .LBB6_2946
; %bb.2908:
	s_and_b32 s0, 0xffff, s16
	s_mov_b32 s2, -1
	s_cmp_lt_i32 s0, 5
	s_cbranch_scc1 .LBB6_2929
; %bb.2909:
	s_cmp_lt_i32 s0, 8
	s_cbranch_scc1 .LBB6_2919
; %bb.2910:
	;; [unrolled: 3-line block ×3, first 2 shown]
	s_cmp_gt_i32 s0, 9
	s_cbranch_scc0 .LBB6_2913
; %bb.2912:
	s_wait_xcnt 0x0
	v_mov_b32_e32 v2, 0
	s_mov_b32 s2, 0
	s_delay_alu instid0(VALU_DEP_1)
	v_mov_b32_e32 v3, v2
	global_store_b128 v[8:9], v[0:3], off
.LBB6_2913:
	s_and_not1_b32 vcc_lo, exec_lo, s2
	s_cbranch_vccnz .LBB6_2915
; %bb.2914:
	s_wait_xcnt 0x0
	v_cvt_f32_f64_e32 v2, v[0:1]
	v_mov_b32_e32 v3, 0
	global_store_b64 v[8:9], v[2:3], off
.LBB6_2915:
	s_mov_b32 s2, 0
.LBB6_2916:
	s_delay_alu instid0(SALU_CYCLE_1)
	s_and_not1_b32 vcc_lo, exec_lo, s2
	s_cbranch_vccnz .LBB6_2918
; %bb.2917:
	s_wait_xcnt 0x0
	v_and_or_b32 v2, 0x1ff, v1, v0
	v_lshrrev_b32_e32 v3, 8, v1
	v_bfe_u32 v5, v1, 20, 11
	s_delay_alu instid0(VALU_DEP_3) | instskip(NEXT) | instid1(VALU_DEP_2)
	v_cmp_ne_u32_e32 vcc_lo, 0, v2
	v_sub_nc_u32_e32 v6, 0x3f1, v5
	v_add_nc_u32_e32 v5, 0xfffffc10, v5
	v_cndmask_b32_e64 v2, 0, 1, vcc_lo
	s_delay_alu instid0(VALU_DEP_1) | instskip(NEXT) | instid1(VALU_DEP_4)
	v_and_or_b32 v2, 0xffe, v3, v2
	v_med3_i32 v3, v6, 0, 13
	s_delay_alu instid0(VALU_DEP_2) | instskip(NEXT) | instid1(VALU_DEP_1)
	v_or_b32_e32 v6, 0x1000, v2
	v_lshrrev_b32_e32 v7, v3, v6
	s_delay_alu instid0(VALU_DEP_1) | instskip(NEXT) | instid1(VALU_DEP_1)
	v_lshlrev_b32_e32 v3, v3, v7
	v_cmp_ne_u32_e32 vcc_lo, v3, v6
	v_lshl_or_b32 v6, v5, 12, v2
	v_cndmask_b32_e64 v3, 0, 1, vcc_lo
	v_cmp_gt_i32_e32 vcc_lo, 1, v5
	s_delay_alu instid0(VALU_DEP_2) | instskip(NEXT) | instid1(VALU_DEP_1)
	v_or_b32_e32 v3, v7, v3
	v_cndmask_b32_e32 v3, v6, v3, vcc_lo
	s_delay_alu instid0(VALU_DEP_1) | instskip(NEXT) | instid1(VALU_DEP_1)
	v_dual_lshrrev_b32 v3, 2, v3 :: v_dual_bitop2_b32 v6, 7, v3 bitop3:0x40
	v_cmp_lt_i32_e32 vcc_lo, 5, v6
	v_cndmask_b32_e64 v7, 0, 1, vcc_lo
	v_cmp_eq_u32_e32 vcc_lo, 3, v6
	v_cndmask_b32_e64 v6, 0, 1, vcc_lo
	v_cmp_ne_u32_e32 vcc_lo, 0, v2
	s_delay_alu instid0(VALU_DEP_2) | instskip(SKIP_1) | instid1(VALU_DEP_1)
	v_or_b32_e32 v6, v6, v7
	v_mov_b32_e32 v7, 0x7e00
	v_dual_cndmask_b32 v2, 0x7c00, v7 :: v_dual_add_nc_u32 v3, v3, v6
	v_cmp_gt_i32_e32 vcc_lo, 31, v5
	s_delay_alu instid0(VALU_DEP_2) | instskip(SKIP_1) | instid1(VALU_DEP_2)
	v_dual_cndmask_b32 v3, 0x7c00, v3 :: v_dual_lshrrev_b32 v6, 16, v1
	v_cmp_eq_u32_e32 vcc_lo, 0x40f, v5
	v_cndmask_b32_e32 v2, v3, v2, vcc_lo
	s_delay_alu instid0(VALU_DEP_3) | instskip(NEXT) | instid1(VALU_DEP_1)
	v_and_b32_e32 v3, 0x8000, v6
	v_bitop3_b32 v2, v3, 0xffff, v2 bitop3:0xc8
	global_store_b32 v[8:9], v2, off
.LBB6_2918:
	s_mov_b32 s2, 0
.LBB6_2919:
	s_delay_alu instid0(SALU_CYCLE_1)
	s_and_not1_b32 vcc_lo, exec_lo, s2
	s_cbranch_vccnz .LBB6_2928
; %bb.2920:
	s_cmp_lt_i32 s0, 6
	s_mov_b32 s2, -1
	s_cbranch_scc1 .LBB6_2926
; %bb.2921:
	s_cmp_gt_i32 s0, 6
	s_cbranch_scc0 .LBB6_2923
; %bb.2922:
	s_mov_b32 s2, 0
	global_store_b64 v[8:9], v[0:1], off
.LBB6_2923:
	s_and_not1_b32 vcc_lo, exec_lo, s2
	s_cbranch_vccnz .LBB6_2925
; %bb.2924:
	s_wait_xcnt 0x0
	v_cvt_f32_f64_e32 v2, v[0:1]
	global_store_b32 v[8:9], v2, off
.LBB6_2925:
	s_mov_b32 s2, 0
.LBB6_2926:
	s_delay_alu instid0(SALU_CYCLE_1)
	s_and_not1_b32 vcc_lo, exec_lo, s2
	s_cbranch_vccnz .LBB6_2928
; %bb.2927:
	s_wait_xcnt 0x0
	v_and_or_b32 v2, 0x1ff, v1, v0
	v_lshrrev_b32_e32 v3, 8, v1
	v_bfe_u32 v5, v1, 20, 11
	s_delay_alu instid0(VALU_DEP_3) | instskip(NEXT) | instid1(VALU_DEP_2)
	v_cmp_ne_u32_e32 vcc_lo, 0, v2
	v_sub_nc_u32_e32 v6, 0x3f1, v5
	v_add_nc_u32_e32 v5, 0xfffffc10, v5
	v_cndmask_b32_e64 v2, 0, 1, vcc_lo
	s_delay_alu instid0(VALU_DEP_1) | instskip(NEXT) | instid1(VALU_DEP_4)
	v_and_or_b32 v2, 0xffe, v3, v2
	v_med3_i32 v3, v6, 0, 13
	s_delay_alu instid0(VALU_DEP_2) | instskip(NEXT) | instid1(VALU_DEP_1)
	v_or_b32_e32 v6, 0x1000, v2
	v_lshrrev_b32_e32 v7, v3, v6
	s_delay_alu instid0(VALU_DEP_1) | instskip(NEXT) | instid1(VALU_DEP_1)
	v_lshlrev_b32_e32 v3, v3, v7
	v_cmp_ne_u32_e32 vcc_lo, v3, v6
	v_lshl_or_b32 v6, v5, 12, v2
	v_cndmask_b32_e64 v3, 0, 1, vcc_lo
	v_cmp_gt_i32_e32 vcc_lo, 1, v5
	s_delay_alu instid0(VALU_DEP_2) | instskip(NEXT) | instid1(VALU_DEP_1)
	v_or_b32_e32 v3, v7, v3
	v_cndmask_b32_e32 v3, v6, v3, vcc_lo
	s_delay_alu instid0(VALU_DEP_1) | instskip(NEXT) | instid1(VALU_DEP_1)
	v_dual_lshrrev_b32 v3, 2, v3 :: v_dual_bitop2_b32 v6, 7, v3 bitop3:0x40
	v_cmp_lt_i32_e32 vcc_lo, 5, v6
	v_cndmask_b32_e64 v7, 0, 1, vcc_lo
	v_cmp_eq_u32_e32 vcc_lo, 3, v6
	v_cndmask_b32_e64 v6, 0, 1, vcc_lo
	v_cmp_ne_u32_e32 vcc_lo, 0, v2
	s_delay_alu instid0(VALU_DEP_2) | instskip(SKIP_1) | instid1(VALU_DEP_1)
	v_or_b32_e32 v6, v6, v7
	v_mov_b32_e32 v7, 0x7e00
	v_dual_cndmask_b32 v2, 0x7c00, v7 :: v_dual_add_nc_u32 v3, v3, v6
	v_cmp_gt_i32_e32 vcc_lo, 31, v5
	s_delay_alu instid0(VALU_DEP_2) | instskip(SKIP_1) | instid1(VALU_DEP_2)
	v_cndmask_b32_e32 v3, 0x7c00, v3, vcc_lo
	v_cmp_eq_u32_e32 vcc_lo, 0x40f, v5
	v_dual_cndmask_b32 v2, v3, v2 :: v_dual_lshrrev_b32 v3, 16, v1
	s_delay_alu instid0(VALU_DEP_1)
	v_and_or_b32 v2, 0x8000, v3, v2
	global_store_b16 v[8:9], v2, off
.LBB6_2928:
	s_mov_b32 s2, 0
.LBB6_2929:
	s_delay_alu instid0(SALU_CYCLE_1)
	s_and_not1_b32 vcc_lo, exec_lo, s2
	s_cbranch_vccnz .LBB6_2945
; %bb.2930:
	s_cmp_lt_i32 s0, 2
	s_mov_b32 s2, -1
	s_cbranch_scc1 .LBB6_2940
; %bb.2931:
	s_cmp_lt_i32 s0, 3
	s_cbranch_scc1 .LBB6_2937
; %bb.2932:
	s_cmp_gt_i32 s0, 3
	s_cbranch_scc0 .LBB6_2934
; %bb.2933:
	s_wait_xcnt 0x0
	v_trunc_f64_e32 v[2:3], v[0:1]
	s_mov_b32 s2, 0
	s_delay_alu instid0(VALU_DEP_1) | instskip(NEXT) | instid1(VALU_DEP_1)
	v_ldexp_f64 v[6:7], v[2:3], 0xffffffe0
	v_floor_f64_e32 v[6:7], v[6:7]
	s_delay_alu instid0(VALU_DEP_1) | instskip(SKIP_1) | instid1(VALU_DEP_2)
	v_fmamk_f64 v[2:3], v[6:7], 0xc1f00000, v[2:3]
	v_cvt_i32_f64_e32 v7, v[6:7]
	v_cvt_u32_f64_e32 v6, v[2:3]
	global_store_b64 v[8:9], v[6:7], off
.LBB6_2934:
	s_and_not1_b32 vcc_lo, exec_lo, s2
	s_cbranch_vccnz .LBB6_2936
; %bb.2935:
	s_wait_xcnt 0x0
	v_cvt_i32_f64_e32 v2, v[0:1]
	global_store_b32 v[8:9], v2, off
.LBB6_2936:
	s_mov_b32 s2, 0
.LBB6_2937:
	s_delay_alu instid0(SALU_CYCLE_1)
	s_and_not1_b32 vcc_lo, exec_lo, s2
	s_cbranch_vccnz .LBB6_2939
; %bb.2938:
	s_wait_xcnt 0x0
	v_cvt_i32_f64_e32 v2, v[0:1]
	global_store_b16 v[8:9], v2, off
.LBB6_2939:
	s_mov_b32 s2, 0
.LBB6_2940:
	s_delay_alu instid0(SALU_CYCLE_1)
	s_and_not1_b32 vcc_lo, exec_lo, s2
	s_cbranch_vccnz .LBB6_2945
; %bb.2941:
	s_cmp_gt_i32 s0, 0
	s_mov_b32 s0, -1
	s_cbranch_scc0 .LBB6_2943
; %bb.2942:
	s_wait_xcnt 0x0
	v_cvt_i32_f64_e32 v2, v[0:1]
	s_mov_b32 s0, 0
	global_store_b8 v[8:9], v2, off
.LBB6_2943:
	s_and_not1_b32 vcc_lo, exec_lo, s0
	s_cbranch_vccnz .LBB6_2945
; %bb.2944:
	s_wait_xcnt 0x0
	v_trunc_f64_e32 v[0:1], v[0:1]
	s_delay_alu instid0(VALU_DEP_1) | instskip(NEXT) | instid1(VALU_DEP_1)
	v_ldexp_f64 v[2:3], v[0:1], 0xffffffe0
	v_floor_f64_e32 v[2:3], v[2:3]
	s_delay_alu instid0(VALU_DEP_1) | instskip(NEXT) | instid1(VALU_DEP_1)
	v_fmamk_f64 v[0:1], v[2:3], 0xc1f00000, v[0:1]
	v_cvt_u32_f64_e32 v0, v[0:1]
	global_store_b8 v[8:9], v0, off
.LBB6_2945:
	s_mov_b32 s6, -1
.LBB6_2946:
	s_delay_alu instid0(SALU_CYCLE_1)
	s_and_not1_b32 vcc_lo, exec_lo, s6
	s_cbranch_vccnz .LBB6_3023
; %bb.2947:
	s_wait_xcnt 0x0
	v_dual_mul_f64 v[0:1], v[10:11], v[14:15] :: v_dual_add_nc_u32 v2, s1, v4
	v_cmp_lt_f64_e32 vcc_lo, 0, v[10:11]
	s_cmp_lt_i32 s16, 11
	s_delay_alu instid0(VALU_DEP_2) | instskip(NEXT) | instid1(VALU_DEP_1)
	v_dual_ashrrev_i32 v3, 31, v2 :: v_dual_cndmask_b32 v1, v1, v11, vcc_lo
	v_add_nc_u64_e32 v[4:5], s[4:5], v[2:3]
	s_delay_alu instid0(VALU_DEP_4)
	v_cndmask_b32_e32 v0, v0, v10, vcc_lo
	s_cbranch_scc1 .LBB6_3068
; %bb.2948:
	s_and_b32 s1, 0xffff, s16
	s_mov_b32 s3, -1
	s_mov_b32 s2, 0
	s_cmp_gt_i32 s1, 25
	s_mov_b32 s0, 0
	s_cbranch_scc0 .LBB6_2981
; %bb.2949:
	s_cmp_gt_i32 s1, 28
	s_cbranch_scc0 .LBB6_2965
; %bb.2950:
	s_cmp_gt_i32 s1, 43
	;; [unrolled: 3-line block ×3, first 2 shown]
	s_cbranch_scc0 .LBB6_2955
; %bb.2952:
	s_cmp_eq_u32 s1, 46
	s_mov_b32 s0, -1
	s_cbranch_scc0 .LBB6_2954
; %bb.2953:
	v_cvt_f32_f64_e32 v2, v[0:1]
	s_mov_b32 s0, 0
	s_delay_alu instid0(VALU_DEP_1) | instskip(SKIP_1) | instid1(VALU_DEP_2)
	v_bfe_u32 v3, v2, 16, 1
	v_cmp_o_f32_e32 vcc_lo, v2, v2
	v_add3_u32 v3, v2, v3, 0x7fff
	s_delay_alu instid0(VALU_DEP_1) | instskip(NEXT) | instid1(VALU_DEP_1)
	v_lshrrev_b32_e32 v3, 16, v3
	v_cndmask_b32_e32 v2, 0x7fc0, v3, vcc_lo
	global_store_b32 v[4:5], v2, off
.LBB6_2954:
	s_mov_b32 s3, 0
.LBB6_2955:
	s_delay_alu instid0(SALU_CYCLE_1)
	s_and_b32 vcc_lo, exec_lo, s3
	s_cbranch_vccz .LBB6_2960
; %bb.2956:
	s_cmp_eq_u32 s1, 44
	s_mov_b32 s0, -1
	s_cbranch_scc0 .LBB6_2960
; %bb.2957:
	s_wait_xcnt 0x0
	v_cvt_f32_f64_e32 v2, v[0:1]
	v_mov_b32_e32 v3, 0xff
	s_mov_b32 s3, exec_lo
	s_delay_alu instid0(VALU_DEP_2) | instskip(NEXT) | instid1(VALU_DEP_1)
	v_bfe_u32 v6, v2, 23, 8
	v_cmpx_ne_u32_e32 0xff, v6
	s_cbranch_execz .LBB6_2959
; %bb.2958:
	v_and_b32_e32 v3, 0x400000, v2
	v_and_or_b32 v6, 0x3fffff, v2, v6
	v_lshrrev_b32_e32 v2, 23, v2
	s_delay_alu instid0(VALU_DEP_3) | instskip(NEXT) | instid1(VALU_DEP_3)
	v_cmp_ne_u32_e32 vcc_lo, 0, v3
	v_cmp_ne_u32_e64 s0, 0, v6
	s_and_b32 s0, vcc_lo, s0
	s_delay_alu instid0(SALU_CYCLE_1) | instskip(NEXT) | instid1(VALU_DEP_1)
	v_cndmask_b32_e64 v3, 0, 1, s0
	v_add_nc_u32_e32 v3, v2, v3
.LBB6_2959:
	s_or_b32 exec_lo, exec_lo, s3
	s_mov_b32 s0, 0
	global_store_b8 v[4:5], v3, off
.LBB6_2960:
	s_mov_b32 s3, 0
.LBB6_2961:
	s_delay_alu instid0(SALU_CYCLE_1)
	s_and_b32 vcc_lo, exec_lo, s3
	s_cbranch_vccz .LBB6_2964
; %bb.2962:
	s_cmp_eq_u32 s1, 29
	s_mov_b32 s0, -1
	s_cbranch_scc0 .LBB6_2964
; %bb.2963:
	s_wait_xcnt 0x0
	v_trunc_f64_e32 v[2:3], v[0:1]
	s_mov_b32 s0, 0
	s_delay_alu instid0(VALU_DEP_1) | instskip(NEXT) | instid1(VALU_DEP_1)
	v_ldexp_f64 v[6:7], v[2:3], 0xffffffe0
	v_floor_f64_e32 v[6:7], v[6:7]
	s_delay_alu instid0(VALU_DEP_1) | instskip(SKIP_1) | instid1(VALU_DEP_2)
	v_fmamk_f64 v[2:3], v[6:7], 0xc1f00000, v[2:3]
	v_cvt_u32_f64_e32 v7, v[6:7]
	v_cvt_u32_f64_e32 v6, v[2:3]
	global_store_b64 v[4:5], v[6:7], off
.LBB6_2964:
	s_mov_b32 s3, 0
.LBB6_2965:
	s_delay_alu instid0(SALU_CYCLE_1)
	s_and_b32 vcc_lo, exec_lo, s3
	s_cbranch_vccz .LBB6_2980
; %bb.2966:
	s_cmp_lt_i32 s1, 27
	s_mov_b32 s3, -1
	s_cbranch_scc1 .LBB6_2972
; %bb.2967:
	s_wait_xcnt 0x0
	v_cvt_u32_f64_e32 v2, v[0:1]
	s_cmp_gt_i32 s1, 27
	s_cbranch_scc0 .LBB6_2969
; %bb.2968:
	s_mov_b32 s3, 0
	global_store_b32 v[4:5], v2, off
.LBB6_2969:
	s_and_not1_b32 vcc_lo, exec_lo, s3
	s_cbranch_vccnz .LBB6_2971
; %bb.2970:
	global_store_b16 v[4:5], v2, off
.LBB6_2971:
	s_mov_b32 s3, 0
.LBB6_2972:
	s_delay_alu instid0(SALU_CYCLE_1)
	s_and_not1_b32 vcc_lo, exec_lo, s3
	s_cbranch_vccnz .LBB6_2980
; %bb.2973:
	s_wait_xcnt 0x0
	v_cvt_f32_f64_e32 v2, v[0:1]
	v_mov_b32_e32 v6, 0x80
	s_mov_b32 s3, exec_lo
	s_delay_alu instid0(VALU_DEP_2) | instskip(NEXT) | instid1(VALU_DEP_1)
	v_and_b32_e32 v3, 0x7fffffff, v2
	v_cmpx_gt_u32_e32 0x43800000, v3
	s_cbranch_execz .LBB6_2979
; %bb.2974:
	v_cmp_lt_u32_e32 vcc_lo, 0x3bffffff, v3
	s_mov_b32 s4, 0
                                        ; implicit-def: $vgpr3
	s_and_saveexec_b32 s5, vcc_lo
	s_delay_alu instid0(SALU_CYCLE_1)
	s_xor_b32 s5, exec_lo, s5
	s_cbranch_execz .LBB6_3085
; %bb.2975:
	v_bfe_u32 v3, v2, 20, 1
	s_mov_b32 s4, exec_lo
	s_delay_alu instid0(VALU_DEP_1) | instskip(NEXT) | instid1(VALU_DEP_1)
	v_add3_u32 v3, v2, v3, 0x487ffff
	v_lshrrev_b32_e32 v3, 20, v3
	s_and_not1_saveexec_b32 s5, s5
	s_cbranch_execnz .LBB6_3086
.LBB6_2976:
	s_or_b32 exec_lo, exec_lo, s5
	v_mov_b32_e32 v6, 0
	s_and_saveexec_b32 s5, s4
.LBB6_2977:
	v_lshrrev_b32_e32 v2, 24, v2
	s_delay_alu instid0(VALU_DEP_1)
	v_and_or_b32 v6, 0x80, v2, v3
.LBB6_2978:
	s_or_b32 exec_lo, exec_lo, s5
.LBB6_2979:
	s_delay_alu instid0(SALU_CYCLE_1)
	s_or_b32 exec_lo, exec_lo, s3
	global_store_b8 v[4:5], v6, off
.LBB6_2980:
	s_mov_b32 s3, 0
.LBB6_2981:
	s_delay_alu instid0(SALU_CYCLE_1)
	s_and_b32 vcc_lo, exec_lo, s3
	s_cbranch_vccz .LBB6_3021
; %bb.2982:
	s_cmp_gt_i32 s1, 22
	s_mov_b32 s2, -1
	s_cbranch_scc0 .LBB6_3014
; %bb.2983:
	s_cmp_lt_i32 s1, 24
	s_cbranch_scc1 .LBB6_3003
; %bb.2984:
	s_cmp_gt_i32 s1, 24
	s_cbranch_scc0 .LBB6_2992
; %bb.2985:
	s_wait_xcnt 0x0
	v_cvt_f32_f64_e32 v2, v[0:1]
	v_mov_b32_e32 v6, 0x80
	s_mov_b32 s2, exec_lo
	s_delay_alu instid0(VALU_DEP_2) | instskip(NEXT) | instid1(VALU_DEP_1)
	v_and_b32_e32 v3, 0x7fffffff, v2
	v_cmpx_gt_u32_e32 0x47800000, v3
	s_cbranch_execz .LBB6_2991
; %bb.2986:
	v_cmp_lt_u32_e32 vcc_lo, 0x37ffffff, v3
	s_mov_b32 s3, 0
                                        ; implicit-def: $vgpr3
	s_and_saveexec_b32 s4, vcc_lo
	s_delay_alu instid0(SALU_CYCLE_1)
	s_xor_b32 s4, exec_lo, s4
	s_cbranch_execz .LBB6_3088
; %bb.2987:
	v_bfe_u32 v3, v2, 21, 1
	s_mov_b32 s3, exec_lo
	s_delay_alu instid0(VALU_DEP_1) | instskip(NEXT) | instid1(VALU_DEP_1)
	v_add3_u32 v3, v2, v3, 0x88fffff
	v_lshrrev_b32_e32 v3, 21, v3
	s_and_not1_saveexec_b32 s4, s4
	s_cbranch_execnz .LBB6_3089
.LBB6_2988:
	s_or_b32 exec_lo, exec_lo, s4
	v_mov_b32_e32 v6, 0
	s_and_saveexec_b32 s4, s3
.LBB6_2989:
	v_lshrrev_b32_e32 v2, 24, v2
	s_delay_alu instid0(VALU_DEP_1)
	v_and_or_b32 v6, 0x80, v2, v3
.LBB6_2990:
	s_or_b32 exec_lo, exec_lo, s4
.LBB6_2991:
	s_delay_alu instid0(SALU_CYCLE_1)
	s_or_b32 exec_lo, exec_lo, s2
	s_mov_b32 s2, 0
	global_store_b8 v[4:5], v6, off
.LBB6_2992:
	s_and_b32 vcc_lo, exec_lo, s2
	s_cbranch_vccz .LBB6_3002
; %bb.2993:
	s_wait_xcnt 0x0
	v_cvt_f32_f64_e32 v2, v[0:1]
	s_mov_b32 s2, exec_lo
                                        ; implicit-def: $vgpr3
	s_delay_alu instid0(VALU_DEP_1) | instskip(NEXT) | instid1(VALU_DEP_1)
	v_and_b32_e32 v6, 0x7fffffff, v2
	v_cmpx_gt_u32_e32 0x43f00000, v6
	s_xor_b32 s2, exec_lo, s2
	s_cbranch_execz .LBB6_2999
; %bb.2994:
	s_mov_b32 s3, exec_lo
                                        ; implicit-def: $vgpr3
	v_cmpx_lt_u32_e32 0x3c7fffff, v6
	s_xor_b32 s3, exec_lo, s3
; %bb.2995:
	v_bfe_u32 v3, v2, 20, 1
	s_delay_alu instid0(VALU_DEP_1) | instskip(NEXT) | instid1(VALU_DEP_1)
	v_add3_u32 v3, v2, v3, 0x407ffff
	v_and_b32_e32 v6, 0xff00000, v3
	v_lshrrev_b32_e32 v3, 20, v3
	s_delay_alu instid0(VALU_DEP_2) | instskip(NEXT) | instid1(VALU_DEP_2)
	v_cmp_ne_u32_e32 vcc_lo, 0x7f00000, v6
	v_cndmask_b32_e32 v3, 0x7e, v3, vcc_lo
; %bb.2996:
	s_and_not1_saveexec_b32 s3, s3
; %bb.2997:
	v_add_f32_e64 v3, 0x46800000, |v2|
; %bb.2998:
	s_or_b32 exec_lo, exec_lo, s3
                                        ; implicit-def: $vgpr6
.LBB6_2999:
	s_and_not1_saveexec_b32 s2, s2
; %bb.3000:
	v_mov_b32_e32 v3, 0x7f
	v_cmp_lt_u32_e32 vcc_lo, 0x7f800000, v6
	s_delay_alu instid0(VALU_DEP_2)
	v_cndmask_b32_e32 v3, 0x7e, v3, vcc_lo
; %bb.3001:
	s_or_b32 exec_lo, exec_lo, s2
	v_lshrrev_b32_e32 v2, 24, v2
	s_delay_alu instid0(VALU_DEP_1)
	v_and_or_b32 v2, 0x80, v2, v3
	global_store_b8 v[4:5], v2, off
.LBB6_3002:
	s_mov_b32 s2, 0
.LBB6_3003:
	s_delay_alu instid0(SALU_CYCLE_1)
	s_and_not1_b32 vcc_lo, exec_lo, s2
	s_cbranch_vccnz .LBB6_3013
; %bb.3004:
	s_wait_xcnt 0x0
	v_cvt_f32_f64_e32 v2, v[0:1]
	s_mov_b32 s2, exec_lo
                                        ; implicit-def: $vgpr3
	s_delay_alu instid0(VALU_DEP_1) | instskip(NEXT) | instid1(VALU_DEP_1)
	v_and_b32_e32 v6, 0x7fffffff, v2
	v_cmpx_gt_u32_e32 0x47800000, v6
	s_xor_b32 s2, exec_lo, s2
	s_cbranch_execz .LBB6_3010
; %bb.3005:
	s_mov_b32 s3, exec_lo
                                        ; implicit-def: $vgpr3
	v_cmpx_lt_u32_e32 0x387fffff, v6
	s_xor_b32 s3, exec_lo, s3
; %bb.3006:
	v_bfe_u32 v3, v2, 21, 1
	s_delay_alu instid0(VALU_DEP_1) | instskip(NEXT) | instid1(VALU_DEP_1)
	v_add3_u32 v3, v2, v3, 0x80fffff
	v_lshrrev_b32_e32 v3, 21, v3
; %bb.3007:
	s_and_not1_saveexec_b32 s3, s3
; %bb.3008:
	v_add_f32_e64 v3, 0x43000000, |v2|
; %bb.3009:
	s_or_b32 exec_lo, exec_lo, s3
                                        ; implicit-def: $vgpr6
.LBB6_3010:
	s_and_not1_saveexec_b32 s2, s2
; %bb.3011:
	v_mov_b32_e32 v3, 0x7f
	v_cmp_lt_u32_e32 vcc_lo, 0x7f800000, v6
	s_delay_alu instid0(VALU_DEP_2)
	v_cndmask_b32_e32 v3, 0x7c, v3, vcc_lo
; %bb.3012:
	s_or_b32 exec_lo, exec_lo, s2
	v_lshrrev_b32_e32 v2, 24, v2
	s_delay_alu instid0(VALU_DEP_1)
	v_and_or_b32 v2, 0x80, v2, v3
	global_store_b8 v[4:5], v2, off
.LBB6_3013:
	s_mov_b32 s2, 0
.LBB6_3014:
	s_delay_alu instid0(SALU_CYCLE_1)
	s_and_not1_b32 vcc_lo, exec_lo, s2
	s_mov_b32 s2, 0
	s_cbranch_vccnz .LBB6_3021
; %bb.3015:
	s_cmp_gt_i32 s1, 14
	s_mov_b32 s2, -1
	s_cbranch_scc0 .LBB6_3019
; %bb.3016:
	s_cmp_eq_u32 s1, 15
	s_mov_b32 s0, -1
	s_cbranch_scc0 .LBB6_3018
; %bb.3017:
	s_wait_xcnt 0x0
	v_cvt_f32_f64_e32 v2, v[0:1]
	s_mov_b32 s0, 0
	s_delay_alu instid0(VALU_DEP_1) | instskip(SKIP_1) | instid1(VALU_DEP_2)
	v_bfe_u32 v3, v2, 16, 1
	v_cmp_o_f32_e32 vcc_lo, v2, v2
	v_add3_u32 v3, v2, v3, 0x7fff
	s_delay_alu instid0(VALU_DEP_1) | instskip(NEXT) | instid1(VALU_DEP_1)
	v_lshrrev_b32_e32 v3, 16, v3
	v_cndmask_b32_e32 v2, 0x7fc0, v3, vcc_lo
	global_store_b16 v[4:5], v2, off
.LBB6_3018:
	s_mov_b32 s2, 0
.LBB6_3019:
	s_delay_alu instid0(SALU_CYCLE_1)
	s_and_b32 vcc_lo, exec_lo, s2
	s_mov_b32 s2, 0
	s_cbranch_vccz .LBB6_3021
; %bb.3020:
	s_cmp_lg_u32 s1, 11
	s_mov_b32 s2, -1
	s_cselect_b32 s0, -1, 0
.LBB6_3021:
	s_delay_alu instid0(SALU_CYCLE_1)
	s_and_b32 vcc_lo, exec_lo, s0
	s_cbranch_vccnz .LBB6_3087
.LBB6_3022:
	s_mov_b32 s0, 0
	s_branch .LBB6_3024
.LBB6_3023:
	s_mov_b32 s0, 0
	s_mov_b32 s2, 0
                                        ; implicit-def: $sgpr16
                                        ; implicit-def: $vgpr4_vgpr5
                                        ; implicit-def: $vgpr0_vgpr1
.LBB6_3024:
	s_and_not1_b32 s1, s15, exec_lo
	s_and_b32 s3, s12, exec_lo
	s_and_b32 s0, s0, exec_lo
	;; [unrolled: 1-line block ×3, first 2 shown]
	s_or_b32 s15, s1, s3
.LBB6_3025:
	s_wait_xcnt 0x0
	s_or_b32 exec_lo, exec_lo, s14
	s_and_saveexec_b32 s1, s15
	s_cbranch_execz .LBB6_3028
; %bb.3026:
	; divergent unreachable
	s_or_b32 exec_lo, exec_lo, s1
	s_and_saveexec_b32 s1, s12
	s_delay_alu instid0(SALU_CYCLE_1)
	s_xor_b32 s1, exec_lo, s1
	s_cbranch_execnz .LBB6_3029
.LBB6_3027:
	s_or_b32 exec_lo, exec_lo, s1
	s_and_saveexec_b32 s1, s0
	s_cbranch_execnz .LBB6_3030
	s_branch .LBB6_3067
.LBB6_3028:
	s_or_b32 exec_lo, exec_lo, s1
	s_and_saveexec_b32 s1, s12
	s_delay_alu instid0(SALU_CYCLE_1)
	s_xor_b32 s1, exec_lo, s1
	s_cbranch_execz .LBB6_3027
.LBB6_3029:
	s_wait_loadcnt 0x0
	s_delay_alu instid0(VALU_DEP_1)
	v_cmp_neq_f64_e32 vcc_lo, 0, v[0:1]
	v_cndmask_b32_e64 v2, 0, 1, vcc_lo
	global_store_b8 v[4:5], v2, off
	s_wait_xcnt 0x0
	s_or_b32 exec_lo, exec_lo, s1
	s_and_saveexec_b32 s1, s0
	s_cbranch_execz .LBB6_3067
.LBB6_3030:
	s_sext_i32_i16 s1, s16
	s_mov_b32 s0, -1
	s_cmp_lt_i32 s1, 5
	s_cbranch_scc1 .LBB6_3051
; %bb.3031:
	s_cmp_lt_i32 s1, 8
	s_cbranch_scc1 .LBB6_3041
; %bb.3032:
	;; [unrolled: 3-line block ×3, first 2 shown]
	s_cmp_gt_i32 s1, 9
	s_cbranch_scc0 .LBB6_3035
; %bb.3034:
	s_wait_loadcnt 0x0
	v_mov_b32_e32 v2, 0
	s_mov_b32 s0, 0
	s_delay_alu instid0(VALU_DEP_1)
	v_mov_b32_e32 v3, v2
	global_store_b128 v[4:5], v[0:3], off
.LBB6_3035:
	s_and_not1_b32 vcc_lo, exec_lo, s0
	s_cbranch_vccnz .LBB6_3037
; %bb.3036:
	s_wait_loadcnt 0x0
	v_cvt_f32_f64_e32 v2, v[0:1]
	v_mov_b32_e32 v3, 0
	global_store_b64 v[4:5], v[2:3], off
.LBB6_3037:
	s_mov_b32 s0, 0
.LBB6_3038:
	s_delay_alu instid0(SALU_CYCLE_1)
	s_and_not1_b32 vcc_lo, exec_lo, s0
	s_cbranch_vccnz .LBB6_3040
; %bb.3039:
	s_wait_loadcnt 0x0
	v_and_or_b32 v2, 0x1ff, v1, v0
	v_lshrrev_b32_e32 v3, 8, v1
	v_bfe_u32 v6, v1, 20, 11
	s_delay_alu instid0(VALU_DEP_3) | instskip(NEXT) | instid1(VALU_DEP_2)
	v_cmp_ne_u32_e32 vcc_lo, 0, v2
	v_sub_nc_u32_e32 v7, 0x3f1, v6
	v_cndmask_b32_e64 v2, 0, 1, vcc_lo
	s_delay_alu instid0(VALU_DEP_1) | instskip(NEXT) | instid1(VALU_DEP_3)
	v_and_or_b32 v2, 0xffe, v3, v2
	v_med3_i32 v3, v7, 0, 13
	s_delay_alu instid0(VALU_DEP_2) | instskip(NEXT) | instid1(VALU_DEP_1)
	v_or_b32_e32 v7, 0x1000, v2
	v_lshrrev_b32_e32 v8, v3, v7
	s_delay_alu instid0(VALU_DEP_1) | instskip(NEXT) | instid1(VALU_DEP_1)
	v_lshlrev_b32_e32 v3, v3, v8
	v_cmp_ne_u32_e32 vcc_lo, v3, v7
	v_cndmask_b32_e64 v3, 0, 1, vcc_lo
	s_delay_alu instid0(VALU_DEP_1) | instskip(SKIP_1) | instid1(VALU_DEP_1)
	v_or_b32_e32 v3, v8, v3
	v_add_nc_u32_e32 v6, 0xfffffc10, v6
	v_lshl_or_b32 v7, v6, 12, v2
	v_cmp_gt_i32_e32 vcc_lo, 1, v6
	s_delay_alu instid0(VALU_DEP_2) | instskip(NEXT) | instid1(VALU_DEP_1)
	v_cndmask_b32_e32 v3, v7, v3, vcc_lo
	v_dual_lshrrev_b32 v3, 2, v3 :: v_dual_bitop2_b32 v7, 7, v3 bitop3:0x40
	s_delay_alu instid0(VALU_DEP_1) | instskip(SKIP_4) | instid1(VALU_DEP_2)
	v_cmp_lt_i32_e32 vcc_lo, 5, v7
	v_cndmask_b32_e64 v8, 0, 1, vcc_lo
	v_cmp_eq_u32_e32 vcc_lo, 3, v7
	v_cndmask_b32_e64 v7, 0, 1, vcc_lo
	v_cmp_ne_u32_e32 vcc_lo, 0, v2
	v_or_b32_e32 v7, v7, v8
	s_delay_alu instid0(VALU_DEP_1) | instskip(NEXT) | instid1(VALU_DEP_1)
	v_dual_mov_b32 v8, 0x7e00 :: v_dual_add_nc_u32 v3, v3, v7
	v_cndmask_b32_e32 v2, 0x7c00, v8, vcc_lo
	v_cmp_gt_i32_e32 vcc_lo, 31, v6
	v_lshrrev_b32_e32 v7, 16, v1
	s_delay_alu instid0(VALU_DEP_4) | instskip(SKIP_1) | instid1(VALU_DEP_2)
	v_cndmask_b32_e32 v3, 0x7c00, v3, vcc_lo
	v_cmp_eq_u32_e32 vcc_lo, 0x40f, v6
	v_cndmask_b32_e32 v2, v3, v2, vcc_lo
	s_delay_alu instid0(VALU_DEP_4) | instskip(NEXT) | instid1(VALU_DEP_1)
	v_and_b32_e32 v3, 0x8000, v7
	v_bitop3_b32 v2, v3, 0xffff, v2 bitop3:0xc8
	global_store_b32 v[4:5], v2, off
.LBB6_3040:
	s_mov_b32 s0, 0
.LBB6_3041:
	s_delay_alu instid0(SALU_CYCLE_1)
	s_and_not1_b32 vcc_lo, exec_lo, s0
	s_cbranch_vccnz .LBB6_3050
; %bb.3042:
	s_sext_i32_i16 s1, s16
	s_mov_b32 s0, -1
	s_cmp_lt_i32 s1, 6
	s_cbranch_scc1 .LBB6_3048
; %bb.3043:
	s_cmp_gt_i32 s1, 6
	s_cbranch_scc0 .LBB6_3045
; %bb.3044:
	s_mov_b32 s0, 0
	s_wait_loadcnt 0x0
	global_store_b64 v[4:5], v[0:1], off
.LBB6_3045:
	s_and_not1_b32 vcc_lo, exec_lo, s0
	s_cbranch_vccnz .LBB6_3047
; %bb.3046:
	s_wait_loadcnt 0x0
	v_cvt_f32_f64_e32 v2, v[0:1]
	global_store_b32 v[4:5], v2, off
.LBB6_3047:
	s_mov_b32 s0, 0
.LBB6_3048:
	s_delay_alu instid0(SALU_CYCLE_1)
	s_and_not1_b32 vcc_lo, exec_lo, s0
	s_cbranch_vccnz .LBB6_3050
; %bb.3049:
	s_wait_loadcnt 0x0
	v_and_or_b32 v2, 0x1ff, v1, v0
	v_lshrrev_b32_e32 v3, 8, v1
	v_bfe_u32 v6, v1, 20, 11
	s_delay_alu instid0(VALU_DEP_3) | instskip(NEXT) | instid1(VALU_DEP_2)
	v_cmp_ne_u32_e32 vcc_lo, 0, v2
	v_sub_nc_u32_e32 v7, 0x3f1, v6
	v_cndmask_b32_e64 v2, 0, 1, vcc_lo
	s_delay_alu instid0(VALU_DEP_1) | instskip(NEXT) | instid1(VALU_DEP_3)
	v_and_or_b32 v2, 0xffe, v3, v2
	v_med3_i32 v3, v7, 0, 13
	s_delay_alu instid0(VALU_DEP_2) | instskip(NEXT) | instid1(VALU_DEP_1)
	v_or_b32_e32 v7, 0x1000, v2
	v_lshrrev_b32_e32 v8, v3, v7
	s_delay_alu instid0(VALU_DEP_1) | instskip(NEXT) | instid1(VALU_DEP_1)
	v_lshlrev_b32_e32 v3, v3, v8
	v_cmp_ne_u32_e32 vcc_lo, v3, v7
	v_cndmask_b32_e64 v3, 0, 1, vcc_lo
	s_delay_alu instid0(VALU_DEP_1) | instskip(SKIP_1) | instid1(VALU_DEP_1)
	v_or_b32_e32 v3, v8, v3
	v_add_nc_u32_e32 v6, 0xfffffc10, v6
	v_lshl_or_b32 v7, v6, 12, v2
	v_cmp_gt_i32_e32 vcc_lo, 1, v6
	s_delay_alu instid0(VALU_DEP_2) | instskip(NEXT) | instid1(VALU_DEP_1)
	v_cndmask_b32_e32 v3, v7, v3, vcc_lo
	v_dual_lshrrev_b32 v3, 2, v3 :: v_dual_bitop2_b32 v7, 7, v3 bitop3:0x40
	s_delay_alu instid0(VALU_DEP_1) | instskip(SKIP_4) | instid1(VALU_DEP_2)
	v_cmp_lt_i32_e32 vcc_lo, 5, v7
	v_cndmask_b32_e64 v8, 0, 1, vcc_lo
	v_cmp_eq_u32_e32 vcc_lo, 3, v7
	v_cndmask_b32_e64 v7, 0, 1, vcc_lo
	v_cmp_ne_u32_e32 vcc_lo, 0, v2
	v_or_b32_e32 v7, v7, v8
	s_delay_alu instid0(VALU_DEP_1) | instskip(NEXT) | instid1(VALU_DEP_1)
	v_dual_mov_b32 v8, 0x7e00 :: v_dual_add_nc_u32 v3, v3, v7
	v_cndmask_b32_e32 v2, 0x7c00, v8, vcc_lo
	v_cmp_gt_i32_e32 vcc_lo, 31, v6
	s_delay_alu instid0(VALU_DEP_3) | instskip(SKIP_1) | instid1(VALU_DEP_2)
	v_cndmask_b32_e32 v3, 0x7c00, v3, vcc_lo
	v_cmp_eq_u32_e32 vcc_lo, 0x40f, v6
	v_dual_cndmask_b32 v2, v3, v2 :: v_dual_lshrrev_b32 v3, 16, v1
	s_delay_alu instid0(VALU_DEP_1)
	v_and_or_b32 v2, 0x8000, v3, v2
	global_store_b16 v[4:5], v2, off
.LBB6_3050:
	s_mov_b32 s0, 0
.LBB6_3051:
	s_delay_alu instid0(SALU_CYCLE_1)
	s_and_not1_b32 vcc_lo, exec_lo, s0
	s_cbranch_vccnz .LBB6_3067
; %bb.3052:
	s_sext_i32_i16 s1, s16
	s_mov_b32 s0, -1
	s_cmp_lt_i32 s1, 2
	s_cbranch_scc1 .LBB6_3062
; %bb.3053:
	s_cmp_lt_i32 s1, 3
	s_cbranch_scc1 .LBB6_3059
; %bb.3054:
	s_cmp_gt_i32 s1, 3
	s_cbranch_scc0 .LBB6_3056
; %bb.3055:
	s_wait_loadcnt 0x0
	v_trunc_f64_e32 v[2:3], v[0:1]
	s_mov_b32 s0, 0
	s_delay_alu instid0(VALU_DEP_1) | instskip(NEXT) | instid1(VALU_DEP_1)
	v_ldexp_f64 v[6:7], v[2:3], 0xffffffe0
	v_floor_f64_e32 v[6:7], v[6:7]
	s_delay_alu instid0(VALU_DEP_1) | instskip(SKIP_1) | instid1(VALU_DEP_2)
	v_fmamk_f64 v[2:3], v[6:7], 0xc1f00000, v[2:3]
	v_cvt_i32_f64_e32 v7, v[6:7]
	v_cvt_u32_f64_e32 v6, v[2:3]
	global_store_b64 v[4:5], v[6:7], off
.LBB6_3056:
	s_and_not1_b32 vcc_lo, exec_lo, s0
	s_cbranch_vccnz .LBB6_3058
; %bb.3057:
	s_wait_loadcnt 0x0
	v_cvt_i32_f64_e32 v2, v[0:1]
	global_store_b32 v[4:5], v2, off
.LBB6_3058:
	s_mov_b32 s0, 0
.LBB6_3059:
	s_delay_alu instid0(SALU_CYCLE_1)
	s_and_not1_b32 vcc_lo, exec_lo, s0
	s_cbranch_vccnz .LBB6_3061
; %bb.3060:
	s_wait_loadcnt 0x0
	v_cvt_i32_f64_e32 v2, v[0:1]
	global_store_b16 v[4:5], v2, off
.LBB6_3061:
	s_mov_b32 s0, 0
.LBB6_3062:
	s_delay_alu instid0(SALU_CYCLE_1)
	s_and_not1_b32 vcc_lo, exec_lo, s0
	s_cbranch_vccnz .LBB6_3067
; %bb.3063:
	s_sext_i32_i16 s0, s16
	s_delay_alu instid0(SALU_CYCLE_1)
	s_cmp_gt_i32 s0, 0
	s_mov_b32 s0, -1
	s_cbranch_scc0 .LBB6_3065
; %bb.3064:
	s_wait_loadcnt 0x0
	v_cvt_i32_f64_e32 v2, v[0:1]
	s_mov_b32 s0, 0
	global_store_b8 v[4:5], v2, off
.LBB6_3065:
	s_and_not1_b32 vcc_lo, exec_lo, s0
	s_cbranch_vccnz .LBB6_3067
; %bb.3066:
	s_wait_loadcnt 0x0
	v_trunc_f64_e32 v[0:1], v[0:1]
	s_delay_alu instid0(VALU_DEP_1) | instskip(NEXT) | instid1(VALU_DEP_1)
	v_ldexp_f64 v[2:3], v[0:1], 0xffffffe0
	v_floor_f64_e32 v[2:3], v[2:3]
	s_delay_alu instid0(VALU_DEP_1) | instskip(NEXT) | instid1(VALU_DEP_1)
	v_fmamk_f64 v[0:1], v[2:3], 0xc1f00000, v[0:1]
	v_cvt_u32_f64_e32 v0, v[0:1]
	global_store_b8 v[4:5], v0, off
	s_endpgm
.LBB6_3067:
	s_endpgm
.LBB6_3068:
	s_mov_b32 s2, 0
	s_mov_b32 s0, -1
	s_branch .LBB6_3024
.LBB6_3069:
	s_or_b32 s12, s12, exec_lo
	s_trap 2
	s_cbranch_execz .LBB6_2538
	s_branch .LBB6_2539
.LBB6_3070:
	s_and_not1_saveexec_b32 s7, s7
	s_cbranch_execz .LBB6_2618
.LBB6_3071:
	v_add_f32_e64 v3, 0x46000000, |v2|
	s_and_not1_b32 s6, s6, exec_lo
	s_delay_alu instid0(VALU_DEP_1) | instskip(NEXT) | instid1(VALU_DEP_1)
	v_and_b32_e32 v3, 0xff, v3
	v_cmp_ne_u32_e32 vcc_lo, 0, v3
	s_and_b32 s9, vcc_lo, exec_lo
	s_delay_alu instid0(SALU_CYCLE_1)
	s_or_b32 s6, s6, s9
	s_or_b32 exec_lo, exec_lo, s7
	v_mov_b32_e32 v17, 0
	s_and_saveexec_b32 s7, s6
	s_cbranch_execnz .LBB6_2619
	s_branch .LBB6_2620
.LBB6_3072:
	s_or_b32 s12, s12, exec_lo
	s_trap 2
	s_cbranch_execz .LBB6_2666
	s_branch .LBB6_2667
.LBB6_3073:
	s_and_not1_saveexec_b32 s6, s6
	s_cbranch_execz .LBB6_2631
.LBB6_3074:
	v_add_f32_e64 v3, 0x42800000, |v2|
	s_and_not1_b32 s3, s3, exec_lo
	s_delay_alu instid0(VALU_DEP_1) | instskip(NEXT) | instid1(VALU_DEP_1)
	v_and_b32_e32 v3, 0xff, v3
	v_cmp_ne_u32_e32 vcc_lo, 0, v3
	s_and_b32 s7, vcc_lo, exec_lo
	s_delay_alu instid0(SALU_CYCLE_1)
	s_or_b32 s3, s3, s7
	s_or_b32 exec_lo, exec_lo, s6
	v_mov_b32_e32 v17, 0
	s_and_saveexec_b32 s6, s3
	s_cbranch_execnz .LBB6_2632
	s_branch .LBB6_2633
.LBB6_3075:
	s_and_not1_saveexec_b32 s8, s8
	s_cbranch_execz .LBB6_2737
.LBB6_3076:
	v_add_f32_e64 v3, 0x46000000, |v2|
	s_and_not1_b32 s7, s7, exec_lo
	s_delay_alu instid0(VALU_DEP_1) | instskip(NEXT) | instid1(VALU_DEP_1)
	v_and_b32_e32 v3, 0xff, v3
	v_cmp_ne_u32_e32 vcc_lo, 0, v3
	s_and_b32 s9, vcc_lo, exec_lo
	s_delay_alu instid0(SALU_CYCLE_1)
	s_or_b32 s7, s7, s9
	s_or_b32 exec_lo, exec_lo, s8
	v_mov_b32_e32 v4, 0
	s_and_saveexec_b32 s8, s7
	s_cbranch_execnz .LBB6_2738
	s_branch .LBB6_2739
.LBB6_3077:
	s_or_b32 s12, s12, exec_lo
	s_trap 2
	s_cbranch_execz .LBB6_2785
	s_branch .LBB6_2786
.LBB6_3078:
	s_and_not1_saveexec_b32 s7, s7
	s_cbranch_execz .LBB6_2750
.LBB6_3079:
	v_add_f32_e64 v3, 0x42800000, |v2|
	s_and_not1_b32 s6, s6, exec_lo
	s_delay_alu instid0(VALU_DEP_1) | instskip(NEXT) | instid1(VALU_DEP_1)
	v_and_b32_e32 v3, 0xff, v3
	v_cmp_ne_u32_e32 vcc_lo, 0, v3
	s_and_b32 s8, vcc_lo, exec_lo
	s_delay_alu instid0(SALU_CYCLE_1)
	s_or_b32 s6, s6, s8
	s_or_b32 exec_lo, exec_lo, s7
	v_mov_b32_e32 v4, 0
	s_and_saveexec_b32 s7, s6
	s_cbranch_execnz .LBB6_2751
	s_branch .LBB6_2752
.LBB6_3080:
	s_and_not1_saveexec_b32 s8, s8
	s_cbranch_execz .LBB6_2856
.LBB6_3081:
	v_add_f32_e64 v3, 0x46000000, |v2|
	s_and_not1_b32 s7, s7, exec_lo
	s_delay_alu instid0(VALU_DEP_1) | instskip(NEXT) | instid1(VALU_DEP_1)
	v_and_b32_e32 v3, 0xff, v3
	v_cmp_ne_u32_e32 vcc_lo, 0, v3
	s_and_b32 s9, vcc_lo, exec_lo
	s_delay_alu instid0(SALU_CYCLE_1)
	s_or_b32 s7, s7, s9
	s_or_b32 exec_lo, exec_lo, s8
	v_mov_b32_e32 v5, 0
	s_and_saveexec_b32 s8, s7
	s_cbranch_execnz .LBB6_2857
	s_branch .LBB6_2858
.LBB6_3082:
	s_or_b32 s12, s12, exec_lo
	s_trap 2
	s_cbranch_execz .LBB6_2904
	s_branch .LBB6_2905
.LBB6_3083:
	s_and_not1_saveexec_b32 s7, s7
	s_cbranch_execz .LBB6_2869
.LBB6_3084:
	v_add_f32_e64 v3, 0x42800000, |v2|
	s_and_not1_b32 s6, s6, exec_lo
	s_delay_alu instid0(VALU_DEP_1) | instskip(NEXT) | instid1(VALU_DEP_1)
	v_and_b32_e32 v3, 0xff, v3
	v_cmp_ne_u32_e32 vcc_lo, 0, v3
	s_and_b32 s8, vcc_lo, exec_lo
	s_delay_alu instid0(SALU_CYCLE_1)
	s_or_b32 s6, s6, s8
	s_or_b32 exec_lo, exec_lo, s7
	v_mov_b32_e32 v5, 0
	s_and_saveexec_b32 s7, s6
	s_cbranch_execnz .LBB6_2870
	s_branch .LBB6_2871
.LBB6_3085:
	s_and_not1_saveexec_b32 s5, s5
	s_cbranch_execz .LBB6_2976
.LBB6_3086:
	v_add_f32_e64 v3, 0x46000000, |v2|
	s_and_not1_b32 s4, s4, exec_lo
	s_delay_alu instid0(VALU_DEP_1) | instskip(NEXT) | instid1(VALU_DEP_1)
	v_and_b32_e32 v3, 0xff, v3
	v_cmp_ne_u32_e32 vcc_lo, 0, v3
	s_and_b32 s6, vcc_lo, exec_lo
	s_delay_alu instid0(SALU_CYCLE_1)
	s_or_b32 s4, s4, s6
	s_or_b32 exec_lo, exec_lo, s5
	v_mov_b32_e32 v6, 0
	s_and_saveexec_b32 s5, s4
	s_cbranch_execnz .LBB6_2977
	s_branch .LBB6_2978
.LBB6_3087:
	s_mov_b32 s2, 0
	s_or_b32 s12, s12, exec_lo
	s_trap 2
	s_branch .LBB6_3022
.LBB6_3088:
	s_and_not1_saveexec_b32 s4, s4
	s_cbranch_execz .LBB6_2988
.LBB6_3089:
	v_add_f32_e64 v3, 0x42800000, |v2|
	s_and_not1_b32 s3, s3, exec_lo
	s_delay_alu instid0(VALU_DEP_1) | instskip(NEXT) | instid1(VALU_DEP_1)
	v_and_b32_e32 v3, 0xff, v3
	v_cmp_ne_u32_e32 vcc_lo, 0, v3
	s_and_b32 s5, vcc_lo, exec_lo
	s_delay_alu instid0(SALU_CYCLE_1)
	s_or_b32 s3, s3, s5
	s_or_b32 exec_lo, exec_lo, s4
	v_mov_b32_e32 v6, 0
	s_and_saveexec_b32 s4, s3
	s_cbranch_execnz .LBB6_2989
	s_branch .LBB6_2990
	.section	.rodata,"a",@progbits
	.p2align	6, 0x0
	.amdhsa_kernel _ZN2at6native32elementwise_kernel_manual_unrollILi128ELi4EZNS0_15gpu_kernel_implIZZZNS0_12prelu_kernelERNS_14TensorIteratorEENKUlvE_clEvENKUlvE_clEvEUlddE_EEvRNS_18TensorIteratorBaseERKT_EUlibE_EEviT1_
		.amdhsa_group_segment_fixed_size 0
		.amdhsa_private_segment_fixed_size 0
		.amdhsa_kernarg_size 48
		.amdhsa_user_sgpr_count 2
		.amdhsa_user_sgpr_dispatch_ptr 0
		.amdhsa_user_sgpr_queue_ptr 0
		.amdhsa_user_sgpr_kernarg_segment_ptr 1
		.amdhsa_user_sgpr_dispatch_id 0
		.amdhsa_user_sgpr_kernarg_preload_length 0
		.amdhsa_user_sgpr_kernarg_preload_offset 0
		.amdhsa_user_sgpr_private_segment_size 0
		.amdhsa_wavefront_size32 1
		.amdhsa_uses_dynamic_stack 0
		.amdhsa_enable_private_segment 0
		.amdhsa_system_sgpr_workgroup_id_x 1
		.amdhsa_system_sgpr_workgroup_id_y 0
		.amdhsa_system_sgpr_workgroup_id_z 0
		.amdhsa_system_sgpr_workgroup_info 0
		.amdhsa_system_vgpr_workitem_id 0
		.amdhsa_next_free_vgpr 23
		.amdhsa_next_free_sgpr 35
		.amdhsa_named_barrier_count 0
		.amdhsa_reserve_vcc 1
		.amdhsa_float_round_mode_32 0
		.amdhsa_float_round_mode_16_64 0
		.amdhsa_float_denorm_mode_32 3
		.amdhsa_float_denorm_mode_16_64 3
		.amdhsa_fp16_overflow 0
		.amdhsa_memory_ordered 1
		.amdhsa_forward_progress 1
		.amdhsa_inst_pref_size 255
		.amdhsa_round_robin_scheduling 0
		.amdhsa_exception_fp_ieee_invalid_op 0
		.amdhsa_exception_fp_denorm_src 0
		.amdhsa_exception_fp_ieee_div_zero 0
		.amdhsa_exception_fp_ieee_overflow 0
		.amdhsa_exception_fp_ieee_underflow 0
		.amdhsa_exception_fp_ieee_inexact 0
		.amdhsa_exception_int_div_zero 0
	.end_amdhsa_kernel
	.section	.text._ZN2at6native32elementwise_kernel_manual_unrollILi128ELi4EZNS0_15gpu_kernel_implIZZZNS0_12prelu_kernelERNS_14TensorIteratorEENKUlvE_clEvENKUlvE_clEvEUlddE_EEvRNS_18TensorIteratorBaseERKT_EUlibE_EEviT1_,"axG",@progbits,_ZN2at6native32elementwise_kernel_manual_unrollILi128ELi4EZNS0_15gpu_kernel_implIZZZNS0_12prelu_kernelERNS_14TensorIteratorEENKUlvE_clEvENKUlvE_clEvEUlddE_EEvRNS_18TensorIteratorBaseERKT_EUlibE_EEviT1_,comdat
.Lfunc_end6:
	.size	_ZN2at6native32elementwise_kernel_manual_unrollILi128ELi4EZNS0_15gpu_kernel_implIZZZNS0_12prelu_kernelERNS_14TensorIteratorEENKUlvE_clEvENKUlvE_clEvEUlddE_EEvRNS_18TensorIteratorBaseERKT_EUlibE_EEviT1_, .Lfunc_end6-_ZN2at6native32elementwise_kernel_manual_unrollILi128ELi4EZNS0_15gpu_kernel_implIZZZNS0_12prelu_kernelERNS_14TensorIteratorEENKUlvE_clEvENKUlvE_clEvEUlddE_EEvRNS_18TensorIteratorBaseERKT_EUlibE_EEviT1_
                                        ; -- End function
	.set _ZN2at6native32elementwise_kernel_manual_unrollILi128ELi4EZNS0_15gpu_kernel_implIZZZNS0_12prelu_kernelERNS_14TensorIteratorEENKUlvE_clEvENKUlvE_clEvEUlddE_EEvRNS_18TensorIteratorBaseERKT_EUlibE_EEviT1_.num_vgpr, 23
	.set _ZN2at6native32elementwise_kernel_manual_unrollILi128ELi4EZNS0_15gpu_kernel_implIZZZNS0_12prelu_kernelERNS_14TensorIteratorEENKUlvE_clEvENKUlvE_clEvEUlddE_EEvRNS_18TensorIteratorBaseERKT_EUlibE_EEviT1_.num_agpr, 0
	.set _ZN2at6native32elementwise_kernel_manual_unrollILi128ELi4EZNS0_15gpu_kernel_implIZZZNS0_12prelu_kernelERNS_14TensorIteratorEENKUlvE_clEvENKUlvE_clEvEUlddE_EEvRNS_18TensorIteratorBaseERKT_EUlibE_EEviT1_.numbered_sgpr, 35
	.set _ZN2at6native32elementwise_kernel_manual_unrollILi128ELi4EZNS0_15gpu_kernel_implIZZZNS0_12prelu_kernelERNS_14TensorIteratorEENKUlvE_clEvENKUlvE_clEvEUlddE_EEvRNS_18TensorIteratorBaseERKT_EUlibE_EEviT1_.num_named_barrier, 0
	.set _ZN2at6native32elementwise_kernel_manual_unrollILi128ELi4EZNS0_15gpu_kernel_implIZZZNS0_12prelu_kernelERNS_14TensorIteratorEENKUlvE_clEvENKUlvE_clEvEUlddE_EEvRNS_18TensorIteratorBaseERKT_EUlibE_EEviT1_.private_seg_size, 0
	.set _ZN2at6native32elementwise_kernel_manual_unrollILi128ELi4EZNS0_15gpu_kernel_implIZZZNS0_12prelu_kernelERNS_14TensorIteratorEENKUlvE_clEvENKUlvE_clEvEUlddE_EEvRNS_18TensorIteratorBaseERKT_EUlibE_EEviT1_.uses_vcc, 1
	.set _ZN2at6native32elementwise_kernel_manual_unrollILi128ELi4EZNS0_15gpu_kernel_implIZZZNS0_12prelu_kernelERNS_14TensorIteratorEENKUlvE_clEvENKUlvE_clEvEUlddE_EEvRNS_18TensorIteratorBaseERKT_EUlibE_EEviT1_.uses_flat_scratch, 0
	.set _ZN2at6native32elementwise_kernel_manual_unrollILi128ELi4EZNS0_15gpu_kernel_implIZZZNS0_12prelu_kernelERNS_14TensorIteratorEENKUlvE_clEvENKUlvE_clEvEUlddE_EEvRNS_18TensorIteratorBaseERKT_EUlibE_EEviT1_.has_dyn_sized_stack, 0
	.set _ZN2at6native32elementwise_kernel_manual_unrollILi128ELi4EZNS0_15gpu_kernel_implIZZZNS0_12prelu_kernelERNS_14TensorIteratorEENKUlvE_clEvENKUlvE_clEvEUlddE_EEvRNS_18TensorIteratorBaseERKT_EUlibE_EEviT1_.has_recursion, 0
	.set _ZN2at6native32elementwise_kernel_manual_unrollILi128ELi4EZNS0_15gpu_kernel_implIZZZNS0_12prelu_kernelERNS_14TensorIteratorEENKUlvE_clEvENKUlvE_clEvEUlddE_EEvRNS_18TensorIteratorBaseERKT_EUlibE_EEviT1_.has_indirect_call, 0
	.section	.AMDGPU.csdata,"",@progbits
; Kernel info:
; codeLenInByte = 60688
; TotalNumSgprs: 37
; NumVgprs: 23
; ScratchSize: 0
; MemoryBound: 1
; FloatMode: 240
; IeeeMode: 1
; LDSByteSize: 0 bytes/workgroup (compile time only)
; SGPRBlocks: 0
; VGPRBlocks: 1
; NumSGPRsForWavesPerEU: 37
; NumVGPRsForWavesPerEU: 23
; NamedBarCnt: 0
; Occupancy: 16
; WaveLimiterHint : 0
; COMPUTE_PGM_RSRC2:SCRATCH_EN: 0
; COMPUTE_PGM_RSRC2:USER_SGPR: 2
; COMPUTE_PGM_RSRC2:TRAP_HANDLER: 0
; COMPUTE_PGM_RSRC2:TGID_X_EN: 1
; COMPUTE_PGM_RSRC2:TGID_Y_EN: 0
; COMPUTE_PGM_RSRC2:TGID_Z_EN: 0
; COMPUTE_PGM_RSRC2:TIDIG_COMP_CNT: 0
	.section	.text._ZN2at6native32elementwise_kernel_manual_unrollILi128ELi4EZNS0_15gpu_kernel_implIZZZNS0_12prelu_kernelERNS_14TensorIteratorEENKUlvE_clEvENKUlvE_clEvEUlddE_EEvRNS_18TensorIteratorBaseERKT_EUlibE0_EEviT1_,"axG",@progbits,_ZN2at6native32elementwise_kernel_manual_unrollILi128ELi4EZNS0_15gpu_kernel_implIZZZNS0_12prelu_kernelERNS_14TensorIteratorEENKUlvE_clEvENKUlvE_clEvEUlddE_EEvRNS_18TensorIteratorBaseERKT_EUlibE0_EEviT1_,comdat
	.globl	_ZN2at6native32elementwise_kernel_manual_unrollILi128ELi4EZNS0_15gpu_kernel_implIZZZNS0_12prelu_kernelERNS_14TensorIteratorEENKUlvE_clEvENKUlvE_clEvEUlddE_EEvRNS_18TensorIteratorBaseERKT_EUlibE0_EEviT1_ ; -- Begin function _ZN2at6native32elementwise_kernel_manual_unrollILi128ELi4EZNS0_15gpu_kernel_implIZZZNS0_12prelu_kernelERNS_14TensorIteratorEENKUlvE_clEvENKUlvE_clEvEUlddE_EEvRNS_18TensorIteratorBaseERKT_EUlibE0_EEviT1_
	.p2align	8
	.type	_ZN2at6native32elementwise_kernel_manual_unrollILi128ELi4EZNS0_15gpu_kernel_implIZZZNS0_12prelu_kernelERNS_14TensorIteratorEENKUlvE_clEvENKUlvE_clEvEUlddE_EEvRNS_18TensorIteratorBaseERKT_EUlibE0_EEviT1_,@function
_ZN2at6native32elementwise_kernel_manual_unrollILi128ELi4EZNS0_15gpu_kernel_implIZZZNS0_12prelu_kernelERNS_14TensorIteratorEENKUlvE_clEvENKUlvE_clEvEUlddE_EEvRNS_18TensorIteratorBaseERKT_EUlibE0_EEviT1_: ; @_ZN2at6native32elementwise_kernel_manual_unrollILi128ELi4EZNS0_15gpu_kernel_implIZZZNS0_12prelu_kernelERNS_14TensorIteratorEENKUlvE_clEvENKUlvE_clEvEUlddE_EEvRNS_18TensorIteratorBaseERKT_EUlibE0_EEviT1_
; %bb.0:
	s_clause 0x1
	s_load_b32 s26, s[0:1], 0x8
	s_load_b32 s36, s[0:1], 0x0
	s_bfe_u32 s2, ttmp6, 0x4000c
	s_and_b32 s3, ttmp6, 15
	s_add_co_i32 s2, s2, 1
	s_getreg_b32 s4, hwreg(HW_REG_IB_STS2, 6, 4)
	s_mul_i32 s2, ttmp9, s2
	s_mov_b32 s28, 0
	s_add_co_i32 s3, s3, s2
	s_cmp_eq_u32 s4, 0
	s_mov_b32 s25, -1
	s_cselect_b32 s2, ttmp9, s3
	s_mov_b32 s8, 0
	v_lshl_or_b32 v4, s2, 9, v0
	s_add_nc_u64 s[2:3], s[0:1], 8
	s_wait_xcnt 0x0
	s_mov_b32 s0, exec_lo
	s_delay_alu instid0(VALU_DEP_1) | instskip(SKIP_2) | instid1(SALU_CYCLE_1)
	v_or_b32_e32 v3, 0x180, v4
	s_wait_kmcnt 0x0
	s_add_co_i32 s27, s26, -1
	s_cmp_gt_u32 s27, 1
	s_cselect_b32 s29, -1, 0
	v_cmpx_le_i32_e64 s36, v3
	s_xor_b32 s30, exec_lo, s0
	s_cbranch_execz .LBB7_1593
; %bb.1:
	v_mov_b32_e32 v0, 0
	s_cmp_lg_u32 s26, 0
	s_mov_b32 s19, 0
	s_cselect_b32 s37, -1, 0
	s_min_u32 s35, s27, 15
	s_clause 0x1
	global_load_u16 v1, v0, s[2:3] offset:417
	global_load_i8 v2, v0, s[2:3] offset:419
	s_clause 0x5
	s_load_b128 s[8:11], s[2:3], 0x4
	s_load_b64 s[0:1], s[2:3], 0x14
	s_load_b128 s[12:15], s[2:3], 0xc4
	s_load_b64 s[20:21], s[2:3], 0xd4
	s_load_b64 s[16:17], s[2:3], 0x198
	s_load_b128 s[4:7], s[2:3], 0x188
	s_cmp_gt_u32 s26, 1
	s_mov_b32 s23, s19
	s_mov_b32 s40, s19
	;; [unrolled: 1-line block ×3, first 2 shown]
	s_cselect_b32 s34, -1, 0
	s_mov_b32 s38, s19
	s_mov_b32 s41, exec_lo
	s_wait_kmcnt 0x0
	s_mov_b32 s18, s9
	s_mov_b32 s22, s0
	s_wait_loadcnt 0x1
	v_readfirstlane_b32 s31, v1
	s_wait_loadcnt 0x0
	v_readfirstlane_b32 s9, v2
	s_lshr_b32 s33, s31, 8
	v_cmpx_gt_i32_e64 s36, v4
	s_cbranch_execz .LBB7_393
; %bb.2:
	s_and_not1_b32 vcc_lo, exec_lo, s29
	s_cbranch_vccnz .LBB7_8
; %bb.3:
	s_and_not1_b32 vcc_lo, exec_lo, s37
	s_cbranch_vccnz .LBB7_9
; %bb.4:
	v_dual_mov_b32 v0, 0 :: v_dual_mov_b32 v1, v4
	v_dual_mov_b32 v2, 0 :: v_dual_mov_b32 v6, 0
	s_add_co_i32 s0, s35, 1
	s_mov_b64 s[24:25], 0xffffffffffffffe8
	s_and_b32 s0, s0, 30
	s_add_nc_u64 s[24:25], s[2:3], s[24:25]
.LBB7_5:                                ; =>This Inner Loop Header: Depth=1
	s_clause 0x3
	s_load_b128 s[44:47], s[24:25], 0x1c
	s_load_b64 s[38:39], s[24:25], 0x2c
	s_load_b128 s[48:51], s[24:25], 0xdc
	s_load_b64 s[42:43], s[24:25], 0xec
	s_add_co_i32 s0, s0, -2
	s_wait_xcnt 0x0
	s_add_nc_u64 s[24:25], s[24:25], 24
	s_cmp_lg_u32 s0, 0
	s_wait_kmcnt 0x0
	v_mul_hi_u32 v3, s45, v1
	s_delay_alu instid0(VALU_DEP_1) | instskip(NEXT) | instid1(VALU_DEP_1)
	v_add_nc_u32_e32 v3, v1, v3
	v_lshrrev_b32_e32 v3, s46, v3
	s_delay_alu instid0(VALU_DEP_1) | instskip(SKIP_1) | instid1(VALU_DEP_1)
	v_mul_hi_u32 v5, s38, v3
	v_mul_lo_u32 v7, v3, s44
	v_dual_add_nc_u32 v5, v3, v5 :: v_dual_sub_nc_u32 v7, v1, v7
	s_delay_alu instid0(VALU_DEP_1) | instskip(NEXT) | instid1(VALU_DEP_2)
	v_lshrrev_b32_e32 v1, s39, v5
	v_mad_u32 v0, v7, s48, v0
	v_mad_u32 v6, v7, s50, v6
	;; [unrolled: 1-line block ×3, first 2 shown]
	s_delay_alu instid0(VALU_DEP_4) | instskip(NEXT) | instid1(VALU_DEP_1)
	v_mul_lo_u32 v5, v1, s47
	v_sub_nc_u32_e32 v3, v3, v5
	s_delay_alu instid0(VALU_DEP_1)
	v_mad_u32 v0, v3, s51, v0
	v_mad_u32 v6, v3, s43, v6
	;; [unrolled: 1-line block ×3, first 2 shown]
	s_cbranch_scc1 .LBB7_5
; %bb.6:
	s_bitcmp1_b32 s35, 0
	s_cselect_b32 s0, -1, 0
	s_delay_alu instid0(SALU_CYCLE_1)
	s_and_b32 vcc_lo, exec_lo, s0
	s_cbranch_vccnz .LBB7_10
; %bb.7:
	s_clause 0x1
	s_load_b96 s[44:46], s[24:25], 0x1c
	s_load_b96 s[48:50], s[24:25], 0xdc
	s_wait_kmcnt 0x0
	v_mul_hi_u32 v3, s45, v1
	s_delay_alu instid0(VALU_DEP_1) | instskip(NEXT) | instid1(VALU_DEP_1)
	v_add_nc_u32_e32 v3, v1, v3
	v_lshrrev_b32_e32 v3, s46, v3
	s_delay_alu instid0(VALU_DEP_1) | instskip(NEXT) | instid1(VALU_DEP_1)
	v_mul_lo_u32 v3, v3, s44
	v_sub_nc_u32_e32 v1, v1, v3
	s_delay_alu instid0(VALU_DEP_1)
	v_mad_u32 v0, v1, s48, v0
	v_mad_u32 v2, v1, s49, v2
	v_mad_u32 v6, v1, s50, v6
	s_cbranch_execz .LBB7_11
	s_branch .LBB7_13
.LBB7_8:
                                        ; implicit-def: $vgpr6
                                        ; implicit-def: $vgpr2
                                        ; implicit-def: $vgpr0
	s_branch .LBB7_11
.LBB7_9:
	v_dual_mov_b32 v6, 0 :: v_dual_mov_b32 v2, 0
	v_mov_b32_e32 v0, 0
.LBB7_10:
	s_cbranch_execnz .LBB7_13
.LBB7_11:
	v_mov_b32_e32 v5, 0
	s_and_not1_b32 vcc_lo, exec_lo, s34
	s_delay_alu instid0(VALU_DEP_1) | instskip(NEXT) | instid1(VALU_DEP_1)
	v_mul_u64_e32 v[0:1], s[18:19], v[4:5]
	v_add_nc_u32_e32 v0, v4, v1
	s_delay_alu instid0(VALU_DEP_1) | instskip(NEXT) | instid1(VALU_DEP_1)
	v_lshrrev_b32_e32 v8, s10, v0
	v_mul_lo_u32 v0, v8, s8
	s_delay_alu instid0(VALU_DEP_1) | instskip(NEXT) | instid1(VALU_DEP_1)
	v_sub_nc_u32_e32 v1, v4, v0
	v_mul_lo_u32 v0, v1, s12
	v_mul_lo_u32 v6, v1, s14
	;; [unrolled: 1-line block ×3, first 2 shown]
	s_cbranch_vccnz .LBB7_13
; %bb.12:
	v_mov_b32_e32 v9, v5
	s_delay_alu instid0(VALU_DEP_1) | instskip(NEXT) | instid1(VALU_DEP_1)
	v_mul_u64_e32 v[10:11], s[22:23], v[8:9]
	v_add_nc_u32_e32 v1, v8, v11
	s_delay_alu instid0(VALU_DEP_1) | instskip(NEXT) | instid1(VALU_DEP_1)
	v_lshrrev_b32_e32 v1, s1, v1
	v_mul_lo_u32 v1, v1, s11
	s_delay_alu instid0(VALU_DEP_1) | instskip(NEXT) | instid1(VALU_DEP_1)
	v_sub_nc_u32_e32 v1, v8, v1
	v_mad_u32 v0, v1, s15, v0
	v_mad_u32 v2, v1, s20, v2
	;; [unrolled: 1-line block ×3, first 2 shown]
.LBB7_13:
	v_mov_b32_e32 v3, 0
	s_and_b32 s0, s33, 0xff
	s_delay_alu instid0(SALU_CYCLE_1) | instskip(NEXT) | instid1(VALU_DEP_1)
	s_cmp_lt_i32 s0, 11
	v_add_nc_u64_e32 v[8:9], s[6:7], v[2:3]
	s_cbranch_scc1 .LBB7_20
; %bb.14:
	s_and_b32 s25, 0xffff, s0
	s_delay_alu instid0(SALU_CYCLE_1)
	s_cmp_gt_i32 s25, 25
	s_cbranch_scc0 .LBB7_29
; %bb.15:
	s_cmp_gt_i32 s25, 28
	s_cbranch_scc0 .LBB7_39
; %bb.16:
	;; [unrolled: 3-line block ×4, first 2 shown]
	s_cmp_eq_u32 s25, 46
	s_mov_b32 s39, 0
	s_cbranch_scc0 .LBB7_48
; %bb.19:
	global_load_b32 v1, v[8:9], off
	s_mov_b32 s38, -1
	s_mov_b32 s24, 0
	s_wait_loadcnt 0x0
	v_lshlrev_b32_e32 v1, 16, v1
	s_delay_alu instid0(VALU_DEP_1)
	v_cvt_f64_f32_e32 v[2:3], v1
	s_branch .LBB7_50
.LBB7_20:
	s_mov_b32 s24, 0
	s_mov_b32 s38, 0
                                        ; implicit-def: $vgpr2_vgpr3
	s_cbranch_execnz .LBB7_116
.LBB7_21:
	s_and_not1_b32 vcc_lo, exec_lo, s38
	s_cbranch_vccnz .LBB7_163
.LBB7_22:
	v_mov_b32_e32 v7, 0
	s_and_b32 s0, s9, 0xff
	s_delay_alu instid0(SALU_CYCLE_1) | instskip(NEXT) | instid1(VALU_DEP_1)
	s_cmp_lt_i32 s0, 11
	v_add_nc_u64_e32 v[6:7], s[16:17], v[6:7]
	s_cbranch_scc1 .LBB7_30
; %bb.23:
	s_and_b32 s38, 0xffff, s0
	s_delay_alu instid0(SALU_CYCLE_1)
	s_cmp_gt_i32 s38, 25
	s_cbranch_scc0 .LBB7_40
; %bb.24:
	s_cmp_gt_i32 s38, 28
	s_cbranch_scc0 .LBB7_43
; %bb.25:
	;; [unrolled: 3-line block ×4, first 2 shown]
	s_cmp_eq_u32 s38, 46
	s_mov_b32 s40, 0
	s_cbranch_scc0 .LBB7_164
; %bb.28:
	global_load_b32 v1, v[6:7], off
	s_mov_b32 s39, -1
	s_mov_b32 s25, 0
	s_wait_loadcnt 0x0
	v_lshlrev_b32_e32 v1, 16, v1
	s_delay_alu instid0(VALU_DEP_1)
	v_cvt_f64_f32_e32 v[8:9], v1
	s_branch .LBB7_166
.LBB7_29:
	s_mov_b32 s24, 0
	s_mov_b32 s38, 0
                                        ; implicit-def: $vgpr2_vgpr3
	s_cbranch_execnz .LBB7_81
	s_branch .LBB7_115
.LBB7_30:
	s_mov_b32 s25, 0
	s_mov_b32 s39, 0
                                        ; implicit-def: $vgpr8_vgpr9
	s_cbranch_execnz .LBB7_342
.LBB7_31:
	s_and_not1_b32 vcc_lo, exec_lo, s39
	s_cbranch_vccnz .LBB7_390
.LBB7_32:
	s_wait_loadcnt 0x0
	s_delay_alu instid0(VALU_DEP_1) | instskip(SKIP_2) | instid1(SALU_CYCLE_1)
	v_dual_mul_f64 v[8:9], v[2:3], v[8:9] :: v_dual_mov_b32 v1, 0
	v_cmp_lt_f64_e32 vcc_lo, 0, v[2:3]
	s_and_b32 s38, s31, 0xff
	s_cmp_lt_i32 s38, 11
	s_delay_alu instid0(VALU_DEP_2) | instskip(NEXT) | instid1(VALU_DEP_3)
	v_add_nc_u64_e32 v[6:7], s[4:5], v[0:1]
	v_dual_cndmask_b32 v1, v9, v3 :: v_dual_cndmask_b32 v0, v8, v2
	s_cbranch_scc1 .LBB7_41
; %bb.33:
	s_and_b32 s39, 0xffff, s38
	s_delay_alu instid0(SALU_CYCLE_1)
	s_cmp_gt_i32 s39, 25
	s_cbranch_scc0 .LBB7_44
; %bb.34:
	s_cmp_gt_i32 s39, 28
	s_cbranch_scc0 .LBB7_47
; %bb.35:
	s_cmp_gt_i32 s39, 43
	s_cbranch_scc0 .LBB7_54
; %bb.36:
	s_cmp_gt_i32 s39, 45
	s_cbranch_scc0 .LBB7_169
; %bb.37:
	s_mov_b32 s42, 0
	s_mov_b32 s0, -1
	s_cmp_eq_u32 s39, 46
	s_mov_b32 s40, 0
	s_cbranch_scc0 .LBB7_170
; %bb.38:
	v_cvt_f32_f64_e32 v2, v[0:1]
	s_mov_b32 s40, -1
	s_mov_b32 s0, 0
	s_delay_alu instid0(VALU_DEP_1) | instskip(SKIP_1) | instid1(VALU_DEP_2)
	v_bfe_u32 v3, v2, 16, 1
	v_cmp_o_f32_e32 vcc_lo, v2, v2
	v_add3_u32 v3, v2, v3, 0x7fff
	s_delay_alu instid0(VALU_DEP_1) | instskip(NEXT) | instid1(VALU_DEP_1)
	v_lshrrev_b32_e32 v3, 16, v3
	v_cndmask_b32_e32 v2, 0x7fc0, v3, vcc_lo
	global_store_b32 v[6:7], v2, off
	s_branch .LBB7_170
.LBB7_39:
	s_mov_b32 s39, -1
	s_mov_b32 s24, 0
	s_mov_b32 s38, 0
                                        ; implicit-def: $vgpr2_vgpr3
	s_branch .LBB7_62
.LBB7_40:
	s_mov_b32 s40, -1
	s_mov_b32 s25, 0
	s_mov_b32 s39, 0
                                        ; implicit-def: $vgpr8_vgpr9
	s_branch .LBB7_306
.LBB7_41:
	s_mov_b32 s39, -1
	s_mov_b32 s0, 0
	s_mov_b32 s40, 0
	s_branch .LBB7_239
.LBB7_42:
	s_mov_b32 s39, -1
	s_mov_b32 s24, 0
	s_mov_b32 s38, 0
                                        ; implicit-def: $vgpr2_vgpr3
	s_branch .LBB7_57
.LBB7_43:
	s_mov_b32 s40, -1
	s_mov_b32 s25, 0
	s_mov_b32 s39, 0
                                        ; implicit-def: $vgpr8_vgpr9
	s_branch .LBB7_287
.LBB7_44:
	s_mov_b32 s42, -1
	s_mov_b32 s0, 0
	s_mov_b32 s40, 0
	s_branch .LBB7_197
.LBB7_45:
	s_mov_b32 s39, -1
	s_mov_b32 s24, 0
	s_branch .LBB7_49
.LBB7_46:
	s_mov_b32 s40, -1
	s_mov_b32 s25, 0
	s_mov_b32 s39, 0
                                        ; implicit-def: $vgpr8_vgpr9
	s_branch .LBB7_282
.LBB7_47:
	s_mov_b32 s42, -1
	s_mov_b32 s0, 0
	s_mov_b32 s40, 0
	s_branch .LBB7_180
.LBB7_48:
	s_mov_b32 s24, -1
.LBB7_49:
	s_mov_b32 s38, 0
                                        ; implicit-def: $vgpr2_vgpr3
.LBB7_50:
	s_and_b32 vcc_lo, exec_lo, s39
	s_cbranch_vccz .LBB7_56
; %bb.51:
	s_cmp_eq_u32 s25, 44
	s_cbranch_scc0 .LBB7_55
; %bb.52:
	global_load_u8 v1, v[8:9], off
	s_mov_b32 s24, 0
	s_mov_b32 s38, -1
	s_wait_loadcnt 0x0
	v_cmp_ne_u32_e32 vcc_lo, 0xff, v1
	v_lshlrev_b32_e32 v2, 23, v1
	s_delay_alu instid0(VALU_DEP_1) | instskip(NEXT) | instid1(VALU_DEP_1)
	v_cvt_f64_f32_e32 v[2:3], v2
	v_cndmask_b32_e32 v2, 0x20000000, v2, vcc_lo
	s_delay_alu instid0(VALU_DEP_2) | instskip(SKIP_1) | instid1(VALU_DEP_2)
	v_cndmask_b32_e32 v3, 0x7ff80000, v3, vcc_lo
	v_cmp_ne_u32_e32 vcc_lo, 0, v1
	v_cndmask_b32_e32 v3, 0x38000000, v3, vcc_lo
	s_delay_alu instid0(VALU_DEP_4)
	v_cndmask_b32_e32 v2, 0, v2, vcc_lo
	s_branch .LBB7_56
.LBB7_53:
	s_mov_b32 s40, -1
	s_mov_b32 s25, 0
	s_branch .LBB7_165
.LBB7_54:
	s_mov_b32 s42, -1
	s_mov_b32 s0, 0
	s_mov_b32 s40, 0
	s_branch .LBB7_176
.LBB7_55:
	s_mov_b32 s24, -1
                                        ; implicit-def: $vgpr2_vgpr3
.LBB7_56:
	s_mov_b32 s39, 0
.LBB7_57:
	s_delay_alu instid0(SALU_CYCLE_1)
	s_and_b32 vcc_lo, exec_lo, s39
	s_cbranch_vccz .LBB7_61
; %bb.58:
	s_cmp_eq_u32 s25, 29
	s_cbranch_scc0 .LBB7_60
; %bb.59:
	global_load_b64 v[2:3], v[8:9], off
	s_mov_b32 s38, -1
	s_mov_b32 s24, 0
	s_mov_b32 s39, 0
	s_wait_loadcnt 0x0
	v_cvt_f64_u32_e32 v[10:11], v3
	v_cvt_f64_u32_e32 v[2:3], v2
	s_delay_alu instid0(VALU_DEP_2) | instskip(NEXT) | instid1(VALU_DEP_1)
	v_ldexp_f64 v[10:11], v[10:11], 32
	v_add_f64_e32 v[2:3], v[10:11], v[2:3]
	s_branch .LBB7_62
.LBB7_60:
	s_mov_b32 s24, -1
                                        ; implicit-def: $vgpr2_vgpr3
.LBB7_61:
	s_mov_b32 s39, 0
.LBB7_62:
	s_delay_alu instid0(SALU_CYCLE_1)
	s_and_b32 vcc_lo, exec_lo, s39
	s_cbranch_vccz .LBB7_80
; %bb.63:
	s_cmp_lt_i32 s25, 27
	s_cbranch_scc1 .LBB7_66
; %bb.64:
	s_cmp_gt_i32 s25, 27
	s_cbranch_scc0 .LBB7_67
; %bb.65:
	global_load_b32 v1, v[8:9], off
	s_mov_b32 s38, 0
	s_wait_loadcnt 0x0
	v_cvt_f64_u32_e32 v[2:3], v1
	s_branch .LBB7_68
.LBB7_66:
	s_mov_b32 s38, -1
                                        ; implicit-def: $vgpr2_vgpr3
	s_branch .LBB7_71
.LBB7_67:
	s_mov_b32 s38, -1
                                        ; implicit-def: $vgpr2_vgpr3
.LBB7_68:
	s_delay_alu instid0(SALU_CYCLE_1)
	s_and_not1_b32 vcc_lo, exec_lo, s38
	s_cbranch_vccnz .LBB7_70
; %bb.69:
	global_load_u16 v1, v[8:9], off
	s_wait_loadcnt 0x0
	v_cvt_f64_u32_e32 v[2:3], v1
.LBB7_70:
	s_mov_b32 s38, 0
.LBB7_71:
	s_delay_alu instid0(SALU_CYCLE_1)
	s_and_not1_b32 vcc_lo, exec_lo, s38
	s_cbranch_vccnz .LBB7_79
; %bb.72:
	global_load_u8 v1, v[8:9], off
	s_mov_b32 s38, 0
	s_mov_b32 s39, exec_lo
	s_wait_loadcnt 0x0
	v_cmpx_lt_i16_e32 0x7f, v1
	s_xor_b32 s39, exec_lo, s39
	s_cbranch_execz .LBB7_92
; %bb.73:
	s_mov_b32 s38, -1
	s_mov_b32 s40, exec_lo
	v_cmpx_eq_u16_e32 0x80, v1
; %bb.74:
	s_xor_b32 s38, exec_lo, -1
; %bb.75:
	s_or_b32 exec_lo, exec_lo, s40
	s_delay_alu instid0(SALU_CYCLE_1)
	s_and_b32 s38, s38, exec_lo
	s_or_saveexec_b32 s39, s39
	v_mov_b64_e32 v[2:3], 0x7ff8000020000000
	s_xor_b32 exec_lo, exec_lo, s39
	s_cbranch_execnz .LBB7_93
.LBB7_76:
	s_or_b32 exec_lo, exec_lo, s39
	s_and_saveexec_b32 s39, s38
	s_cbranch_execz .LBB7_78
.LBB7_77:
	v_and_b32_e32 v2, 0xffff, v1
	s_delay_alu instid0(VALU_DEP_1) | instskip(SKIP_1) | instid1(VALU_DEP_2)
	v_and_b32_e32 v3, 7, v2
	v_bfe_u32 v10, v2, 3, 4
	v_clz_i32_u32_e32 v5, v3
	s_delay_alu instid0(VALU_DEP_2) | instskip(NEXT) | instid1(VALU_DEP_2)
	v_cmp_eq_u32_e32 vcc_lo, 0, v10
	v_min_u32_e32 v5, 32, v5
	s_delay_alu instid0(VALU_DEP_1) | instskip(NEXT) | instid1(VALU_DEP_1)
	v_subrev_nc_u32_e32 v7, 28, v5
	v_dual_lshlrev_b32 v2, v7, v2 :: v_dual_sub_nc_u32 v5, 29, v5
	s_delay_alu instid0(VALU_DEP_1) | instskip(NEXT) | instid1(VALU_DEP_1)
	v_dual_lshlrev_b32 v1, 24, v1 :: v_dual_bitop2_b32 v2, 7, v2 bitop3:0x40
	v_dual_cndmask_b32 v2, v3, v2 :: v_dual_cndmask_b32 v5, v10, v5
	s_delay_alu instid0(VALU_DEP_2) | instskip(NEXT) | instid1(VALU_DEP_2)
	v_and_b32_e32 v1, 0x80000000, v1
	v_lshlrev_b32_e32 v2, 20, v2
	s_delay_alu instid0(VALU_DEP_3) | instskip(NEXT) | instid1(VALU_DEP_1)
	v_lshl_add_u32 v3, v5, 23, 0x3b800000
	v_or3_b32 v1, v1, v3, v2
	s_delay_alu instid0(VALU_DEP_1)
	v_cvt_f64_f32_e32 v[2:3], v1
.LBB7_78:
	s_or_b32 exec_lo, exec_lo, s39
.LBB7_79:
	s_mov_b32 s38, -1
.LBB7_80:
	s_branch .LBB7_115
.LBB7_81:
	s_cmp_gt_i32 s25, 22
	s_cbranch_scc0 .LBB7_91
; %bb.82:
	s_cmp_lt_i32 s25, 24
	s_cbranch_scc1 .LBB7_94
; %bb.83:
	s_cmp_gt_i32 s25, 24
	s_cbranch_scc0 .LBB7_95
; %bb.84:
	global_load_u8 v1, v[8:9], off
	s_mov_b32 s38, 0
	s_mov_b32 s39, exec_lo
	s_wait_loadcnt 0x0
	v_cmpx_lt_i16_e32 0x7f, v1
	s_xor_b32 s39, exec_lo, s39
	s_cbranch_execz .LBB7_107
; %bb.85:
	s_mov_b32 s38, -1
	s_mov_b32 s40, exec_lo
	v_cmpx_eq_u16_e32 0x80, v1
; %bb.86:
	s_xor_b32 s38, exec_lo, -1
; %bb.87:
	s_or_b32 exec_lo, exec_lo, s40
	s_delay_alu instid0(SALU_CYCLE_1)
	s_and_b32 s38, s38, exec_lo
	s_or_saveexec_b32 s39, s39
	v_mov_b64_e32 v[2:3], 0x7ff8000020000000
	s_xor_b32 exec_lo, exec_lo, s39
	s_cbranch_execnz .LBB7_108
.LBB7_88:
	s_or_b32 exec_lo, exec_lo, s39
	s_and_saveexec_b32 s39, s38
	s_cbranch_execz .LBB7_90
.LBB7_89:
	v_and_b32_e32 v2, 0xffff, v1
	s_delay_alu instid0(VALU_DEP_1) | instskip(SKIP_1) | instid1(VALU_DEP_2)
	v_and_b32_e32 v3, 3, v2
	v_bfe_u32 v10, v2, 2, 5
	v_clz_i32_u32_e32 v5, v3
	s_delay_alu instid0(VALU_DEP_2) | instskip(NEXT) | instid1(VALU_DEP_2)
	v_cmp_eq_u32_e32 vcc_lo, 0, v10
	v_min_u32_e32 v5, 32, v5
	s_delay_alu instid0(VALU_DEP_1) | instskip(NEXT) | instid1(VALU_DEP_1)
	v_subrev_nc_u32_e32 v7, 29, v5
	v_dual_lshlrev_b32 v2, v7, v2 :: v_dual_sub_nc_u32 v5, 30, v5
	s_delay_alu instid0(VALU_DEP_1) | instskip(NEXT) | instid1(VALU_DEP_1)
	v_dual_lshlrev_b32 v1, 24, v1 :: v_dual_bitop2_b32 v2, 3, v2 bitop3:0x40
	v_dual_cndmask_b32 v2, v3, v2 :: v_dual_cndmask_b32 v5, v10, v5
	s_delay_alu instid0(VALU_DEP_2) | instskip(NEXT) | instid1(VALU_DEP_2)
	v_and_b32_e32 v1, 0x80000000, v1
	v_lshlrev_b32_e32 v2, 21, v2
	s_delay_alu instid0(VALU_DEP_3) | instskip(NEXT) | instid1(VALU_DEP_1)
	v_lshl_add_u32 v3, v5, 23, 0x37800000
	v_or3_b32 v1, v1, v3, v2
	s_delay_alu instid0(VALU_DEP_1)
	v_cvt_f64_f32_e32 v[2:3], v1
.LBB7_90:
	s_or_b32 exec_lo, exec_lo, s39
	s_mov_b32 s38, 0
	s_branch .LBB7_96
.LBB7_91:
	s_mov_b32 s39, -1
                                        ; implicit-def: $vgpr2_vgpr3
	s_branch .LBB7_102
.LBB7_92:
	s_or_saveexec_b32 s39, s39
	v_mov_b64_e32 v[2:3], 0x7ff8000020000000
	s_xor_b32 exec_lo, exec_lo, s39
	s_cbranch_execz .LBB7_76
.LBB7_93:
	v_cmp_ne_u16_e32 vcc_lo, 0, v1
	v_mov_b64_e32 v[2:3], 0
	s_and_not1_b32 s38, s38, exec_lo
	s_and_b32 s40, vcc_lo, exec_lo
	s_delay_alu instid0(SALU_CYCLE_1)
	s_or_b32 s38, s38, s40
	s_or_b32 exec_lo, exec_lo, s39
	s_and_saveexec_b32 s39, s38
	s_cbranch_execnz .LBB7_77
	s_branch .LBB7_78
.LBB7_94:
	s_mov_b32 s38, -1
                                        ; implicit-def: $vgpr2_vgpr3
	s_branch .LBB7_99
.LBB7_95:
	s_mov_b32 s38, -1
                                        ; implicit-def: $vgpr2_vgpr3
.LBB7_96:
	s_delay_alu instid0(SALU_CYCLE_1)
	s_and_b32 vcc_lo, exec_lo, s38
	s_cbranch_vccz .LBB7_98
; %bb.97:
	global_load_u8 v1, v[8:9], off
	s_wait_loadcnt 0x0
	v_lshlrev_b32_e32 v1, 24, v1
	s_delay_alu instid0(VALU_DEP_1) | instskip(NEXT) | instid1(VALU_DEP_1)
	v_and_b32_e32 v2, 0x7f000000, v1
	v_clz_i32_u32_e32 v3, v2
	v_cmp_ne_u32_e32 vcc_lo, 0, v2
	v_add_nc_u32_e32 v7, 0x1000000, v2
	s_delay_alu instid0(VALU_DEP_3) | instskip(NEXT) | instid1(VALU_DEP_1)
	v_min_u32_e32 v3, 32, v3
	v_sub_nc_u32_e64 v3, v3, 4 clamp
	s_delay_alu instid0(VALU_DEP_1) | instskip(NEXT) | instid1(VALU_DEP_1)
	v_dual_lshlrev_b32 v5, v3, v2 :: v_dual_lshlrev_b32 v3, 23, v3
	v_lshrrev_b32_e32 v5, 4, v5
	s_delay_alu instid0(VALU_DEP_1) | instskip(SKIP_1) | instid1(VALU_DEP_2)
	v_sub_nc_u32_e32 v3, v5, v3
	v_ashrrev_i32_e32 v5, 8, v7
	v_add_nc_u32_e32 v3, 0x3c000000, v3
	s_delay_alu instid0(VALU_DEP_1) | instskip(NEXT) | instid1(VALU_DEP_1)
	v_and_or_b32 v3, 0x7f800000, v5, v3
	v_cndmask_b32_e32 v2, 0, v3, vcc_lo
	s_delay_alu instid0(VALU_DEP_1) | instskip(NEXT) | instid1(VALU_DEP_1)
	v_and_or_b32 v1, 0x80000000, v1, v2
	v_cvt_f64_f32_e32 v[2:3], v1
.LBB7_98:
	s_mov_b32 s38, 0
.LBB7_99:
	s_delay_alu instid0(SALU_CYCLE_1)
	s_and_not1_b32 vcc_lo, exec_lo, s38
	s_cbranch_vccnz .LBB7_101
; %bb.100:
	global_load_u8 v1, v[8:9], off
	s_wait_loadcnt 0x0
	v_lshlrev_b32_e32 v2, 25, v1
	v_lshlrev_b16 v1, 8, v1
	s_delay_alu instid0(VALU_DEP_1) | instskip(NEXT) | instid1(VALU_DEP_3)
	v_and_or_b32 v5, 0x7f00, v1, 0.5
	v_lshrrev_b32_e32 v3, 4, v2
	v_bfe_i32 v1, v1, 0, 16
	s_delay_alu instid0(VALU_DEP_3) | instskip(NEXT) | instid1(VALU_DEP_3)
	v_add_f32_e32 v5, -0.5, v5
	v_or_b32_e32 v3, 0x70000000, v3
	s_delay_alu instid0(VALU_DEP_1) | instskip(SKIP_1) | instid1(VALU_DEP_2)
	v_mul_f32_e32 v3, 0x7800000, v3
	v_cmp_gt_u32_e32 vcc_lo, 0x8000000, v2
	v_cndmask_b32_e32 v2, v3, v5, vcc_lo
	s_delay_alu instid0(VALU_DEP_1) | instskip(NEXT) | instid1(VALU_DEP_1)
	v_and_or_b32 v1, 0x80000000, v1, v2
	v_cvt_f64_f32_e32 v[2:3], v1
.LBB7_101:
	s_mov_b32 s39, 0
	s_mov_b32 s38, -1
.LBB7_102:
	s_and_not1_b32 vcc_lo, exec_lo, s39
	s_cbranch_vccnz .LBB7_115
; %bb.103:
	s_cmp_gt_i32 s25, 14
	s_cbranch_scc0 .LBB7_106
; %bb.104:
	s_cmp_eq_u32 s25, 15
	s_cbranch_scc0 .LBB7_109
; %bb.105:
	global_load_u16 v1, v[8:9], off
	s_mov_b32 s38, -1
	s_mov_b32 s24, 0
	s_wait_loadcnt 0x0
	v_lshlrev_b32_e32 v1, 16, v1
	s_delay_alu instid0(VALU_DEP_1)
	v_cvt_f64_f32_e32 v[2:3], v1
	s_branch .LBB7_110
.LBB7_106:
	s_mov_b32 s39, -1
                                        ; implicit-def: $vgpr2_vgpr3
	s_branch .LBB7_111
.LBB7_107:
	s_or_saveexec_b32 s39, s39
	v_mov_b64_e32 v[2:3], 0x7ff8000020000000
	s_xor_b32 exec_lo, exec_lo, s39
	s_cbranch_execz .LBB7_88
.LBB7_108:
	v_cmp_ne_u16_e32 vcc_lo, 0, v1
	v_mov_b64_e32 v[2:3], 0
	s_and_not1_b32 s38, s38, exec_lo
	s_and_b32 s40, vcc_lo, exec_lo
	s_delay_alu instid0(SALU_CYCLE_1)
	s_or_b32 s38, s38, s40
	s_or_b32 exec_lo, exec_lo, s39
	s_and_saveexec_b32 s39, s38
	s_cbranch_execnz .LBB7_89
	s_branch .LBB7_90
.LBB7_109:
	s_mov_b32 s24, -1
                                        ; implicit-def: $vgpr2_vgpr3
.LBB7_110:
	s_mov_b32 s39, 0
.LBB7_111:
	s_delay_alu instid0(SALU_CYCLE_1)
	s_and_b32 vcc_lo, exec_lo, s39
	s_cbranch_vccz .LBB7_115
; %bb.112:
	s_cmp_eq_u32 s25, 11
	s_cbranch_scc0 .LBB7_114
; %bb.113:
	global_load_u8 v1, v[8:9], off
	v_mov_b32_e32 v2, 0
	s_mov_b32 s24, 0
	s_mov_b32 s38, -1
	s_wait_loadcnt 0x0
	v_cmp_ne_u16_e32 vcc_lo, 0, v1
	v_cndmask_b32_e64 v3, 0, 0x3ff00000, vcc_lo
	s_branch .LBB7_115
.LBB7_114:
	s_mov_b32 s24, -1
                                        ; implicit-def: $vgpr2_vgpr3
.LBB7_115:
	s_branch .LBB7_21
.LBB7_116:
	s_and_b32 s0, 0xffff, s0
	s_delay_alu instid0(SALU_CYCLE_1)
	s_cmp_lt_i32 s0, 5
	s_cbranch_scc1 .LBB7_121
; %bb.117:
	s_cmp_lt_i32 s0, 8
	s_cbranch_scc1 .LBB7_122
; %bb.118:
	;; [unrolled: 3-line block ×3, first 2 shown]
	s_cmp_gt_i32 s0, 9
	s_cbranch_scc0 .LBB7_124
; %bb.120:
	global_load_b64 v[2:3], v[8:9], off
	s_mov_b32 s25, 0
	s_branch .LBB7_125
.LBB7_121:
                                        ; implicit-def: $vgpr2_vgpr3
	s_branch .LBB7_143
.LBB7_122:
	s_mov_b32 s25, -1
                                        ; implicit-def: $vgpr2_vgpr3
	s_branch .LBB7_131
.LBB7_123:
	s_mov_b32 s25, -1
                                        ; implicit-def: $vgpr2_vgpr3
	s_branch .LBB7_128
.LBB7_124:
	s_mov_b32 s25, -1
                                        ; implicit-def: $vgpr2_vgpr3
.LBB7_125:
	s_delay_alu instid0(SALU_CYCLE_1)
	s_and_not1_b32 vcc_lo, exec_lo, s25
	s_cbranch_vccnz .LBB7_127
; %bb.126:
	global_load_b32 v1, v[8:9], off
	s_wait_loadcnt 0x0
	v_cvt_f64_f32_e32 v[2:3], v1
.LBB7_127:
	s_mov_b32 s25, 0
.LBB7_128:
	s_delay_alu instid0(SALU_CYCLE_1)
	s_and_not1_b32 vcc_lo, exec_lo, s25
	s_cbranch_vccnz .LBB7_130
; %bb.129:
	global_load_b32 v1, v[8:9], off
	s_wait_loadcnt 0x0
	v_cvt_f32_f16_e32 v1, v1
	s_delay_alu instid0(VALU_DEP_1)
	v_cvt_f64_f32_e32 v[2:3], v1
.LBB7_130:
	s_mov_b32 s25, 0
.LBB7_131:
	s_delay_alu instid0(SALU_CYCLE_1)
	s_and_not1_b32 vcc_lo, exec_lo, s25
	s_cbranch_vccnz .LBB7_142
; %bb.132:
	s_cmp_lt_i32 s0, 6
	s_cbranch_scc1 .LBB7_135
; %bb.133:
	s_cmp_gt_i32 s0, 6
	s_cbranch_scc0 .LBB7_136
; %bb.134:
	s_wait_loadcnt 0x0
	global_load_b64 v[2:3], v[8:9], off
	s_mov_b32 s25, 0
	s_branch .LBB7_137
.LBB7_135:
	s_mov_b32 s25, -1
                                        ; implicit-def: $vgpr2_vgpr3
	s_branch .LBB7_140
.LBB7_136:
	s_mov_b32 s25, -1
                                        ; implicit-def: $vgpr2_vgpr3
.LBB7_137:
	s_delay_alu instid0(SALU_CYCLE_1)
	s_and_not1_b32 vcc_lo, exec_lo, s25
	s_cbranch_vccnz .LBB7_139
; %bb.138:
	global_load_b32 v1, v[8:9], off
	s_wait_loadcnt 0x0
	v_cvt_f64_f32_e32 v[2:3], v1
.LBB7_139:
	s_mov_b32 s25, 0
.LBB7_140:
	s_delay_alu instid0(SALU_CYCLE_1)
	s_and_not1_b32 vcc_lo, exec_lo, s25
	s_cbranch_vccnz .LBB7_142
; %bb.141:
	global_load_u16 v1, v[8:9], off
	s_wait_loadcnt 0x0
	v_cvt_f32_f16_e32 v1, v1
	s_delay_alu instid0(VALU_DEP_1)
	v_cvt_f64_f32_e32 v[2:3], v1
.LBB7_142:
	s_cbranch_execnz .LBB7_162
.LBB7_143:
	s_cmp_lt_i32 s0, 2
	s_cbranch_scc1 .LBB7_147
; %bb.144:
	s_cmp_lt_i32 s0, 3
	s_cbranch_scc1 .LBB7_148
; %bb.145:
	s_cmp_gt_i32 s0, 3
	s_cbranch_scc0 .LBB7_149
; %bb.146:
	s_wait_loadcnt 0x0
	global_load_b64 v[2:3], v[8:9], off
	s_mov_b32 s25, 0
	s_wait_loadcnt 0x0
	v_cvt_f64_i32_e32 v[10:11], v3
	v_cvt_f64_u32_e32 v[2:3], v2
	s_delay_alu instid0(VALU_DEP_2) | instskip(NEXT) | instid1(VALU_DEP_1)
	v_ldexp_f64 v[10:11], v[10:11], 32
	v_add_f64_e32 v[2:3], v[10:11], v[2:3]
	s_branch .LBB7_150
.LBB7_147:
	s_mov_b32 s25, -1
                                        ; implicit-def: $vgpr2_vgpr3
	s_branch .LBB7_156
.LBB7_148:
	s_mov_b32 s25, -1
                                        ; implicit-def: $vgpr2_vgpr3
	s_branch .LBB7_153
.LBB7_149:
	s_mov_b32 s25, -1
                                        ; implicit-def: $vgpr2_vgpr3
.LBB7_150:
	s_delay_alu instid0(SALU_CYCLE_1)
	s_and_not1_b32 vcc_lo, exec_lo, s25
	s_cbranch_vccnz .LBB7_152
; %bb.151:
	global_load_b32 v1, v[8:9], off
	s_wait_loadcnt 0x0
	v_cvt_f64_i32_e32 v[2:3], v1
.LBB7_152:
	s_mov_b32 s25, 0
.LBB7_153:
	s_delay_alu instid0(SALU_CYCLE_1)
	s_and_not1_b32 vcc_lo, exec_lo, s25
	s_cbranch_vccnz .LBB7_155
; %bb.154:
	global_load_i16 v1, v[8:9], off
	s_wait_loadcnt 0x0
	v_cvt_f64_i32_e32 v[2:3], v1
.LBB7_155:
	s_mov_b32 s25, 0
.LBB7_156:
	s_delay_alu instid0(SALU_CYCLE_1)
	s_and_not1_b32 vcc_lo, exec_lo, s25
	s_cbranch_vccnz .LBB7_162
; %bb.157:
	s_cmp_gt_i32 s0, 0
	s_mov_b32 s0, 0
	s_cbranch_scc0 .LBB7_159
; %bb.158:
	global_load_i8 v1, v[8:9], off
	s_wait_loadcnt 0x0
	v_cvt_f64_i32_e32 v[2:3], v1
	s_branch .LBB7_160
.LBB7_159:
	s_mov_b32 s0, -1
                                        ; implicit-def: $vgpr2_vgpr3
.LBB7_160:
	s_delay_alu instid0(SALU_CYCLE_1)
	s_and_not1_b32 vcc_lo, exec_lo, s0
	s_cbranch_vccnz .LBB7_162
; %bb.161:
	global_load_u8 v1, v[8:9], off
	s_wait_loadcnt 0x0
	v_cvt_f64_u32_e32 v[2:3], v1
.LBB7_162:
	s_branch .LBB7_22
.LBB7_163:
	s_mov_b32 s0, 0
	s_mov_b32 s25, 0
	s_branch .LBB7_391
.LBB7_164:
	s_mov_b32 s25, -1
.LBB7_165:
	s_mov_b32 s39, 0
                                        ; implicit-def: $vgpr8_vgpr9
.LBB7_166:
	s_and_b32 vcc_lo, exec_lo, s40
	s_cbranch_vccz .LBB7_281
; %bb.167:
	s_cmp_eq_u32 s38, 44
	s_cbranch_scc0 .LBB7_280
; %bb.168:
	global_load_u8 v1, v[6:7], off
	s_mov_b32 s25, 0
	s_mov_b32 s39, -1
	s_wait_loadcnt 0x0
	v_lshlrev_b32_e32 v5, 23, v1
	v_cmp_ne_u32_e32 vcc_lo, 0xff, v1
	s_delay_alu instid0(VALU_DEP_2) | instskip(NEXT) | instid1(VALU_DEP_1)
	v_cvt_f64_f32_e32 v[8:9], v5
	v_cndmask_b32_e32 v5, 0x20000000, v8, vcc_lo
	s_delay_alu instid0(VALU_DEP_2) | instskip(SKIP_1) | instid1(VALU_DEP_2)
	v_cndmask_b32_e32 v8, 0x7ff80000, v9, vcc_lo
	v_cmp_ne_u32_e32 vcc_lo, 0, v1
	v_cndmask_b32_e32 v9, 0x38000000, v8, vcc_lo
	s_delay_alu instid0(VALU_DEP_4)
	v_cndmask_b32_e32 v8, 0, v5, vcc_lo
	s_branch .LBB7_281
.LBB7_169:
	s_mov_b32 s42, -1
	s_mov_b32 s0, 0
	s_mov_b32 s40, 0
.LBB7_170:
	s_and_b32 vcc_lo, exec_lo, s42
	s_cbranch_vccz .LBB7_175
; %bb.171:
	s_cmp_eq_u32 s39, 44
	s_mov_b32 s0, -1
	s_cbranch_scc0 .LBB7_175
; %bb.172:
	s_wait_xcnt 0x0
	v_cvt_f32_f64_e32 v2, v[0:1]
	v_mov_b32_e32 v3, 0xff
	s_mov_b32 s40, exec_lo
	s_delay_alu instid0(VALU_DEP_2) | instskip(NEXT) | instid1(VALU_DEP_1)
	v_bfe_u32 v5, v2, 23, 8
	v_cmpx_ne_u32_e32 0xff, v5
	s_cbranch_execz .LBB7_174
; %bb.173:
	v_and_b32_e32 v3, 0x400000, v2
	v_and_or_b32 v5, 0x3fffff, v2, v5
	v_lshrrev_b32_e32 v2, 23, v2
	s_delay_alu instid0(VALU_DEP_3) | instskip(NEXT) | instid1(VALU_DEP_3)
	v_cmp_ne_u32_e32 vcc_lo, 0, v3
	v_cmp_ne_u32_e64 s0, 0, v5
	s_and_b32 s0, vcc_lo, s0
	s_delay_alu instid0(SALU_CYCLE_1) | instskip(NEXT) | instid1(VALU_DEP_1)
	v_cndmask_b32_e64 v3, 0, 1, s0
	v_add_nc_u32_e32 v3, v2, v3
.LBB7_174:
	s_or_b32 exec_lo, exec_lo, s40
	s_mov_b32 s40, -1
	s_mov_b32 s0, 0
	global_store_b8 v[6:7], v3, off
.LBB7_175:
	s_mov_b32 s42, 0
.LBB7_176:
	s_delay_alu instid0(SALU_CYCLE_1)
	s_and_b32 vcc_lo, exec_lo, s42
	s_cbranch_vccz .LBB7_179
; %bb.177:
	s_cmp_eq_u32 s39, 29
	s_mov_b32 s0, -1
	s_cbranch_scc0 .LBB7_179
; %bb.178:
	s_wait_xcnt 0x0
	v_trunc_f64_e32 v[2:3], v[0:1]
	s_mov_b32 s40, -1
	s_mov_b32 s0, 0
	s_mov_b32 s42, 0
	s_delay_alu instid0(VALU_DEP_1) | instskip(NEXT) | instid1(VALU_DEP_1)
	v_ldexp_f64 v[8:9], v[2:3], 0xffffffe0
	v_floor_f64_e32 v[8:9], v[8:9]
	s_delay_alu instid0(VALU_DEP_1) | instskip(SKIP_1) | instid1(VALU_DEP_2)
	v_fmamk_f64 v[2:3], v[8:9], 0xc1f00000, v[2:3]
	v_cvt_u32_f64_e32 v9, v[8:9]
	v_cvt_u32_f64_e32 v8, v[2:3]
	global_store_b64 v[6:7], v[8:9], off
	s_branch .LBB7_180
.LBB7_179:
	s_mov_b32 s42, 0
.LBB7_180:
	s_delay_alu instid0(SALU_CYCLE_1)
	s_and_b32 vcc_lo, exec_lo, s42
	s_cbranch_vccz .LBB7_196
; %bb.181:
	s_cmp_lt_i32 s39, 27
	s_mov_b32 s40, -1
	s_cbranch_scc1 .LBB7_187
; %bb.182:
	s_wait_xcnt 0x0
	v_cvt_u32_f64_e32 v2, v[0:1]
	s_cmp_gt_i32 s39, 27
	s_cbranch_scc0 .LBB7_184
; %bb.183:
	s_mov_b32 s40, 0
	global_store_b32 v[6:7], v2, off
.LBB7_184:
	s_and_not1_b32 vcc_lo, exec_lo, s40
	s_cbranch_vccnz .LBB7_186
; %bb.185:
	global_store_b16 v[6:7], v2, off
.LBB7_186:
	s_mov_b32 s40, 0
.LBB7_187:
	s_delay_alu instid0(SALU_CYCLE_1)
	s_and_not1_b32 vcc_lo, exec_lo, s40
	s_cbranch_vccnz .LBB7_195
; %bb.188:
	s_wait_xcnt 0x0
	v_cvt_f32_f64_e32 v2, v[0:1]
	v_mov_b32_e32 v5, 0x80
	s_mov_b32 s40, exec_lo
	s_delay_alu instid0(VALU_DEP_2) | instskip(NEXT) | instid1(VALU_DEP_1)
	v_and_b32_e32 v3, 0x7fffffff, v2
	v_cmpx_gt_u32_e32 0x43800000, v3
	s_cbranch_execz .LBB7_194
; %bb.189:
	v_cmp_lt_u32_e32 vcc_lo, 0x3bffffff, v3
	s_mov_b32 s42, 0
                                        ; implicit-def: $vgpr3
	s_and_saveexec_b32 s43, vcc_lo
	s_delay_alu instid0(SALU_CYCLE_1)
	s_xor_b32 s43, exec_lo, s43
	s_cbranch_execz .LBB7_433
; %bb.190:
	v_bfe_u32 v3, v2, 20, 1
	s_mov_b32 s42, exec_lo
	s_delay_alu instid0(VALU_DEP_1) | instskip(NEXT) | instid1(VALU_DEP_1)
	v_add3_u32 v3, v2, v3, 0x487ffff
	v_lshrrev_b32_e32 v3, 20, v3
	s_and_not1_saveexec_b32 s43, s43
	s_cbranch_execnz .LBB7_434
.LBB7_191:
	s_or_b32 exec_lo, exec_lo, s43
	v_mov_b32_e32 v5, 0
	s_and_saveexec_b32 s43, s42
.LBB7_192:
	v_lshrrev_b32_e32 v2, 24, v2
	s_delay_alu instid0(VALU_DEP_1)
	v_and_or_b32 v5, 0x80, v2, v3
.LBB7_193:
	s_or_b32 exec_lo, exec_lo, s43
.LBB7_194:
	s_delay_alu instid0(SALU_CYCLE_1)
	s_or_b32 exec_lo, exec_lo, s40
	global_store_b8 v[6:7], v5, off
.LBB7_195:
	s_mov_b32 s40, -1
.LBB7_196:
	s_mov_b32 s42, 0
.LBB7_197:
	s_delay_alu instid0(SALU_CYCLE_1)
	s_and_b32 vcc_lo, exec_lo, s42
	s_cbranch_vccz .LBB7_238
; %bb.198:
	s_cmp_gt_i32 s39, 22
	s_mov_b32 s42, -1
	s_cbranch_scc0 .LBB7_230
; %bb.199:
	s_cmp_lt_i32 s39, 24
	s_mov_b32 s40, -1
	s_cbranch_scc1 .LBB7_219
; %bb.200:
	s_cmp_gt_i32 s39, 24
	s_cbranch_scc0 .LBB7_208
; %bb.201:
	s_wait_xcnt 0x0
	v_cvt_f32_f64_e32 v2, v[0:1]
	v_mov_b32_e32 v5, 0x80
	s_mov_b32 s40, exec_lo
	s_delay_alu instid0(VALU_DEP_2) | instskip(NEXT) | instid1(VALU_DEP_1)
	v_and_b32_e32 v3, 0x7fffffff, v2
	v_cmpx_gt_u32_e32 0x47800000, v3
	s_cbranch_execz .LBB7_207
; %bb.202:
	v_cmp_lt_u32_e32 vcc_lo, 0x37ffffff, v3
	s_mov_b32 s42, 0
                                        ; implicit-def: $vgpr3
	s_and_saveexec_b32 s43, vcc_lo
	s_delay_alu instid0(SALU_CYCLE_1)
	s_xor_b32 s43, exec_lo, s43
	s_cbranch_execz .LBB7_552
; %bb.203:
	v_bfe_u32 v3, v2, 21, 1
	s_mov_b32 s42, exec_lo
	s_delay_alu instid0(VALU_DEP_1) | instskip(NEXT) | instid1(VALU_DEP_1)
	v_add3_u32 v3, v2, v3, 0x88fffff
	v_lshrrev_b32_e32 v3, 21, v3
	s_and_not1_saveexec_b32 s43, s43
	s_cbranch_execnz .LBB7_553
.LBB7_204:
	s_or_b32 exec_lo, exec_lo, s43
	v_mov_b32_e32 v5, 0
	s_and_saveexec_b32 s43, s42
.LBB7_205:
	v_lshrrev_b32_e32 v2, 24, v2
	s_delay_alu instid0(VALU_DEP_1)
	v_and_or_b32 v5, 0x80, v2, v3
.LBB7_206:
	s_or_b32 exec_lo, exec_lo, s43
.LBB7_207:
	s_delay_alu instid0(SALU_CYCLE_1)
	s_or_b32 exec_lo, exec_lo, s40
	s_mov_b32 s40, 0
	global_store_b8 v[6:7], v5, off
.LBB7_208:
	s_and_b32 vcc_lo, exec_lo, s40
	s_cbranch_vccz .LBB7_218
; %bb.209:
	s_wait_xcnt 0x0
	v_cvt_f32_f64_e32 v2, v[0:1]
	s_mov_b32 s40, exec_lo
                                        ; implicit-def: $vgpr3
	s_delay_alu instid0(VALU_DEP_1) | instskip(NEXT) | instid1(VALU_DEP_1)
	v_and_b32_e32 v5, 0x7fffffff, v2
	v_cmpx_gt_u32_e32 0x43f00000, v5
	s_xor_b32 s40, exec_lo, s40
	s_cbranch_execz .LBB7_215
; %bb.210:
	s_mov_b32 s42, exec_lo
                                        ; implicit-def: $vgpr3
	v_cmpx_lt_u32_e32 0x3c7fffff, v5
	s_xor_b32 s42, exec_lo, s42
; %bb.211:
	v_bfe_u32 v3, v2, 20, 1
	s_delay_alu instid0(VALU_DEP_1) | instskip(NEXT) | instid1(VALU_DEP_1)
	v_add3_u32 v3, v2, v3, 0x407ffff
	v_and_b32_e32 v5, 0xff00000, v3
	v_lshrrev_b32_e32 v3, 20, v3
	s_delay_alu instid0(VALU_DEP_2) | instskip(NEXT) | instid1(VALU_DEP_2)
	v_cmp_ne_u32_e32 vcc_lo, 0x7f00000, v5
	v_cndmask_b32_e32 v3, 0x7e, v3, vcc_lo
; %bb.212:
	s_and_not1_saveexec_b32 s42, s42
; %bb.213:
	v_add_f32_e64 v3, 0x46800000, |v2|
; %bb.214:
	s_or_b32 exec_lo, exec_lo, s42
                                        ; implicit-def: $vgpr5
.LBB7_215:
	s_and_not1_saveexec_b32 s40, s40
; %bb.216:
	v_mov_b32_e32 v3, 0x7f
	v_cmp_lt_u32_e32 vcc_lo, 0x7f800000, v5
	s_delay_alu instid0(VALU_DEP_2)
	v_cndmask_b32_e32 v3, 0x7e, v3, vcc_lo
; %bb.217:
	s_or_b32 exec_lo, exec_lo, s40
	v_lshrrev_b32_e32 v2, 24, v2
	s_delay_alu instid0(VALU_DEP_1)
	v_and_or_b32 v2, 0x80, v2, v3
	global_store_b8 v[6:7], v2, off
.LBB7_218:
	s_mov_b32 s40, 0
.LBB7_219:
	s_delay_alu instid0(SALU_CYCLE_1)
	s_and_not1_b32 vcc_lo, exec_lo, s40
	s_cbranch_vccnz .LBB7_229
; %bb.220:
	s_wait_xcnt 0x0
	v_cvt_f32_f64_e32 v2, v[0:1]
	s_mov_b32 s40, exec_lo
                                        ; implicit-def: $vgpr3
	s_delay_alu instid0(VALU_DEP_1) | instskip(NEXT) | instid1(VALU_DEP_1)
	v_and_b32_e32 v5, 0x7fffffff, v2
	v_cmpx_gt_u32_e32 0x47800000, v5
	s_xor_b32 s40, exec_lo, s40
	s_cbranch_execz .LBB7_226
; %bb.221:
	s_mov_b32 s42, exec_lo
                                        ; implicit-def: $vgpr3
	v_cmpx_lt_u32_e32 0x387fffff, v5
	s_xor_b32 s42, exec_lo, s42
; %bb.222:
	v_bfe_u32 v3, v2, 21, 1
	s_delay_alu instid0(VALU_DEP_1) | instskip(NEXT) | instid1(VALU_DEP_1)
	v_add3_u32 v3, v2, v3, 0x80fffff
	v_lshrrev_b32_e32 v3, 21, v3
; %bb.223:
	s_and_not1_saveexec_b32 s42, s42
; %bb.224:
	v_add_f32_e64 v3, 0x43000000, |v2|
; %bb.225:
	s_or_b32 exec_lo, exec_lo, s42
                                        ; implicit-def: $vgpr5
.LBB7_226:
	s_and_not1_saveexec_b32 s40, s40
; %bb.227:
	v_mov_b32_e32 v3, 0x7f
	v_cmp_lt_u32_e32 vcc_lo, 0x7f800000, v5
	s_delay_alu instid0(VALU_DEP_2)
	v_cndmask_b32_e32 v3, 0x7c, v3, vcc_lo
; %bb.228:
	s_or_b32 exec_lo, exec_lo, s40
	v_lshrrev_b32_e32 v2, 24, v2
	s_delay_alu instid0(VALU_DEP_1)
	v_and_or_b32 v2, 0x80, v2, v3
	global_store_b8 v[6:7], v2, off
.LBB7_229:
	s_mov_b32 s42, 0
	s_mov_b32 s40, -1
.LBB7_230:
	s_and_not1_b32 vcc_lo, exec_lo, s42
	s_cbranch_vccnz .LBB7_238
; %bb.231:
	s_cmp_gt_i32 s39, 14
	s_mov_b32 s42, -1
	s_cbranch_scc0 .LBB7_235
; %bb.232:
	s_cmp_eq_u32 s39, 15
	s_mov_b32 s0, -1
	s_cbranch_scc0 .LBB7_234
; %bb.233:
	s_wait_xcnt 0x0
	v_cvt_f32_f64_e32 v2, v[0:1]
	s_mov_b32 s40, -1
	s_mov_b32 s0, 0
	s_delay_alu instid0(VALU_DEP_1) | instskip(SKIP_1) | instid1(VALU_DEP_2)
	v_bfe_u32 v3, v2, 16, 1
	v_cmp_o_f32_e32 vcc_lo, v2, v2
	v_add3_u32 v3, v2, v3, 0x7fff
	s_delay_alu instid0(VALU_DEP_1) | instskip(NEXT) | instid1(VALU_DEP_1)
	v_lshrrev_b32_e32 v3, 16, v3
	v_cndmask_b32_e32 v2, 0x7fc0, v3, vcc_lo
	global_store_b16 v[6:7], v2, off
.LBB7_234:
	s_mov_b32 s42, 0
.LBB7_235:
	s_delay_alu instid0(SALU_CYCLE_1)
	s_and_b32 vcc_lo, exec_lo, s42
	s_cbranch_vccz .LBB7_238
; %bb.236:
	s_cmp_eq_u32 s39, 11
	s_mov_b32 s0, -1
	s_cbranch_scc0 .LBB7_238
; %bb.237:
	v_cmp_neq_f64_e32 vcc_lo, 0, v[0:1]
	s_mov_b32 s40, -1
	s_mov_b32 s0, 0
	s_wait_xcnt 0x0
	v_cndmask_b32_e64 v2, 0, 1, vcc_lo
	global_store_b8 v[6:7], v2, off
.LBB7_238:
	s_mov_b32 s39, 0
.LBB7_239:
	s_delay_alu instid0(SALU_CYCLE_1)
	s_and_b32 vcc_lo, exec_lo, s39
	s_cbranch_vccz .LBB7_278
; %bb.240:
	s_and_b32 s38, 0xffff, s38
	s_mov_b32 s39, -1
	s_cmp_lt_i32 s38, 5
	s_cbranch_scc1 .LBB7_261
; %bb.241:
	s_cmp_lt_i32 s38, 8
	s_cbranch_scc1 .LBB7_251
; %bb.242:
	;; [unrolled: 3-line block ×3, first 2 shown]
	s_cmp_gt_i32 s38, 9
	s_cbranch_scc0 .LBB7_245
; %bb.244:
	s_wait_xcnt 0x0
	v_mov_b32_e32 v2, 0
	s_mov_b32 s39, 0
	s_delay_alu instid0(VALU_DEP_1)
	v_mov_b32_e32 v3, v2
	global_store_b128 v[6:7], v[0:3], off
.LBB7_245:
	s_and_not1_b32 vcc_lo, exec_lo, s39
	s_cbranch_vccnz .LBB7_247
; %bb.246:
	s_wait_xcnt 0x0
	v_cvt_f32_f64_e32 v2, v[0:1]
	v_mov_b32_e32 v3, 0
	global_store_b64 v[6:7], v[2:3], off
.LBB7_247:
	s_mov_b32 s39, 0
.LBB7_248:
	s_delay_alu instid0(SALU_CYCLE_1)
	s_and_not1_b32 vcc_lo, exec_lo, s39
	s_cbranch_vccnz .LBB7_250
; %bb.249:
	s_wait_xcnt 0x0
	v_and_or_b32 v2, 0x1ff, v1, v0
	v_lshrrev_b32_e32 v3, 8, v1
	v_bfe_u32 v5, v1, 20, 11
	s_delay_alu instid0(VALU_DEP_3) | instskip(NEXT) | instid1(VALU_DEP_2)
	v_cmp_ne_u32_e32 vcc_lo, 0, v2
	v_sub_nc_u32_e32 v8, 0x3f1, v5
	v_add_nc_u32_e32 v5, 0xfffffc10, v5
	v_cndmask_b32_e64 v2, 0, 1, vcc_lo
	s_delay_alu instid0(VALU_DEP_1) | instskip(NEXT) | instid1(VALU_DEP_4)
	v_and_or_b32 v2, 0xffe, v3, v2
	v_med3_i32 v3, v8, 0, 13
	s_delay_alu instid0(VALU_DEP_2) | instskip(NEXT) | instid1(VALU_DEP_1)
	v_or_b32_e32 v8, 0x1000, v2
	v_lshrrev_b32_e32 v9, v3, v8
	s_delay_alu instid0(VALU_DEP_1) | instskip(NEXT) | instid1(VALU_DEP_1)
	v_lshlrev_b32_e32 v3, v3, v9
	v_cmp_ne_u32_e32 vcc_lo, v3, v8
	v_lshl_or_b32 v8, v5, 12, v2
	v_cndmask_b32_e64 v3, 0, 1, vcc_lo
	v_cmp_gt_i32_e32 vcc_lo, 1, v5
	s_delay_alu instid0(VALU_DEP_2) | instskip(NEXT) | instid1(VALU_DEP_1)
	v_or_b32_e32 v3, v9, v3
	v_cndmask_b32_e32 v3, v8, v3, vcc_lo
	s_delay_alu instid0(VALU_DEP_1) | instskip(NEXT) | instid1(VALU_DEP_1)
	v_dual_lshrrev_b32 v3, 2, v3 :: v_dual_bitop2_b32 v8, 7, v3 bitop3:0x40
	v_cmp_lt_i32_e32 vcc_lo, 5, v8
	v_cndmask_b32_e64 v9, 0, 1, vcc_lo
	v_cmp_eq_u32_e32 vcc_lo, 3, v8
	v_cndmask_b32_e64 v8, 0, 1, vcc_lo
	v_cmp_ne_u32_e32 vcc_lo, 0, v2
	s_delay_alu instid0(VALU_DEP_2) | instskip(SKIP_1) | instid1(VALU_DEP_1)
	v_or_b32_e32 v8, v8, v9
	v_mov_b32_e32 v9, 0x7e00
	v_dual_cndmask_b32 v2, 0x7c00, v9 :: v_dual_add_nc_u32 v3, v3, v8
	v_cmp_gt_i32_e32 vcc_lo, 31, v5
	s_delay_alu instid0(VALU_DEP_2) | instskip(SKIP_1) | instid1(VALU_DEP_2)
	v_dual_cndmask_b32 v3, 0x7c00, v3 :: v_dual_lshrrev_b32 v8, 16, v1
	v_cmp_eq_u32_e32 vcc_lo, 0x40f, v5
	v_cndmask_b32_e32 v2, v3, v2, vcc_lo
	s_delay_alu instid0(VALU_DEP_3) | instskip(NEXT) | instid1(VALU_DEP_1)
	v_and_b32_e32 v3, 0x8000, v8
	v_bitop3_b32 v2, v3, 0xffff, v2 bitop3:0xc8
	global_store_b32 v[6:7], v2, off
.LBB7_250:
	s_mov_b32 s39, 0
.LBB7_251:
	s_delay_alu instid0(SALU_CYCLE_1)
	s_and_not1_b32 vcc_lo, exec_lo, s39
	s_cbranch_vccnz .LBB7_260
; %bb.252:
	s_cmp_lt_i32 s38, 6
	s_mov_b32 s39, -1
	s_cbranch_scc1 .LBB7_258
; %bb.253:
	s_cmp_gt_i32 s38, 6
	s_cbranch_scc0 .LBB7_255
; %bb.254:
	s_mov_b32 s39, 0
	global_store_b64 v[6:7], v[0:1], off
.LBB7_255:
	s_and_not1_b32 vcc_lo, exec_lo, s39
	s_cbranch_vccnz .LBB7_257
; %bb.256:
	s_wait_xcnt 0x0
	v_cvt_f32_f64_e32 v2, v[0:1]
	global_store_b32 v[6:7], v2, off
.LBB7_257:
	s_mov_b32 s39, 0
.LBB7_258:
	s_delay_alu instid0(SALU_CYCLE_1)
	s_and_not1_b32 vcc_lo, exec_lo, s39
	s_cbranch_vccnz .LBB7_260
; %bb.259:
	s_wait_xcnt 0x0
	v_and_or_b32 v2, 0x1ff, v1, v0
	v_lshrrev_b32_e32 v3, 8, v1
	v_bfe_u32 v5, v1, 20, 11
	s_delay_alu instid0(VALU_DEP_3) | instskip(NEXT) | instid1(VALU_DEP_2)
	v_cmp_ne_u32_e32 vcc_lo, 0, v2
	v_sub_nc_u32_e32 v8, 0x3f1, v5
	v_add_nc_u32_e32 v5, 0xfffffc10, v5
	v_cndmask_b32_e64 v2, 0, 1, vcc_lo
	s_delay_alu instid0(VALU_DEP_1) | instskip(NEXT) | instid1(VALU_DEP_4)
	v_and_or_b32 v2, 0xffe, v3, v2
	v_med3_i32 v3, v8, 0, 13
	s_delay_alu instid0(VALU_DEP_2) | instskip(NEXT) | instid1(VALU_DEP_1)
	v_or_b32_e32 v8, 0x1000, v2
	v_lshrrev_b32_e32 v9, v3, v8
	s_delay_alu instid0(VALU_DEP_1) | instskip(NEXT) | instid1(VALU_DEP_1)
	v_lshlrev_b32_e32 v3, v3, v9
	v_cmp_ne_u32_e32 vcc_lo, v3, v8
	v_lshl_or_b32 v8, v5, 12, v2
	v_cndmask_b32_e64 v3, 0, 1, vcc_lo
	v_cmp_gt_i32_e32 vcc_lo, 1, v5
	s_delay_alu instid0(VALU_DEP_2) | instskip(NEXT) | instid1(VALU_DEP_1)
	v_or_b32_e32 v3, v9, v3
	v_cndmask_b32_e32 v3, v8, v3, vcc_lo
	s_delay_alu instid0(VALU_DEP_1) | instskip(NEXT) | instid1(VALU_DEP_1)
	v_dual_lshrrev_b32 v3, 2, v3 :: v_dual_bitop2_b32 v8, 7, v3 bitop3:0x40
	v_cmp_lt_i32_e32 vcc_lo, 5, v8
	v_cndmask_b32_e64 v9, 0, 1, vcc_lo
	v_cmp_eq_u32_e32 vcc_lo, 3, v8
	v_cndmask_b32_e64 v8, 0, 1, vcc_lo
	v_cmp_ne_u32_e32 vcc_lo, 0, v2
	s_delay_alu instid0(VALU_DEP_2) | instskip(SKIP_1) | instid1(VALU_DEP_1)
	v_or_b32_e32 v8, v8, v9
	v_mov_b32_e32 v9, 0x7e00
	v_dual_cndmask_b32 v2, 0x7c00, v9 :: v_dual_add_nc_u32 v3, v3, v8
	v_cmp_gt_i32_e32 vcc_lo, 31, v5
	s_delay_alu instid0(VALU_DEP_2) | instskip(SKIP_1) | instid1(VALU_DEP_2)
	v_cndmask_b32_e32 v3, 0x7c00, v3, vcc_lo
	v_cmp_eq_u32_e32 vcc_lo, 0x40f, v5
	v_dual_cndmask_b32 v2, v3, v2 :: v_dual_lshrrev_b32 v3, 16, v1
	s_delay_alu instid0(VALU_DEP_1)
	v_and_or_b32 v2, 0x8000, v3, v2
	global_store_b16 v[6:7], v2, off
.LBB7_260:
	s_mov_b32 s39, 0
.LBB7_261:
	s_delay_alu instid0(SALU_CYCLE_1)
	s_and_not1_b32 vcc_lo, exec_lo, s39
	s_cbranch_vccnz .LBB7_277
; %bb.262:
	s_cmp_lt_i32 s38, 2
	s_mov_b32 s39, -1
	s_cbranch_scc1 .LBB7_272
; %bb.263:
	s_cmp_lt_i32 s38, 3
	s_cbranch_scc1 .LBB7_269
; %bb.264:
	s_cmp_gt_i32 s38, 3
	s_cbranch_scc0 .LBB7_266
; %bb.265:
	s_wait_xcnt 0x0
	v_trunc_f64_e32 v[2:3], v[0:1]
	s_mov_b32 s39, 0
	s_delay_alu instid0(VALU_DEP_1) | instskip(NEXT) | instid1(VALU_DEP_1)
	v_ldexp_f64 v[8:9], v[2:3], 0xffffffe0
	v_floor_f64_e32 v[8:9], v[8:9]
	s_delay_alu instid0(VALU_DEP_1) | instskip(SKIP_1) | instid1(VALU_DEP_2)
	v_fmamk_f64 v[2:3], v[8:9], 0xc1f00000, v[2:3]
	v_cvt_i32_f64_e32 v9, v[8:9]
	v_cvt_u32_f64_e32 v8, v[2:3]
	global_store_b64 v[6:7], v[8:9], off
.LBB7_266:
	s_and_not1_b32 vcc_lo, exec_lo, s39
	s_cbranch_vccnz .LBB7_268
; %bb.267:
	s_wait_xcnt 0x0
	v_cvt_i32_f64_e32 v2, v[0:1]
	global_store_b32 v[6:7], v2, off
.LBB7_268:
	s_mov_b32 s39, 0
.LBB7_269:
	s_delay_alu instid0(SALU_CYCLE_1)
	s_and_not1_b32 vcc_lo, exec_lo, s39
	s_cbranch_vccnz .LBB7_271
; %bb.270:
	s_wait_xcnt 0x0
	v_cvt_i32_f64_e32 v2, v[0:1]
	global_store_b16 v[6:7], v2, off
.LBB7_271:
	s_mov_b32 s39, 0
.LBB7_272:
	s_delay_alu instid0(SALU_CYCLE_1)
	s_and_not1_b32 vcc_lo, exec_lo, s39
	s_cbranch_vccnz .LBB7_277
; %bb.273:
	s_cmp_gt_i32 s38, 0
	s_mov_b32 s38, -1
	s_cbranch_scc0 .LBB7_275
; %bb.274:
	s_wait_xcnt 0x0
	v_cvt_i32_f64_e32 v2, v[0:1]
	s_mov_b32 s38, 0
	global_store_b8 v[6:7], v2, off
.LBB7_275:
	s_and_not1_b32 vcc_lo, exec_lo, s38
	s_cbranch_vccnz .LBB7_277
; %bb.276:
	s_wait_xcnt 0x0
	v_trunc_f64_e32 v[0:1], v[0:1]
	s_delay_alu instid0(VALU_DEP_1) | instskip(NEXT) | instid1(VALU_DEP_1)
	v_ldexp_f64 v[2:3], v[0:1], 0xffffffe0
	v_floor_f64_e32 v[2:3], v[2:3]
	s_delay_alu instid0(VALU_DEP_1) | instskip(NEXT) | instid1(VALU_DEP_1)
	v_fmamk_f64 v[0:1], v[2:3], 0xc1f00000, v[0:1]
	v_cvt_u32_f64_e32 v0, v[0:1]
	global_store_b8 v[6:7], v0, off
.LBB7_277:
	s_mov_b32 s40, -1
.LBB7_278:
	s_delay_alu instid0(SALU_CYCLE_1)
	s_and_not1_b32 vcc_lo, exec_lo, s40
	s_cbranch_vccnz .LBB7_391
; %bb.279:
	v_add_nc_u32_e32 v4, 0x80, v4
	s_mov_b32 s42, -1
	s_branch .LBB7_392
.LBB7_280:
	s_mov_b32 s25, -1
                                        ; implicit-def: $vgpr8_vgpr9
.LBB7_281:
	s_mov_b32 s40, 0
.LBB7_282:
	s_delay_alu instid0(SALU_CYCLE_1)
	s_and_b32 vcc_lo, exec_lo, s40
	s_cbranch_vccz .LBB7_286
; %bb.283:
	s_cmp_eq_u32 s38, 29
	s_cbranch_scc0 .LBB7_285
; %bb.284:
	global_load_b64 v[8:9], v[6:7], off
	s_mov_b32 s39, -1
	s_mov_b32 s25, 0
	s_mov_b32 s40, 0
	s_wait_loadcnt 0x0
	v_cvt_f64_u32_e32 v[10:11], v9
	v_cvt_f64_u32_e32 v[8:9], v8
	s_delay_alu instid0(VALU_DEP_2) | instskip(NEXT) | instid1(VALU_DEP_1)
	v_ldexp_f64 v[10:11], v[10:11], 32
	v_add_f64_e32 v[8:9], v[10:11], v[8:9]
	s_branch .LBB7_287
.LBB7_285:
	s_mov_b32 s25, -1
                                        ; implicit-def: $vgpr8_vgpr9
.LBB7_286:
	s_mov_b32 s40, 0
.LBB7_287:
	s_delay_alu instid0(SALU_CYCLE_1)
	s_and_b32 vcc_lo, exec_lo, s40
	s_cbranch_vccz .LBB7_305
; %bb.288:
	s_cmp_lt_i32 s38, 27
	s_cbranch_scc1 .LBB7_291
; %bb.289:
	s_cmp_gt_i32 s38, 27
	s_cbranch_scc0 .LBB7_292
; %bb.290:
	global_load_b32 v1, v[6:7], off
	s_mov_b32 s39, 0
	s_wait_loadcnt 0x0
	v_cvt_f64_u32_e32 v[8:9], v1
	s_branch .LBB7_293
.LBB7_291:
	s_mov_b32 s39, -1
                                        ; implicit-def: $vgpr8_vgpr9
	s_branch .LBB7_296
.LBB7_292:
	s_mov_b32 s39, -1
                                        ; implicit-def: $vgpr8_vgpr9
.LBB7_293:
	s_delay_alu instid0(SALU_CYCLE_1)
	s_and_not1_b32 vcc_lo, exec_lo, s39
	s_cbranch_vccnz .LBB7_295
; %bb.294:
	global_load_u16 v1, v[6:7], off
	s_wait_loadcnt 0x0
	v_cvt_f64_u32_e32 v[8:9], v1
.LBB7_295:
	s_mov_b32 s39, 0
.LBB7_296:
	s_delay_alu instid0(SALU_CYCLE_1)
	s_and_not1_b32 vcc_lo, exec_lo, s39
	s_cbranch_vccnz .LBB7_304
; %bb.297:
	global_load_u8 v1, v[6:7], off
	s_mov_b32 s39, 0
	s_mov_b32 s40, exec_lo
	s_wait_loadcnt 0x0
	v_cmpx_lt_i16_e32 0x7f, v1
	s_xor_b32 s40, exec_lo, s40
	s_cbranch_execz .LBB7_318
; %bb.298:
	s_mov_b32 s39, -1
	s_mov_b32 s42, exec_lo
	v_cmpx_eq_u16_e32 0x80, v1
; %bb.299:
	s_xor_b32 s39, exec_lo, -1
; %bb.300:
	s_or_b32 exec_lo, exec_lo, s42
	s_delay_alu instid0(SALU_CYCLE_1)
	s_and_b32 s39, s39, exec_lo
	s_or_saveexec_b32 s40, s40
	v_mov_b64_e32 v[8:9], 0x7ff8000020000000
	s_xor_b32 exec_lo, exec_lo, s40
	s_cbranch_execnz .LBB7_319
.LBB7_301:
	s_or_b32 exec_lo, exec_lo, s40
	s_and_saveexec_b32 s40, s39
	s_cbranch_execz .LBB7_303
.LBB7_302:
	v_and_b32_e32 v5, 0xffff, v1
	v_lshlrev_b32_e32 v1, 24, v1
	s_delay_alu instid0(VALU_DEP_2) | instskip(SKIP_1) | instid1(VALU_DEP_3)
	v_and_b32_e32 v8, 7, v5
	v_bfe_u32 v11, v5, 3, 4
	v_and_b32_e32 v1, 0x80000000, v1
	s_delay_alu instid0(VALU_DEP_3) | instskip(NEXT) | instid1(VALU_DEP_3)
	v_clz_i32_u32_e32 v9, v8
	v_cmp_eq_u32_e32 vcc_lo, 0, v11
	s_delay_alu instid0(VALU_DEP_2) | instskip(NEXT) | instid1(VALU_DEP_1)
	v_min_u32_e32 v9, 32, v9
	v_subrev_nc_u32_e32 v10, 28, v9
	v_sub_nc_u32_e32 v9, 29, v9
	s_delay_alu instid0(VALU_DEP_2) | instskip(NEXT) | instid1(VALU_DEP_2)
	v_lshlrev_b32_e32 v5, v10, v5
	v_cndmask_b32_e32 v9, v11, v9, vcc_lo
	s_delay_alu instid0(VALU_DEP_2) | instskip(NEXT) | instid1(VALU_DEP_1)
	v_and_b32_e32 v5, 7, v5
	v_cndmask_b32_e32 v5, v8, v5, vcc_lo
	s_delay_alu instid0(VALU_DEP_3) | instskip(NEXT) | instid1(VALU_DEP_2)
	v_lshl_add_u32 v8, v9, 23, 0x3b800000
	v_lshlrev_b32_e32 v5, 20, v5
	s_delay_alu instid0(VALU_DEP_1) | instskip(NEXT) | instid1(VALU_DEP_1)
	v_or3_b32 v1, v1, v8, v5
	v_cvt_f64_f32_e32 v[8:9], v1
.LBB7_303:
	s_or_b32 exec_lo, exec_lo, s40
.LBB7_304:
	s_mov_b32 s39, -1
.LBB7_305:
	s_mov_b32 s40, 0
.LBB7_306:
	s_delay_alu instid0(SALU_CYCLE_1)
	s_and_b32 vcc_lo, exec_lo, s40
	s_cbranch_vccz .LBB7_341
; %bb.307:
	s_cmp_gt_i32 s38, 22
	s_cbranch_scc0 .LBB7_317
; %bb.308:
	s_cmp_lt_i32 s38, 24
	s_cbranch_scc1 .LBB7_320
; %bb.309:
	s_cmp_gt_i32 s38, 24
	s_cbranch_scc0 .LBB7_321
; %bb.310:
	global_load_u8 v1, v[6:7], off
	s_mov_b32 s39, 0
	s_mov_b32 s40, exec_lo
	s_wait_loadcnt 0x0
	v_cmpx_lt_i16_e32 0x7f, v1
	s_xor_b32 s40, exec_lo, s40
	s_cbranch_execz .LBB7_333
; %bb.311:
	s_mov_b32 s39, -1
	s_mov_b32 s42, exec_lo
	v_cmpx_eq_u16_e32 0x80, v1
; %bb.312:
	s_xor_b32 s39, exec_lo, -1
; %bb.313:
	s_or_b32 exec_lo, exec_lo, s42
	s_delay_alu instid0(SALU_CYCLE_1)
	s_and_b32 s39, s39, exec_lo
	s_or_saveexec_b32 s40, s40
	v_mov_b64_e32 v[8:9], 0x7ff8000020000000
	s_xor_b32 exec_lo, exec_lo, s40
	s_cbranch_execnz .LBB7_334
.LBB7_314:
	s_or_b32 exec_lo, exec_lo, s40
	s_and_saveexec_b32 s40, s39
	s_cbranch_execz .LBB7_316
.LBB7_315:
	v_and_b32_e32 v5, 0xffff, v1
	v_lshlrev_b32_e32 v1, 24, v1
	s_delay_alu instid0(VALU_DEP_2) | instskip(SKIP_1) | instid1(VALU_DEP_3)
	v_and_b32_e32 v8, 3, v5
	v_bfe_u32 v11, v5, 2, 5
	v_and_b32_e32 v1, 0x80000000, v1
	s_delay_alu instid0(VALU_DEP_3) | instskip(NEXT) | instid1(VALU_DEP_3)
	v_clz_i32_u32_e32 v9, v8
	v_cmp_eq_u32_e32 vcc_lo, 0, v11
	s_delay_alu instid0(VALU_DEP_2) | instskip(NEXT) | instid1(VALU_DEP_1)
	v_min_u32_e32 v9, 32, v9
	v_subrev_nc_u32_e32 v10, 29, v9
	v_sub_nc_u32_e32 v9, 30, v9
	s_delay_alu instid0(VALU_DEP_2) | instskip(NEXT) | instid1(VALU_DEP_2)
	v_lshlrev_b32_e32 v5, v10, v5
	v_cndmask_b32_e32 v9, v11, v9, vcc_lo
	s_delay_alu instid0(VALU_DEP_2) | instskip(NEXT) | instid1(VALU_DEP_1)
	v_and_b32_e32 v5, 3, v5
	v_cndmask_b32_e32 v5, v8, v5, vcc_lo
	s_delay_alu instid0(VALU_DEP_3) | instskip(NEXT) | instid1(VALU_DEP_2)
	v_lshl_add_u32 v8, v9, 23, 0x37800000
	v_lshlrev_b32_e32 v5, 21, v5
	s_delay_alu instid0(VALU_DEP_1) | instskip(NEXT) | instid1(VALU_DEP_1)
	v_or3_b32 v1, v1, v8, v5
	v_cvt_f64_f32_e32 v[8:9], v1
.LBB7_316:
	s_or_b32 exec_lo, exec_lo, s40
	s_mov_b32 s39, 0
	s_branch .LBB7_322
.LBB7_317:
	s_mov_b32 s40, -1
                                        ; implicit-def: $vgpr8_vgpr9
	s_branch .LBB7_328
.LBB7_318:
	s_or_saveexec_b32 s40, s40
	v_mov_b64_e32 v[8:9], 0x7ff8000020000000
	s_xor_b32 exec_lo, exec_lo, s40
	s_cbranch_execz .LBB7_301
.LBB7_319:
	v_cmp_ne_u16_e32 vcc_lo, 0, v1
	v_mov_b64_e32 v[8:9], 0
	s_and_not1_b32 s39, s39, exec_lo
	s_and_b32 s42, vcc_lo, exec_lo
	s_delay_alu instid0(SALU_CYCLE_1)
	s_or_b32 s39, s39, s42
	s_or_b32 exec_lo, exec_lo, s40
	s_and_saveexec_b32 s40, s39
	s_cbranch_execnz .LBB7_302
	s_branch .LBB7_303
.LBB7_320:
	s_mov_b32 s39, -1
                                        ; implicit-def: $vgpr8_vgpr9
	s_branch .LBB7_325
.LBB7_321:
	s_mov_b32 s39, -1
                                        ; implicit-def: $vgpr8_vgpr9
.LBB7_322:
	s_delay_alu instid0(SALU_CYCLE_1)
	s_and_b32 vcc_lo, exec_lo, s39
	s_cbranch_vccz .LBB7_324
; %bb.323:
	global_load_u8 v1, v[6:7], off
	s_wait_loadcnt 0x0
	v_lshlrev_b32_e32 v1, 24, v1
	s_delay_alu instid0(VALU_DEP_1) | instskip(NEXT) | instid1(VALU_DEP_1)
	v_and_b32_e32 v5, 0x7f000000, v1
	v_clz_i32_u32_e32 v8, v5
	v_cmp_ne_u32_e32 vcc_lo, 0, v5
	v_add_nc_u32_e32 v10, 0x1000000, v5
	s_delay_alu instid0(VALU_DEP_3) | instskip(NEXT) | instid1(VALU_DEP_1)
	v_min_u32_e32 v8, 32, v8
	v_sub_nc_u32_e64 v8, v8, 4 clamp
	s_delay_alu instid0(VALU_DEP_1) | instskip(NEXT) | instid1(VALU_DEP_1)
	v_dual_lshlrev_b32 v9, v8, v5 :: v_dual_lshlrev_b32 v8, 23, v8
	v_lshrrev_b32_e32 v9, 4, v9
	s_delay_alu instid0(VALU_DEP_1) | instskip(NEXT) | instid1(VALU_DEP_1)
	v_dual_sub_nc_u32 v8, v9, v8 :: v_dual_ashrrev_i32 v9, 8, v10
	v_add_nc_u32_e32 v8, 0x3c000000, v8
	s_delay_alu instid0(VALU_DEP_1) | instskip(NEXT) | instid1(VALU_DEP_1)
	v_and_or_b32 v8, 0x7f800000, v9, v8
	v_cndmask_b32_e32 v5, 0, v8, vcc_lo
	s_delay_alu instid0(VALU_DEP_1) | instskip(NEXT) | instid1(VALU_DEP_1)
	v_and_or_b32 v1, 0x80000000, v1, v5
	v_cvt_f64_f32_e32 v[8:9], v1
.LBB7_324:
	s_mov_b32 s39, 0
.LBB7_325:
	s_delay_alu instid0(SALU_CYCLE_1)
	s_and_not1_b32 vcc_lo, exec_lo, s39
	s_cbranch_vccnz .LBB7_327
; %bb.326:
	global_load_u8 v1, v[6:7], off
	s_wait_loadcnt 0x0
	v_lshlrev_b32_e32 v5, 25, v1
	v_lshlrev_b16 v1, 8, v1
	s_delay_alu instid0(VALU_DEP_2) | instskip(NEXT) | instid1(VALU_DEP_2)
	v_lshrrev_b32_e32 v8, 4, v5
	v_and_or_b32 v9, 0x7f00, v1, 0.5
	v_bfe_i32 v1, v1, 0, 16
	s_delay_alu instid0(VALU_DEP_3) | instskip(NEXT) | instid1(VALU_DEP_1)
	v_or_b32_e32 v8, 0x70000000, v8
	v_dual_add_f32 v9, -0.5, v9 :: v_dual_mul_f32 v8, 0x7800000, v8
	v_cmp_gt_u32_e32 vcc_lo, 0x8000000, v5
	s_delay_alu instid0(VALU_DEP_2) | instskip(NEXT) | instid1(VALU_DEP_1)
	v_cndmask_b32_e32 v5, v8, v9, vcc_lo
	v_and_or_b32 v1, 0x80000000, v1, v5
	s_delay_alu instid0(VALU_DEP_1)
	v_cvt_f64_f32_e32 v[8:9], v1
.LBB7_327:
	s_mov_b32 s40, 0
	s_mov_b32 s39, -1
.LBB7_328:
	s_and_not1_b32 vcc_lo, exec_lo, s40
	s_cbranch_vccnz .LBB7_341
; %bb.329:
	s_cmp_gt_i32 s38, 14
	s_cbranch_scc0 .LBB7_332
; %bb.330:
	s_cmp_eq_u32 s38, 15
	s_cbranch_scc0 .LBB7_335
; %bb.331:
	global_load_u16 v1, v[6:7], off
	s_mov_b32 s39, -1
	s_mov_b32 s25, 0
	s_wait_loadcnt 0x0
	v_lshlrev_b32_e32 v1, 16, v1
	s_delay_alu instid0(VALU_DEP_1)
	v_cvt_f64_f32_e32 v[8:9], v1
	s_branch .LBB7_336
.LBB7_332:
	s_mov_b32 s40, -1
                                        ; implicit-def: $vgpr8_vgpr9
	s_branch .LBB7_337
.LBB7_333:
	s_or_saveexec_b32 s40, s40
	v_mov_b64_e32 v[8:9], 0x7ff8000020000000
	s_xor_b32 exec_lo, exec_lo, s40
	s_cbranch_execz .LBB7_314
.LBB7_334:
	v_cmp_ne_u16_e32 vcc_lo, 0, v1
	v_mov_b64_e32 v[8:9], 0
	s_and_not1_b32 s39, s39, exec_lo
	s_and_b32 s42, vcc_lo, exec_lo
	s_delay_alu instid0(SALU_CYCLE_1)
	s_or_b32 s39, s39, s42
	s_or_b32 exec_lo, exec_lo, s40
	s_and_saveexec_b32 s40, s39
	s_cbranch_execnz .LBB7_315
	s_branch .LBB7_316
.LBB7_335:
	s_mov_b32 s25, -1
                                        ; implicit-def: $vgpr8_vgpr9
.LBB7_336:
	s_mov_b32 s40, 0
.LBB7_337:
	s_delay_alu instid0(SALU_CYCLE_1)
	s_and_b32 vcc_lo, exec_lo, s40
	s_cbranch_vccz .LBB7_341
; %bb.338:
	s_cmp_eq_u32 s38, 11
	s_cbranch_scc0 .LBB7_340
; %bb.339:
	global_load_u8 v1, v[6:7], off
	s_wait_xcnt 0x1
	v_mov_b32_e32 v8, 0
	s_mov_b32 s25, 0
	s_mov_b32 s39, -1
	s_wait_loadcnt 0x0
	v_cmp_ne_u16_e32 vcc_lo, 0, v1
	v_cndmask_b32_e64 v9, 0, 0x3ff00000, vcc_lo
	s_branch .LBB7_341
.LBB7_340:
	s_mov_b32 s25, -1
                                        ; implicit-def: $vgpr8_vgpr9
.LBB7_341:
	s_branch .LBB7_31
.LBB7_342:
	s_and_b32 s0, 0xffff, s0
	s_delay_alu instid0(SALU_CYCLE_1)
	s_cmp_lt_i32 s0, 5
	s_cbranch_scc1 .LBB7_347
; %bb.343:
	s_cmp_lt_i32 s0, 8
	s_cbranch_scc1 .LBB7_348
; %bb.344:
	s_cmp_lt_i32 s0, 9
	s_cbranch_scc1 .LBB7_349
; %bb.345:
	s_cmp_gt_i32 s0, 9
	s_cbranch_scc0 .LBB7_350
; %bb.346:
	global_load_b64 v[8:9], v[6:7], off
	s_mov_b32 s38, 0
	s_branch .LBB7_351
.LBB7_347:
	s_mov_b32 s38, -1
                                        ; implicit-def: $vgpr8_vgpr9
	s_branch .LBB7_369
.LBB7_348:
	s_mov_b32 s38, -1
                                        ; implicit-def: $vgpr8_vgpr9
	s_branch .LBB7_357
.LBB7_349:
	s_mov_b32 s38, -1
                                        ; implicit-def: $vgpr8_vgpr9
	s_branch .LBB7_354
.LBB7_350:
	s_mov_b32 s38, -1
                                        ; implicit-def: $vgpr8_vgpr9
.LBB7_351:
	s_delay_alu instid0(SALU_CYCLE_1)
	s_and_not1_b32 vcc_lo, exec_lo, s38
	s_cbranch_vccnz .LBB7_353
; %bb.352:
	global_load_b32 v1, v[6:7], off
	s_wait_loadcnt 0x0
	v_cvt_f64_f32_e32 v[8:9], v1
.LBB7_353:
	s_mov_b32 s38, 0
.LBB7_354:
	s_delay_alu instid0(SALU_CYCLE_1)
	s_and_not1_b32 vcc_lo, exec_lo, s38
	s_cbranch_vccnz .LBB7_356
; %bb.355:
	global_load_b32 v1, v[6:7], off
	s_wait_loadcnt 0x0
	v_cvt_f32_f16_e32 v1, v1
	s_delay_alu instid0(VALU_DEP_1)
	v_cvt_f64_f32_e32 v[8:9], v1
.LBB7_356:
	s_mov_b32 s38, 0
.LBB7_357:
	s_delay_alu instid0(SALU_CYCLE_1)
	s_and_not1_b32 vcc_lo, exec_lo, s38
	s_cbranch_vccnz .LBB7_368
; %bb.358:
	s_cmp_lt_i32 s0, 6
	s_cbranch_scc1 .LBB7_361
; %bb.359:
	s_cmp_gt_i32 s0, 6
	s_cbranch_scc0 .LBB7_362
; %bb.360:
	s_wait_loadcnt 0x0
	global_load_b64 v[8:9], v[6:7], off
	s_mov_b32 s38, 0
	s_branch .LBB7_363
.LBB7_361:
	s_mov_b32 s38, -1
                                        ; implicit-def: $vgpr8_vgpr9
	s_branch .LBB7_366
.LBB7_362:
	s_mov_b32 s38, -1
                                        ; implicit-def: $vgpr8_vgpr9
.LBB7_363:
	s_delay_alu instid0(SALU_CYCLE_1)
	s_and_not1_b32 vcc_lo, exec_lo, s38
	s_cbranch_vccnz .LBB7_365
; %bb.364:
	global_load_b32 v1, v[6:7], off
	s_wait_loadcnt 0x0
	v_cvt_f64_f32_e32 v[8:9], v1
.LBB7_365:
	s_mov_b32 s38, 0
.LBB7_366:
	s_delay_alu instid0(SALU_CYCLE_1)
	s_and_not1_b32 vcc_lo, exec_lo, s38
	s_cbranch_vccnz .LBB7_368
; %bb.367:
	global_load_u16 v1, v[6:7], off
	s_wait_loadcnt 0x0
	v_cvt_f32_f16_e32 v1, v1
	s_delay_alu instid0(VALU_DEP_1)
	v_cvt_f64_f32_e32 v[8:9], v1
.LBB7_368:
	s_mov_b32 s38, 0
.LBB7_369:
	s_delay_alu instid0(SALU_CYCLE_1)
	s_and_not1_b32 vcc_lo, exec_lo, s38
	s_cbranch_vccnz .LBB7_389
; %bb.370:
	s_cmp_lt_i32 s0, 2
	s_cbranch_scc1 .LBB7_374
; %bb.371:
	s_cmp_lt_i32 s0, 3
	s_cbranch_scc1 .LBB7_375
; %bb.372:
	s_cmp_gt_i32 s0, 3
	s_cbranch_scc0 .LBB7_376
; %bb.373:
	s_wait_loadcnt 0x0
	global_load_b64 v[8:9], v[6:7], off
	s_mov_b32 s38, 0
	s_wait_loadcnt 0x0
	v_cvt_f64_i32_e32 v[10:11], v9
	v_cvt_f64_u32_e32 v[8:9], v8
	s_delay_alu instid0(VALU_DEP_2) | instskip(NEXT) | instid1(VALU_DEP_1)
	v_ldexp_f64 v[10:11], v[10:11], 32
	v_add_f64_e32 v[8:9], v[10:11], v[8:9]
	s_branch .LBB7_377
.LBB7_374:
	s_mov_b32 s38, -1
                                        ; implicit-def: $vgpr8_vgpr9
	s_branch .LBB7_383
.LBB7_375:
	s_mov_b32 s38, -1
                                        ; implicit-def: $vgpr8_vgpr9
	s_branch .LBB7_380
.LBB7_376:
	s_mov_b32 s38, -1
                                        ; implicit-def: $vgpr8_vgpr9
.LBB7_377:
	s_delay_alu instid0(SALU_CYCLE_1)
	s_and_not1_b32 vcc_lo, exec_lo, s38
	s_cbranch_vccnz .LBB7_379
; %bb.378:
	global_load_b32 v1, v[6:7], off
	s_wait_loadcnt 0x0
	v_cvt_f64_i32_e32 v[8:9], v1
.LBB7_379:
	s_mov_b32 s38, 0
.LBB7_380:
	s_delay_alu instid0(SALU_CYCLE_1)
	s_and_not1_b32 vcc_lo, exec_lo, s38
	s_cbranch_vccnz .LBB7_382
; %bb.381:
	global_load_i16 v1, v[6:7], off
	s_wait_loadcnt 0x0
	v_cvt_f64_i32_e32 v[8:9], v1
.LBB7_382:
	s_mov_b32 s38, 0
.LBB7_383:
	s_delay_alu instid0(SALU_CYCLE_1)
	s_and_not1_b32 vcc_lo, exec_lo, s38
	s_cbranch_vccnz .LBB7_389
; %bb.384:
	s_cmp_gt_i32 s0, 0
	s_mov_b32 s0, 0
	s_cbranch_scc0 .LBB7_386
; %bb.385:
	global_load_i8 v1, v[6:7], off
	s_wait_loadcnt 0x0
	v_cvt_f64_i32_e32 v[8:9], v1
	s_branch .LBB7_387
.LBB7_386:
	s_mov_b32 s0, -1
                                        ; implicit-def: $vgpr8_vgpr9
.LBB7_387:
	s_delay_alu instid0(SALU_CYCLE_1)
	s_and_not1_b32 vcc_lo, exec_lo, s0
	s_cbranch_vccnz .LBB7_389
; %bb.388:
	global_load_u8 v1, v[6:7], off
	s_wait_loadcnt 0x0
	v_cvt_f64_u32_e32 v[8:9], v1
.LBB7_389:
	s_branch .LBB7_32
.LBB7_390:
	s_mov_b32 s0, 0
.LBB7_391:
	s_mov_b32 s42, 0
                                        ; implicit-def: $vgpr4
.LBB7_392:
	s_and_b32 s38, s0, exec_lo
	s_and_b32 s39, s25, exec_lo
	;; [unrolled: 1-line block ×3, first 2 shown]
	s_or_not1_b32 s25, s42, exec_lo
.LBB7_393:
	s_wait_xcnt 0x0
	s_or_b32 exec_lo, exec_lo, s41
	s_mov_b32 s43, 0
	s_mov_b32 s24, 0
                                        ; implicit-def: $sgpr0
                                        ; implicit-def: $vgpr8_vgpr9
                                        ; implicit-def: $vgpr0
                                        ; implicit-def: $vgpr2
                                        ; implicit-def: $vgpr6_vgpr7
	s_and_saveexec_b32 s41, s25
	s_cbranch_execz .LBB7_401
; %bb.394:
	s_mov_b32 s47, -1
	s_mov_b32 s42, s40
	s_mov_b32 s44, s39
	;; [unrolled: 1-line block ×3, first 2 shown]
	s_mov_b32 s45, exec_lo
	v_cmpx_gt_i32_e64 s36, v4
	s_cbranch_execz .LBB7_797
; %bb.395:
	s_and_not1_b32 vcc_lo, exec_lo, s29
	s_cbranch_vccnz .LBB7_404
; %bb.396:
	s_and_not1_b32 vcc_lo, exec_lo, s37
	s_cbranch_vccnz .LBB7_405
; %bb.397:
	v_dual_mov_b32 v0, 0 :: v_dual_mov_b32 v1, v4
	s_wait_loadcnt 0x0
	v_dual_mov_b32 v2, 0 :: v_dual_mov_b32 v6, 0
	s_add_co_i32 s0, s35, 1
	s_mov_b64 s[24:25], 0xffffffffffffffe8
	s_and_b32 s0, s0, 30
	s_add_nc_u64 s[24:25], s[2:3], s[24:25]
.LBB7_398:                              ; =>This Inner Loop Header: Depth=1
	s_clause 0x3
	s_load_b128 s[48:51], s[24:25], 0x1c
	s_load_b64 s[42:43], s[24:25], 0x2c
	s_load_b128 s[52:55], s[24:25], 0xdc
	s_load_b64 s[46:47], s[24:25], 0xec
	s_add_co_i32 s0, s0, -2
	s_wait_xcnt 0x0
	s_add_nc_u64 s[24:25], s[24:25], 24
	s_cmp_eq_u32 s0, 0
	s_wait_kmcnt 0x0
	v_mul_hi_u32 v3, s49, v1
	s_delay_alu instid0(VALU_DEP_1) | instskip(NEXT) | instid1(VALU_DEP_1)
	v_add_nc_u32_e32 v3, v1, v3
	v_lshrrev_b32_e32 v3, s50, v3
	s_delay_alu instid0(VALU_DEP_1) | instskip(SKIP_1) | instid1(VALU_DEP_1)
	v_mul_hi_u32 v5, s42, v3
	v_mul_lo_u32 v7, v3, s48
	v_dual_add_nc_u32 v5, v3, v5 :: v_dual_sub_nc_u32 v7, v1, v7
	s_delay_alu instid0(VALU_DEP_1) | instskip(NEXT) | instid1(VALU_DEP_2)
	v_lshrrev_b32_e32 v1, s43, v5
	v_mad_u32 v0, v7, s52, v0
	v_mad_u32 v6, v7, s54, v6
	;; [unrolled: 1-line block ×3, first 2 shown]
	s_delay_alu instid0(VALU_DEP_4) | instskip(NEXT) | instid1(VALU_DEP_1)
	v_mul_lo_u32 v5, v1, s51
	v_sub_nc_u32_e32 v3, v3, v5
	s_delay_alu instid0(VALU_DEP_1)
	v_mad_u32 v0, v3, s55, v0
	v_mad_u32 v6, v3, s47, v6
	;; [unrolled: 1-line block ×3, first 2 shown]
	s_cbranch_scc0 .LBB7_398
; %bb.399:
	s_bitcmp1_b32 s35, 0
	s_cselect_b32 s0, -1, 0
	s_delay_alu instid0(SALU_CYCLE_1)
	s_and_b32 vcc_lo, exec_lo, s0
	s_cbranch_vccnz .LBB7_406
; %bb.400:
	s_clause 0x1
	s_load_b96 s[48:50], s[24:25], 0x1c
	s_load_b96 s[52:54], s[24:25], 0xdc
	s_wait_kmcnt 0x0
	v_mul_hi_u32 v3, s49, v1
	s_delay_alu instid0(VALU_DEP_1) | instskip(NEXT) | instid1(VALU_DEP_1)
	v_add_nc_u32_e32 v3, v1, v3
	v_lshrrev_b32_e32 v3, s50, v3
	s_delay_alu instid0(VALU_DEP_1) | instskip(NEXT) | instid1(VALU_DEP_1)
	v_mul_lo_u32 v3, v3, s48
	v_sub_nc_u32_e32 v1, v1, v3
	s_delay_alu instid0(VALU_DEP_1)
	v_mad_u32 v0, v1, s52, v0
	v_mad_u32 v2, v1, s53, v2
	;; [unrolled: 1-line block ×3, first 2 shown]
	s_branch .LBB7_406
.LBB7_401:
	s_or_b32 exec_lo, exec_lo, s41
	s_mov_b32 s1, 0
	s_and_saveexec_b32 s6, s40
	s_cbranch_execnz .LBB7_1297
.LBB7_402:
	s_or_b32 exec_lo, exec_lo, s6
	s_and_saveexec_b32 s6, s19
	s_delay_alu instid0(SALU_CYCLE_1)
	s_xor_b32 s6, exec_lo, s6
	s_cbranch_execz .LBB7_1298
.LBB7_403:
	s_wait_loadcnt 0x0
	global_load_u8 v1, v[8:9], off
	v_mov_b32_e32 v6, 0
	s_or_b32 s24, s24, exec_lo
	s_wait_loadcnt 0x0
	v_cmp_ne_u16_e32 vcc_lo, 0, v1
	v_cndmask_b32_e64 v7, 0, 0x3ff00000, vcc_lo
	s_wait_xcnt 0x0
	s_or_b32 exec_lo, exec_lo, s6
	s_and_saveexec_b32 s6, s43
	s_cbranch_execz .LBB7_1344
	s_branch .LBB7_1299
.LBB7_404:
                                        ; implicit-def: $vgpr6
                                        ; implicit-def: $vgpr2
                                        ; implicit-def: $vgpr0
	s_branch .LBB7_407
.LBB7_405:
	s_wait_loadcnt 0x0
	v_dual_mov_b32 v6, 0 :: v_dual_mov_b32 v2, 0
	v_mov_b32_e32 v0, 0
.LBB7_406:
	s_cbranch_execnz .LBB7_409
.LBB7_407:
	v_mov_b32_e32 v5, 0
	s_and_not1_b32 vcc_lo, exec_lo, s34
	s_delay_alu instid0(VALU_DEP_1) | instskip(NEXT) | instid1(VALU_DEP_1)
	v_mul_u64_e32 v[0:1], s[18:19], v[4:5]
	v_add_nc_u32_e32 v0, v4, v1
	s_wait_loadcnt 0x0
	s_delay_alu instid0(VALU_DEP_1) | instskip(NEXT) | instid1(VALU_DEP_1)
	v_lshrrev_b32_e32 v8, s10, v0
	v_mul_lo_u32 v0, v8, s8
	s_delay_alu instid0(VALU_DEP_1) | instskip(NEXT) | instid1(VALU_DEP_1)
	v_sub_nc_u32_e32 v1, v4, v0
	v_mul_lo_u32 v0, v1, s12
	v_mul_lo_u32 v6, v1, s14
	;; [unrolled: 1-line block ×3, first 2 shown]
	s_cbranch_vccnz .LBB7_409
; %bb.408:
	v_mov_b32_e32 v9, v5
	s_delay_alu instid0(VALU_DEP_1) | instskip(NEXT) | instid1(VALU_DEP_1)
	v_mul_u64_e32 v[10:11], s[22:23], v[8:9]
	v_add_nc_u32_e32 v1, v8, v11
	s_delay_alu instid0(VALU_DEP_1) | instskip(NEXT) | instid1(VALU_DEP_1)
	v_lshrrev_b32_e32 v1, s1, v1
	v_mul_lo_u32 v1, v1, s11
	s_delay_alu instid0(VALU_DEP_1) | instskip(NEXT) | instid1(VALU_DEP_1)
	v_sub_nc_u32_e32 v1, v8, v1
	v_mad_u32 v0, v1, s15, v0
	v_mad_u32 v2, v1, s20, v2
	;; [unrolled: 1-line block ×3, first 2 shown]
.LBB7_409:
	s_wait_loadcnt 0x0
	v_mov_b32_e32 v3, 0
	s_and_b32 s0, s33, 0xff
	s_delay_alu instid0(SALU_CYCLE_1) | instskip(NEXT) | instid1(VALU_DEP_1)
	s_cmp_lt_i32 s0, 11
	v_add_nc_u64_e32 v[8:9], s[6:7], v[2:3]
	s_cbranch_scc1 .LBB7_416
; %bb.410:
	s_and_b32 s25, 0xffff, s0
	s_delay_alu instid0(SALU_CYCLE_1)
	s_cmp_gt_i32 s25, 25
	s_cbranch_scc0 .LBB7_425
; %bb.411:
	s_cmp_gt_i32 s25, 28
	s_cbranch_scc0 .LBB7_427
; %bb.412:
	;; [unrolled: 3-line block ×4, first 2 shown]
	s_cmp_eq_u32 s25, 46
	s_mov_b32 s43, 0
	s_cbranch_scc0 .LBB7_435
; %bb.415:
	global_load_b32 v1, v[8:9], off
	s_mov_b32 s42, -1
	s_mov_b32 s24, 0
	s_wait_loadcnt 0x0
	v_lshlrev_b32_e32 v1, 16, v1
	s_delay_alu instid0(VALU_DEP_1)
	v_cvt_f64_f32_e32 v[2:3], v1
	s_branch .LBB7_437
.LBB7_416:
	s_mov_b32 s42, 0
	s_mov_b32 s24, s40
                                        ; implicit-def: $vgpr2_vgpr3
	s_cbranch_execnz .LBB7_503
.LBB7_417:
	s_and_not1_b32 vcc_lo, exec_lo, s42
	s_cbranch_vccnz .LBB7_551
.LBB7_418:
	v_mov_b32_e32 v7, 0
	s_and_b32 s0, s9, 0xff
	s_delay_alu instid0(SALU_CYCLE_1) | instskip(NEXT) | instid1(VALU_DEP_1)
	s_cmp_lt_i32 s0, 11
	v_add_nc_u64_e32 v[6:7], s[16:17], v[6:7]
	s_cbranch_scc1 .LBB7_426
; %bb.419:
	s_and_b32 s42, 0xffff, s0
	s_delay_alu instid0(SALU_CYCLE_1)
	s_cmp_gt_i32 s42, 25
	s_cbranch_scc0 .LBB7_428
; %bb.420:
	s_cmp_gt_i32 s42, 28
	s_cbranch_scc0 .LBB7_430
; %bb.421:
	;; [unrolled: 3-line block ×4, first 2 shown]
	s_cmp_eq_u32 s42, 46
	s_mov_b32 s44, 0
	s_cbranch_scc0 .LBB7_554
; %bb.424:
	global_load_b32 v1, v[6:7], off
	s_mov_b32 s43, -1
	s_mov_b32 s25, 0
	s_wait_loadcnt 0x0
	v_lshlrev_b32_e32 v1, 16, v1
	s_wait_xcnt 0x1
	s_delay_alu instid0(VALU_DEP_1)
	v_cvt_f64_f32_e32 v[8:9], v1
	s_branch .LBB7_556
.LBB7_425:
	s_mov_b32 s43, -1
	s_mov_b32 s42, 0
	s_mov_b32 s24, s40
                                        ; implicit-def: $vgpr2_vgpr3
	s_branch .LBB7_467
.LBB7_426:
	s_mov_b32 s42, -1
	s_mov_b32 s43, 0
	s_mov_b32 s25, s39
                                        ; implicit-def: $vgpr8_vgpr9
	s_branch .LBB7_621
.LBB7_427:
	s_mov_b32 s43, -1
	s_mov_b32 s42, 0
	s_mov_b32 s24, s40
                                        ; implicit-def: $vgpr2_vgpr3
	s_branch .LBB7_448
.LBB7_428:
	s_mov_b32 s44, -1
	s_mov_b32 s43, 0
	s_mov_b32 s25, s39
                                        ; implicit-def: $vgpr8_vgpr9
	s_branch .LBB7_585
.LBB7_429:
	s_mov_b32 s43, -1
	s_mov_b32 s42, 0
	s_mov_b32 s24, s40
                                        ; implicit-def: $vgpr2_vgpr3
	s_branch .LBB7_443
.LBB7_430:
	s_mov_b32 s44, -1
	s_mov_b32 s43, 0
	s_mov_b32 s25, s39
                                        ; implicit-def: $vgpr8_vgpr9
	s_branch .LBB7_566
.LBB7_431:
	s_mov_b32 s43, -1
	s_mov_b32 s42, 0
	s_mov_b32 s24, s40
	s_branch .LBB7_436
.LBB7_432:
	s_mov_b32 s44, -1
	s_mov_b32 s43, 0
	s_mov_b32 s25, s39
                                        ; implicit-def: $vgpr8_vgpr9
	s_branch .LBB7_561
.LBB7_433:
	s_and_not1_saveexec_b32 s43, s43
	s_cbranch_execz .LBB7_191
.LBB7_434:
	v_add_f32_e64 v3, 0x46000000, |v2|
	s_and_not1_b32 s42, s42, exec_lo
	s_delay_alu instid0(VALU_DEP_1) | instskip(NEXT) | instid1(VALU_DEP_1)
	v_and_b32_e32 v3, 0xff, v3
	v_cmp_ne_u32_e32 vcc_lo, 0, v3
	s_and_b32 s44, vcc_lo, exec_lo
	s_delay_alu instid0(SALU_CYCLE_1)
	s_or_b32 s42, s42, s44
	s_or_b32 exec_lo, exec_lo, s43
	v_mov_b32_e32 v5, 0
	s_and_saveexec_b32 s43, s42
	s_cbranch_execnz .LBB7_192
	s_branch .LBB7_193
.LBB7_435:
	s_mov_b32 s24, -1
	s_mov_b32 s42, 0
.LBB7_436:
                                        ; implicit-def: $vgpr2_vgpr3
.LBB7_437:
	s_and_b32 vcc_lo, exec_lo, s43
	s_cbranch_vccz .LBB7_442
; %bb.438:
	s_cmp_eq_u32 s25, 44
	s_cbranch_scc0 .LBB7_441
; %bb.439:
	global_load_u8 v1, v[8:9], off
	s_mov_b32 s24, 0
	s_mov_b32 s42, -1
	s_wait_loadcnt 0x0
	v_cmp_ne_u32_e32 vcc_lo, 0xff, v1
	v_lshlrev_b32_e32 v2, 23, v1
	s_delay_alu instid0(VALU_DEP_1) | instskip(NEXT) | instid1(VALU_DEP_1)
	v_cvt_f64_f32_e32 v[2:3], v2
	v_cndmask_b32_e32 v2, 0x20000000, v2, vcc_lo
	s_delay_alu instid0(VALU_DEP_2) | instskip(SKIP_1) | instid1(VALU_DEP_2)
	v_cndmask_b32_e32 v3, 0x7ff80000, v3, vcc_lo
	v_cmp_ne_u32_e32 vcc_lo, 0, v1
	v_cndmask_b32_e32 v3, 0x38000000, v3, vcc_lo
	s_delay_alu instid0(VALU_DEP_4)
	v_cndmask_b32_e32 v2, 0, v2, vcc_lo
	s_branch .LBB7_442
.LBB7_440:
	s_mov_b32 s44, -1
	s_mov_b32 s43, 0
	s_mov_b32 s25, s39
	s_branch .LBB7_555
.LBB7_441:
	s_mov_b32 s24, -1
                                        ; implicit-def: $vgpr2_vgpr3
.LBB7_442:
	s_mov_b32 s43, 0
.LBB7_443:
	s_delay_alu instid0(SALU_CYCLE_1)
	s_and_b32 vcc_lo, exec_lo, s43
	s_cbranch_vccz .LBB7_447
; %bb.444:
	s_cmp_eq_u32 s25, 29
	s_cbranch_scc0 .LBB7_446
; %bb.445:
	global_load_b64 v[2:3], v[8:9], off
	s_mov_b32 s42, -1
	s_mov_b32 s24, 0
	s_mov_b32 s43, 0
	s_wait_loadcnt 0x0
	v_cvt_f64_u32_e32 v[10:11], v3
	v_cvt_f64_u32_e32 v[2:3], v2
	s_delay_alu instid0(VALU_DEP_2) | instskip(NEXT) | instid1(VALU_DEP_1)
	v_ldexp_f64 v[10:11], v[10:11], 32
	v_add_f64_e32 v[2:3], v[10:11], v[2:3]
	s_branch .LBB7_448
.LBB7_446:
	s_mov_b32 s24, -1
                                        ; implicit-def: $vgpr2_vgpr3
.LBB7_447:
	s_mov_b32 s43, 0
.LBB7_448:
	s_delay_alu instid0(SALU_CYCLE_1)
	s_and_b32 vcc_lo, exec_lo, s43
	s_cbranch_vccz .LBB7_466
; %bb.449:
	s_cmp_lt_i32 s25, 27
	s_cbranch_scc1 .LBB7_452
; %bb.450:
	s_cmp_gt_i32 s25, 27
	s_cbranch_scc0 .LBB7_453
; %bb.451:
	global_load_b32 v1, v[8:9], off
	s_mov_b32 s42, 0
	s_wait_loadcnt 0x0
	v_cvt_f64_u32_e32 v[2:3], v1
	s_branch .LBB7_454
.LBB7_452:
	s_mov_b32 s42, -1
                                        ; implicit-def: $vgpr2_vgpr3
	s_branch .LBB7_457
.LBB7_453:
	s_mov_b32 s42, -1
                                        ; implicit-def: $vgpr2_vgpr3
.LBB7_454:
	s_delay_alu instid0(SALU_CYCLE_1)
	s_and_not1_b32 vcc_lo, exec_lo, s42
	s_cbranch_vccnz .LBB7_456
; %bb.455:
	global_load_u16 v1, v[8:9], off
	s_wait_loadcnt 0x0
	v_cvt_f64_u32_e32 v[2:3], v1
.LBB7_456:
	s_mov_b32 s42, 0
.LBB7_457:
	s_delay_alu instid0(SALU_CYCLE_1)
	s_and_not1_b32 vcc_lo, exec_lo, s42
	s_cbranch_vccnz .LBB7_465
; %bb.458:
	global_load_u8 v1, v[8:9], off
	s_mov_b32 s42, 0
	s_mov_b32 s43, exec_lo
	s_wait_loadcnt 0x0
	v_cmpx_lt_i16_e32 0x7f, v1
	s_xor_b32 s43, exec_lo, s43
	s_cbranch_execz .LBB7_479
; %bb.459:
	s_mov_b32 s42, -1
	s_mov_b32 s44, exec_lo
	v_cmpx_eq_u16_e32 0x80, v1
; %bb.460:
	s_xor_b32 s42, exec_lo, -1
; %bb.461:
	s_or_b32 exec_lo, exec_lo, s44
	s_delay_alu instid0(SALU_CYCLE_1)
	s_and_b32 s42, s42, exec_lo
	s_or_saveexec_b32 s43, s43
	v_mov_b64_e32 v[2:3], 0x7ff8000020000000
	s_xor_b32 exec_lo, exec_lo, s43
	s_cbranch_execnz .LBB7_480
.LBB7_462:
	s_or_b32 exec_lo, exec_lo, s43
	s_and_saveexec_b32 s43, s42
	s_cbranch_execz .LBB7_464
.LBB7_463:
	v_and_b32_e32 v2, 0xffff, v1
	s_delay_alu instid0(VALU_DEP_1) | instskip(SKIP_1) | instid1(VALU_DEP_2)
	v_and_b32_e32 v3, 7, v2
	v_bfe_u32 v10, v2, 3, 4
	v_clz_i32_u32_e32 v5, v3
	s_delay_alu instid0(VALU_DEP_2) | instskip(NEXT) | instid1(VALU_DEP_2)
	v_cmp_eq_u32_e32 vcc_lo, 0, v10
	v_min_u32_e32 v5, 32, v5
	s_delay_alu instid0(VALU_DEP_1) | instskip(NEXT) | instid1(VALU_DEP_1)
	v_subrev_nc_u32_e32 v7, 28, v5
	v_dual_lshlrev_b32 v2, v7, v2 :: v_dual_sub_nc_u32 v5, 29, v5
	s_delay_alu instid0(VALU_DEP_1) | instskip(NEXT) | instid1(VALU_DEP_1)
	v_dual_lshlrev_b32 v1, 24, v1 :: v_dual_bitop2_b32 v2, 7, v2 bitop3:0x40
	v_dual_cndmask_b32 v2, v3, v2 :: v_dual_cndmask_b32 v5, v10, v5
	s_delay_alu instid0(VALU_DEP_2) | instskip(NEXT) | instid1(VALU_DEP_2)
	v_and_b32_e32 v1, 0x80000000, v1
	v_lshlrev_b32_e32 v2, 20, v2
	s_delay_alu instid0(VALU_DEP_3) | instskip(NEXT) | instid1(VALU_DEP_1)
	v_lshl_add_u32 v3, v5, 23, 0x3b800000
	v_or3_b32 v1, v1, v3, v2
	s_delay_alu instid0(VALU_DEP_1)
	v_cvt_f64_f32_e32 v[2:3], v1
.LBB7_464:
	s_or_b32 exec_lo, exec_lo, s43
.LBB7_465:
	s_mov_b32 s42, -1
.LBB7_466:
	s_mov_b32 s43, 0
.LBB7_467:
	s_delay_alu instid0(SALU_CYCLE_1)
	s_and_b32 vcc_lo, exec_lo, s43
	s_cbranch_vccz .LBB7_502
; %bb.468:
	s_cmp_gt_i32 s25, 22
	s_cbranch_scc0 .LBB7_478
; %bb.469:
	s_cmp_lt_i32 s25, 24
	s_cbranch_scc1 .LBB7_481
; %bb.470:
	s_cmp_gt_i32 s25, 24
	s_cbranch_scc0 .LBB7_482
; %bb.471:
	global_load_u8 v1, v[8:9], off
	s_mov_b32 s42, 0
	s_mov_b32 s43, exec_lo
	s_wait_loadcnt 0x0
	v_cmpx_lt_i16_e32 0x7f, v1
	s_xor_b32 s43, exec_lo, s43
	s_cbranch_execz .LBB7_494
; %bb.472:
	s_mov_b32 s42, -1
	s_mov_b32 s44, exec_lo
	v_cmpx_eq_u16_e32 0x80, v1
; %bb.473:
	s_xor_b32 s42, exec_lo, -1
; %bb.474:
	s_or_b32 exec_lo, exec_lo, s44
	s_delay_alu instid0(SALU_CYCLE_1)
	s_and_b32 s42, s42, exec_lo
	s_or_saveexec_b32 s43, s43
	v_mov_b64_e32 v[2:3], 0x7ff8000020000000
	s_xor_b32 exec_lo, exec_lo, s43
	s_cbranch_execnz .LBB7_495
.LBB7_475:
	s_or_b32 exec_lo, exec_lo, s43
	s_and_saveexec_b32 s43, s42
	s_cbranch_execz .LBB7_477
.LBB7_476:
	v_and_b32_e32 v2, 0xffff, v1
	s_delay_alu instid0(VALU_DEP_1) | instskip(SKIP_1) | instid1(VALU_DEP_2)
	v_and_b32_e32 v3, 3, v2
	v_bfe_u32 v10, v2, 2, 5
	v_clz_i32_u32_e32 v5, v3
	s_delay_alu instid0(VALU_DEP_2) | instskip(NEXT) | instid1(VALU_DEP_2)
	v_cmp_eq_u32_e32 vcc_lo, 0, v10
	v_min_u32_e32 v5, 32, v5
	s_delay_alu instid0(VALU_DEP_1) | instskip(NEXT) | instid1(VALU_DEP_1)
	v_subrev_nc_u32_e32 v7, 29, v5
	v_dual_lshlrev_b32 v2, v7, v2 :: v_dual_sub_nc_u32 v5, 30, v5
	s_delay_alu instid0(VALU_DEP_1) | instskip(NEXT) | instid1(VALU_DEP_1)
	v_dual_lshlrev_b32 v1, 24, v1 :: v_dual_bitop2_b32 v2, 3, v2 bitop3:0x40
	v_dual_cndmask_b32 v2, v3, v2 :: v_dual_cndmask_b32 v5, v10, v5
	s_delay_alu instid0(VALU_DEP_2) | instskip(NEXT) | instid1(VALU_DEP_2)
	v_and_b32_e32 v1, 0x80000000, v1
	v_lshlrev_b32_e32 v2, 21, v2
	s_delay_alu instid0(VALU_DEP_3) | instskip(NEXT) | instid1(VALU_DEP_1)
	v_lshl_add_u32 v3, v5, 23, 0x37800000
	v_or3_b32 v1, v1, v3, v2
	s_delay_alu instid0(VALU_DEP_1)
	v_cvt_f64_f32_e32 v[2:3], v1
.LBB7_477:
	s_or_b32 exec_lo, exec_lo, s43
	s_mov_b32 s42, 0
	s_branch .LBB7_483
.LBB7_478:
	s_mov_b32 s43, -1
                                        ; implicit-def: $vgpr2_vgpr3
	s_branch .LBB7_489
.LBB7_479:
	s_or_saveexec_b32 s43, s43
	v_mov_b64_e32 v[2:3], 0x7ff8000020000000
	s_xor_b32 exec_lo, exec_lo, s43
	s_cbranch_execz .LBB7_462
.LBB7_480:
	v_cmp_ne_u16_e32 vcc_lo, 0, v1
	v_mov_b64_e32 v[2:3], 0
	s_and_not1_b32 s42, s42, exec_lo
	s_and_b32 s44, vcc_lo, exec_lo
	s_delay_alu instid0(SALU_CYCLE_1)
	s_or_b32 s42, s42, s44
	s_or_b32 exec_lo, exec_lo, s43
	s_and_saveexec_b32 s43, s42
	s_cbranch_execnz .LBB7_463
	s_branch .LBB7_464
.LBB7_481:
	s_mov_b32 s42, -1
                                        ; implicit-def: $vgpr2_vgpr3
	s_branch .LBB7_486
.LBB7_482:
	s_mov_b32 s42, -1
                                        ; implicit-def: $vgpr2_vgpr3
.LBB7_483:
	s_delay_alu instid0(SALU_CYCLE_1)
	s_and_b32 vcc_lo, exec_lo, s42
	s_cbranch_vccz .LBB7_485
; %bb.484:
	global_load_u8 v1, v[8:9], off
	s_wait_loadcnt 0x0
	v_lshlrev_b32_e32 v1, 24, v1
	s_delay_alu instid0(VALU_DEP_1) | instskip(NEXT) | instid1(VALU_DEP_1)
	v_and_b32_e32 v2, 0x7f000000, v1
	v_clz_i32_u32_e32 v3, v2
	v_cmp_ne_u32_e32 vcc_lo, 0, v2
	v_add_nc_u32_e32 v7, 0x1000000, v2
	s_delay_alu instid0(VALU_DEP_3) | instskip(NEXT) | instid1(VALU_DEP_1)
	v_min_u32_e32 v3, 32, v3
	v_sub_nc_u32_e64 v3, v3, 4 clamp
	s_delay_alu instid0(VALU_DEP_1) | instskip(NEXT) | instid1(VALU_DEP_1)
	v_dual_lshlrev_b32 v5, v3, v2 :: v_dual_lshlrev_b32 v3, 23, v3
	v_lshrrev_b32_e32 v5, 4, v5
	s_delay_alu instid0(VALU_DEP_1) | instskip(SKIP_1) | instid1(VALU_DEP_2)
	v_sub_nc_u32_e32 v3, v5, v3
	v_ashrrev_i32_e32 v5, 8, v7
	v_add_nc_u32_e32 v3, 0x3c000000, v3
	s_delay_alu instid0(VALU_DEP_1) | instskip(NEXT) | instid1(VALU_DEP_1)
	v_and_or_b32 v3, 0x7f800000, v5, v3
	v_cndmask_b32_e32 v2, 0, v3, vcc_lo
	s_delay_alu instid0(VALU_DEP_1) | instskip(NEXT) | instid1(VALU_DEP_1)
	v_and_or_b32 v1, 0x80000000, v1, v2
	v_cvt_f64_f32_e32 v[2:3], v1
.LBB7_485:
	s_mov_b32 s42, 0
.LBB7_486:
	s_delay_alu instid0(SALU_CYCLE_1)
	s_and_not1_b32 vcc_lo, exec_lo, s42
	s_cbranch_vccnz .LBB7_488
; %bb.487:
	global_load_u8 v1, v[8:9], off
	s_wait_loadcnt 0x0
	v_lshlrev_b32_e32 v2, 25, v1
	v_lshlrev_b16 v1, 8, v1
	s_delay_alu instid0(VALU_DEP_1) | instskip(NEXT) | instid1(VALU_DEP_3)
	v_and_or_b32 v5, 0x7f00, v1, 0.5
	v_lshrrev_b32_e32 v3, 4, v2
	v_bfe_i32 v1, v1, 0, 16
	s_delay_alu instid0(VALU_DEP_3) | instskip(NEXT) | instid1(VALU_DEP_3)
	v_add_f32_e32 v5, -0.5, v5
	v_or_b32_e32 v3, 0x70000000, v3
	s_delay_alu instid0(VALU_DEP_1) | instskip(SKIP_1) | instid1(VALU_DEP_2)
	v_mul_f32_e32 v3, 0x7800000, v3
	v_cmp_gt_u32_e32 vcc_lo, 0x8000000, v2
	v_cndmask_b32_e32 v2, v3, v5, vcc_lo
	s_delay_alu instid0(VALU_DEP_1) | instskip(NEXT) | instid1(VALU_DEP_1)
	v_and_or_b32 v1, 0x80000000, v1, v2
	v_cvt_f64_f32_e32 v[2:3], v1
.LBB7_488:
	s_mov_b32 s43, 0
	s_mov_b32 s42, -1
.LBB7_489:
	s_and_not1_b32 vcc_lo, exec_lo, s43
	s_cbranch_vccnz .LBB7_502
; %bb.490:
	s_cmp_gt_i32 s25, 14
	s_cbranch_scc0 .LBB7_493
; %bb.491:
	s_cmp_eq_u32 s25, 15
	s_cbranch_scc0 .LBB7_496
; %bb.492:
	global_load_u16 v1, v[8:9], off
	s_mov_b32 s42, -1
	s_mov_b32 s24, 0
	s_wait_loadcnt 0x0
	v_lshlrev_b32_e32 v1, 16, v1
	s_delay_alu instid0(VALU_DEP_1)
	v_cvt_f64_f32_e32 v[2:3], v1
	s_branch .LBB7_497
.LBB7_493:
	s_mov_b32 s43, -1
                                        ; implicit-def: $vgpr2_vgpr3
	s_branch .LBB7_498
.LBB7_494:
	s_or_saveexec_b32 s43, s43
	v_mov_b64_e32 v[2:3], 0x7ff8000020000000
	s_xor_b32 exec_lo, exec_lo, s43
	s_cbranch_execz .LBB7_475
.LBB7_495:
	v_cmp_ne_u16_e32 vcc_lo, 0, v1
	v_mov_b64_e32 v[2:3], 0
	s_and_not1_b32 s42, s42, exec_lo
	s_and_b32 s44, vcc_lo, exec_lo
	s_delay_alu instid0(SALU_CYCLE_1)
	s_or_b32 s42, s42, s44
	s_or_b32 exec_lo, exec_lo, s43
	s_and_saveexec_b32 s43, s42
	s_cbranch_execnz .LBB7_476
	s_branch .LBB7_477
.LBB7_496:
	s_mov_b32 s24, -1
                                        ; implicit-def: $vgpr2_vgpr3
.LBB7_497:
	s_mov_b32 s43, 0
.LBB7_498:
	s_delay_alu instid0(SALU_CYCLE_1)
	s_and_b32 vcc_lo, exec_lo, s43
	s_cbranch_vccz .LBB7_502
; %bb.499:
	s_cmp_eq_u32 s25, 11
	s_cbranch_scc0 .LBB7_501
; %bb.500:
	global_load_u8 v1, v[8:9], off
	v_mov_b32_e32 v2, 0
	s_mov_b32 s24, 0
	s_mov_b32 s42, -1
	s_wait_loadcnt 0x0
	v_cmp_ne_u16_e32 vcc_lo, 0, v1
	v_cndmask_b32_e64 v3, 0, 0x3ff00000, vcc_lo
	s_branch .LBB7_502
.LBB7_501:
	s_mov_b32 s24, -1
                                        ; implicit-def: $vgpr2_vgpr3
.LBB7_502:
	s_branch .LBB7_417
.LBB7_503:
	s_and_b32 s0, 0xffff, s0
	s_delay_alu instid0(SALU_CYCLE_1)
	s_cmp_lt_i32 s0, 5
	s_cbranch_scc1 .LBB7_508
; %bb.504:
	s_cmp_lt_i32 s0, 8
	s_cbranch_scc1 .LBB7_509
; %bb.505:
	;; [unrolled: 3-line block ×3, first 2 shown]
	s_cmp_gt_i32 s0, 9
	s_cbranch_scc0 .LBB7_511
; %bb.507:
	global_load_b64 v[2:3], v[8:9], off
	s_mov_b32 s25, 0
	s_branch .LBB7_512
.LBB7_508:
	s_mov_b32 s25, -1
                                        ; implicit-def: $vgpr2_vgpr3
	s_branch .LBB7_530
.LBB7_509:
	s_mov_b32 s25, -1
                                        ; implicit-def: $vgpr2_vgpr3
	s_branch .LBB7_518
.LBB7_510:
	s_mov_b32 s25, -1
                                        ; implicit-def: $vgpr2_vgpr3
	s_branch .LBB7_515
.LBB7_511:
	s_mov_b32 s25, -1
                                        ; implicit-def: $vgpr2_vgpr3
.LBB7_512:
	s_delay_alu instid0(SALU_CYCLE_1)
	s_and_not1_b32 vcc_lo, exec_lo, s25
	s_cbranch_vccnz .LBB7_514
; %bb.513:
	global_load_b32 v1, v[8:9], off
	s_wait_loadcnt 0x0
	v_cvt_f64_f32_e32 v[2:3], v1
.LBB7_514:
	s_mov_b32 s25, 0
.LBB7_515:
	s_delay_alu instid0(SALU_CYCLE_1)
	s_and_not1_b32 vcc_lo, exec_lo, s25
	s_cbranch_vccnz .LBB7_517
; %bb.516:
	global_load_b32 v1, v[8:9], off
	s_wait_loadcnt 0x0
	v_cvt_f32_f16_e32 v1, v1
	s_delay_alu instid0(VALU_DEP_1)
	v_cvt_f64_f32_e32 v[2:3], v1
.LBB7_517:
	s_mov_b32 s25, 0
.LBB7_518:
	s_delay_alu instid0(SALU_CYCLE_1)
	s_and_not1_b32 vcc_lo, exec_lo, s25
	s_cbranch_vccnz .LBB7_529
; %bb.519:
	s_cmp_lt_i32 s0, 6
	s_cbranch_scc1 .LBB7_522
; %bb.520:
	s_cmp_gt_i32 s0, 6
	s_cbranch_scc0 .LBB7_523
; %bb.521:
	s_wait_loadcnt 0x0
	global_load_b64 v[2:3], v[8:9], off
	s_mov_b32 s25, 0
	s_branch .LBB7_524
.LBB7_522:
	s_mov_b32 s25, -1
                                        ; implicit-def: $vgpr2_vgpr3
	s_branch .LBB7_527
.LBB7_523:
	s_mov_b32 s25, -1
                                        ; implicit-def: $vgpr2_vgpr3
.LBB7_524:
	s_delay_alu instid0(SALU_CYCLE_1)
	s_and_not1_b32 vcc_lo, exec_lo, s25
	s_cbranch_vccnz .LBB7_526
; %bb.525:
	global_load_b32 v1, v[8:9], off
	s_wait_loadcnt 0x0
	v_cvt_f64_f32_e32 v[2:3], v1
.LBB7_526:
	s_mov_b32 s25, 0
.LBB7_527:
	s_delay_alu instid0(SALU_CYCLE_1)
	s_and_not1_b32 vcc_lo, exec_lo, s25
	s_cbranch_vccnz .LBB7_529
; %bb.528:
	global_load_u16 v1, v[8:9], off
	s_wait_loadcnt 0x0
	v_cvt_f32_f16_e32 v1, v1
	s_delay_alu instid0(VALU_DEP_1)
	v_cvt_f64_f32_e32 v[2:3], v1
.LBB7_529:
	s_mov_b32 s25, 0
.LBB7_530:
	s_delay_alu instid0(SALU_CYCLE_1)
	s_and_not1_b32 vcc_lo, exec_lo, s25
	s_cbranch_vccnz .LBB7_550
; %bb.531:
	s_cmp_lt_i32 s0, 2
	s_cbranch_scc1 .LBB7_535
; %bb.532:
	s_cmp_lt_i32 s0, 3
	s_cbranch_scc1 .LBB7_536
; %bb.533:
	s_cmp_gt_i32 s0, 3
	s_cbranch_scc0 .LBB7_537
; %bb.534:
	s_wait_loadcnt 0x0
	global_load_b64 v[2:3], v[8:9], off
	s_mov_b32 s25, 0
	s_wait_loadcnt 0x0
	v_cvt_f64_i32_e32 v[10:11], v3
	v_cvt_f64_u32_e32 v[2:3], v2
	s_delay_alu instid0(VALU_DEP_2) | instskip(NEXT) | instid1(VALU_DEP_1)
	v_ldexp_f64 v[10:11], v[10:11], 32
	v_add_f64_e32 v[2:3], v[10:11], v[2:3]
	s_branch .LBB7_538
.LBB7_535:
	s_mov_b32 s25, -1
                                        ; implicit-def: $vgpr2_vgpr3
	s_branch .LBB7_544
.LBB7_536:
	s_mov_b32 s25, -1
                                        ; implicit-def: $vgpr2_vgpr3
	s_branch .LBB7_541
.LBB7_537:
	s_mov_b32 s25, -1
                                        ; implicit-def: $vgpr2_vgpr3
.LBB7_538:
	s_delay_alu instid0(SALU_CYCLE_1)
	s_and_not1_b32 vcc_lo, exec_lo, s25
	s_cbranch_vccnz .LBB7_540
; %bb.539:
	global_load_b32 v1, v[8:9], off
	s_wait_loadcnt 0x0
	v_cvt_f64_i32_e32 v[2:3], v1
.LBB7_540:
	s_mov_b32 s25, 0
.LBB7_541:
	s_delay_alu instid0(SALU_CYCLE_1)
	s_and_not1_b32 vcc_lo, exec_lo, s25
	s_cbranch_vccnz .LBB7_543
; %bb.542:
	global_load_i16 v1, v[8:9], off
	s_wait_loadcnt 0x0
	v_cvt_f64_i32_e32 v[2:3], v1
.LBB7_543:
	s_mov_b32 s25, 0
.LBB7_544:
	s_delay_alu instid0(SALU_CYCLE_1)
	s_and_not1_b32 vcc_lo, exec_lo, s25
	s_cbranch_vccnz .LBB7_550
; %bb.545:
	s_cmp_gt_i32 s0, 0
	s_mov_b32 s0, 0
	s_cbranch_scc0 .LBB7_547
; %bb.546:
	global_load_i8 v1, v[8:9], off
	s_wait_loadcnt 0x0
	v_cvt_f64_i32_e32 v[2:3], v1
	s_branch .LBB7_548
.LBB7_547:
	s_mov_b32 s0, -1
                                        ; implicit-def: $vgpr2_vgpr3
.LBB7_548:
	s_delay_alu instid0(SALU_CYCLE_1)
	s_and_not1_b32 vcc_lo, exec_lo, s0
	s_cbranch_vccnz .LBB7_550
; %bb.549:
	global_load_u8 v1, v[8:9], off
	s_wait_loadcnt 0x0
	v_cvt_f64_u32_e32 v[2:3], v1
.LBB7_550:
	s_branch .LBB7_418
.LBB7_551:
	s_mov_b32 s46, 0
	s_mov_b32 s0, s38
	;; [unrolled: 1-line block ×3, first 2 shown]
	s_branch .LBB7_795
.LBB7_552:
	s_and_not1_saveexec_b32 s43, s43
	s_cbranch_execz .LBB7_204
.LBB7_553:
	v_add_f32_e64 v3, 0x42800000, |v2|
	s_and_not1_b32 s42, s42, exec_lo
	s_delay_alu instid0(VALU_DEP_1) | instskip(NEXT) | instid1(VALU_DEP_1)
	v_and_b32_e32 v3, 0xff, v3
	v_cmp_ne_u32_e32 vcc_lo, 0, v3
	s_and_b32 s44, vcc_lo, exec_lo
	s_delay_alu instid0(SALU_CYCLE_1)
	s_or_b32 s42, s42, s44
	s_or_b32 exec_lo, exec_lo, s43
	v_mov_b32_e32 v5, 0
	s_and_saveexec_b32 s43, s42
	s_cbranch_execnz .LBB7_205
	s_branch .LBB7_206
.LBB7_554:
	s_mov_b32 s25, -1
	s_mov_b32 s43, 0
.LBB7_555:
                                        ; implicit-def: $vgpr8_vgpr9
.LBB7_556:
	s_and_b32 vcc_lo, exec_lo, s44
	s_cbranch_vccz .LBB7_560
; %bb.557:
	s_cmp_eq_u32 s42, 44
	s_cbranch_scc0 .LBB7_559
; %bb.558:
	global_load_u8 v1, v[6:7], off
	s_mov_b32 s25, 0
	s_mov_b32 s43, -1
	s_wait_loadcnt 0x0
	v_lshlrev_b32_e32 v5, 23, v1
	v_cmp_ne_u32_e32 vcc_lo, 0xff, v1
	s_wait_xcnt 0x1
	s_delay_alu instid0(VALU_DEP_2) | instskip(NEXT) | instid1(VALU_DEP_1)
	v_cvt_f64_f32_e32 v[8:9], v5
	v_cndmask_b32_e32 v5, 0x20000000, v8, vcc_lo
	s_delay_alu instid0(VALU_DEP_2) | instskip(SKIP_1) | instid1(VALU_DEP_2)
	v_cndmask_b32_e32 v8, 0x7ff80000, v9, vcc_lo
	v_cmp_ne_u32_e32 vcc_lo, 0, v1
	v_cndmask_b32_e32 v9, 0x38000000, v8, vcc_lo
	s_delay_alu instid0(VALU_DEP_4)
	v_cndmask_b32_e32 v8, 0, v5, vcc_lo
	s_branch .LBB7_560
.LBB7_559:
	s_mov_b32 s25, -1
                                        ; implicit-def: $vgpr8_vgpr9
.LBB7_560:
	s_mov_b32 s44, 0
.LBB7_561:
	s_delay_alu instid0(SALU_CYCLE_1)
	s_and_b32 vcc_lo, exec_lo, s44
	s_cbranch_vccz .LBB7_565
; %bb.562:
	s_cmp_eq_u32 s42, 29
	s_cbranch_scc0 .LBB7_564
; %bb.563:
	global_load_b64 v[8:9], v[6:7], off
	s_mov_b32 s43, -1
	s_mov_b32 s25, 0
	s_mov_b32 s44, 0
	s_wait_loadcnt 0x0
	v_cvt_f64_u32_e32 v[10:11], v9
	v_cvt_f64_u32_e32 v[8:9], v8
	s_delay_alu instid0(VALU_DEP_2) | instskip(NEXT) | instid1(VALU_DEP_1)
	v_ldexp_f64 v[10:11], v[10:11], 32
	v_add_f64_e32 v[8:9], v[10:11], v[8:9]
	s_branch .LBB7_566
.LBB7_564:
	s_mov_b32 s25, -1
                                        ; implicit-def: $vgpr8_vgpr9
.LBB7_565:
	s_mov_b32 s44, 0
.LBB7_566:
	s_delay_alu instid0(SALU_CYCLE_1)
	s_and_b32 vcc_lo, exec_lo, s44
	s_cbranch_vccz .LBB7_584
; %bb.567:
	s_cmp_lt_i32 s42, 27
	s_cbranch_scc1 .LBB7_570
; %bb.568:
	s_cmp_gt_i32 s42, 27
	s_cbranch_scc0 .LBB7_571
; %bb.569:
	global_load_b32 v1, v[6:7], off
	s_mov_b32 s43, 0
	s_wait_loadcnt 0x0
	s_wait_xcnt 0x1
	v_cvt_f64_u32_e32 v[8:9], v1
	s_branch .LBB7_572
.LBB7_570:
	s_mov_b32 s43, -1
                                        ; implicit-def: $vgpr8_vgpr9
	s_branch .LBB7_575
.LBB7_571:
	s_mov_b32 s43, -1
                                        ; implicit-def: $vgpr8_vgpr9
.LBB7_572:
	s_delay_alu instid0(SALU_CYCLE_1)
	s_and_not1_b32 vcc_lo, exec_lo, s43
	s_cbranch_vccnz .LBB7_574
; %bb.573:
	global_load_u16 v1, v[6:7], off
	s_wait_loadcnt 0x0
	s_wait_xcnt 0x1
	v_cvt_f64_u32_e32 v[8:9], v1
.LBB7_574:
	s_mov_b32 s43, 0
.LBB7_575:
	s_delay_alu instid0(SALU_CYCLE_1)
	s_and_not1_b32 vcc_lo, exec_lo, s43
	s_cbranch_vccnz .LBB7_583
; %bb.576:
	global_load_u8 v1, v[6:7], off
	s_mov_b32 s43, 0
	s_mov_b32 s44, exec_lo
	s_wait_loadcnt 0x0
	v_cmpx_lt_i16_e32 0x7f, v1
	s_xor_b32 s44, exec_lo, s44
	s_cbranch_execz .LBB7_597
; %bb.577:
	s_mov_b32 s43, -1
	s_mov_b32 s46, exec_lo
	v_cmpx_eq_u16_e32 0x80, v1
; %bb.578:
	s_xor_b32 s43, exec_lo, -1
; %bb.579:
	s_or_b32 exec_lo, exec_lo, s46
	s_delay_alu instid0(SALU_CYCLE_1)
	s_and_b32 s43, s43, exec_lo
	s_or_saveexec_b32 s44, s44
	v_mov_b64_e32 v[8:9], 0x7ff8000020000000
	s_xor_b32 exec_lo, exec_lo, s44
	s_cbranch_execnz .LBB7_598
.LBB7_580:
	s_or_b32 exec_lo, exec_lo, s44
	s_and_saveexec_b32 s44, s43
	s_cbranch_execz .LBB7_582
.LBB7_581:
	v_and_b32_e32 v5, 0xffff, v1
	v_lshlrev_b32_e32 v1, 24, v1
	s_delay_alu instid0(VALU_DEP_2) | instskip(SKIP_1) | instid1(VALU_DEP_3)
	v_and_b32_e32 v8, 7, v5
	v_bfe_u32 v11, v5, 3, 4
	v_and_b32_e32 v1, 0x80000000, v1
	s_delay_alu instid0(VALU_DEP_3) | instskip(NEXT) | instid1(VALU_DEP_3)
	v_clz_i32_u32_e32 v9, v8
	v_cmp_eq_u32_e32 vcc_lo, 0, v11
	s_delay_alu instid0(VALU_DEP_2) | instskip(NEXT) | instid1(VALU_DEP_1)
	v_min_u32_e32 v9, 32, v9
	v_subrev_nc_u32_e32 v10, 28, v9
	v_sub_nc_u32_e32 v9, 29, v9
	s_delay_alu instid0(VALU_DEP_2) | instskip(NEXT) | instid1(VALU_DEP_2)
	v_lshlrev_b32_e32 v5, v10, v5
	v_cndmask_b32_e32 v9, v11, v9, vcc_lo
	s_delay_alu instid0(VALU_DEP_2) | instskip(NEXT) | instid1(VALU_DEP_1)
	v_and_b32_e32 v5, 7, v5
	v_cndmask_b32_e32 v5, v8, v5, vcc_lo
	s_delay_alu instid0(VALU_DEP_3) | instskip(NEXT) | instid1(VALU_DEP_2)
	v_lshl_add_u32 v8, v9, 23, 0x3b800000
	v_lshlrev_b32_e32 v5, 20, v5
	s_delay_alu instid0(VALU_DEP_1) | instskip(NEXT) | instid1(VALU_DEP_1)
	v_or3_b32 v1, v1, v8, v5
	v_cvt_f64_f32_e32 v[8:9], v1
.LBB7_582:
	s_or_b32 exec_lo, exec_lo, s44
.LBB7_583:
	s_mov_b32 s43, -1
.LBB7_584:
	s_mov_b32 s44, 0
.LBB7_585:
	s_delay_alu instid0(SALU_CYCLE_1)
	s_and_b32 vcc_lo, exec_lo, s44
	s_cbranch_vccz .LBB7_620
; %bb.586:
	s_cmp_gt_i32 s42, 22
	s_cbranch_scc0 .LBB7_596
; %bb.587:
	s_cmp_lt_i32 s42, 24
	s_cbranch_scc1 .LBB7_599
; %bb.588:
	s_cmp_gt_i32 s42, 24
	s_cbranch_scc0 .LBB7_600
; %bb.589:
	global_load_u8 v1, v[6:7], off
	s_mov_b32 s43, 0
	s_mov_b32 s44, exec_lo
	s_wait_loadcnt 0x0
	v_cmpx_lt_i16_e32 0x7f, v1
	s_xor_b32 s44, exec_lo, s44
	s_cbranch_execz .LBB7_612
; %bb.590:
	s_mov_b32 s43, -1
	s_mov_b32 s46, exec_lo
	v_cmpx_eq_u16_e32 0x80, v1
; %bb.591:
	s_xor_b32 s43, exec_lo, -1
; %bb.592:
	s_or_b32 exec_lo, exec_lo, s46
	s_delay_alu instid0(SALU_CYCLE_1)
	s_and_b32 s43, s43, exec_lo
	s_or_saveexec_b32 s44, s44
	v_mov_b64_e32 v[8:9], 0x7ff8000020000000
	s_xor_b32 exec_lo, exec_lo, s44
	s_cbranch_execnz .LBB7_613
.LBB7_593:
	s_or_b32 exec_lo, exec_lo, s44
	s_and_saveexec_b32 s44, s43
	s_cbranch_execz .LBB7_595
.LBB7_594:
	v_and_b32_e32 v5, 0xffff, v1
	v_lshlrev_b32_e32 v1, 24, v1
	s_delay_alu instid0(VALU_DEP_2) | instskip(SKIP_1) | instid1(VALU_DEP_3)
	v_and_b32_e32 v8, 3, v5
	v_bfe_u32 v11, v5, 2, 5
	v_and_b32_e32 v1, 0x80000000, v1
	s_delay_alu instid0(VALU_DEP_3) | instskip(NEXT) | instid1(VALU_DEP_3)
	v_clz_i32_u32_e32 v9, v8
	v_cmp_eq_u32_e32 vcc_lo, 0, v11
	s_delay_alu instid0(VALU_DEP_2) | instskip(NEXT) | instid1(VALU_DEP_1)
	v_min_u32_e32 v9, 32, v9
	v_subrev_nc_u32_e32 v10, 29, v9
	v_sub_nc_u32_e32 v9, 30, v9
	s_delay_alu instid0(VALU_DEP_2) | instskip(NEXT) | instid1(VALU_DEP_2)
	v_lshlrev_b32_e32 v5, v10, v5
	v_cndmask_b32_e32 v9, v11, v9, vcc_lo
	s_delay_alu instid0(VALU_DEP_2) | instskip(NEXT) | instid1(VALU_DEP_1)
	v_and_b32_e32 v5, 3, v5
	v_cndmask_b32_e32 v5, v8, v5, vcc_lo
	s_delay_alu instid0(VALU_DEP_3) | instskip(NEXT) | instid1(VALU_DEP_2)
	v_lshl_add_u32 v8, v9, 23, 0x37800000
	v_lshlrev_b32_e32 v5, 21, v5
	s_delay_alu instid0(VALU_DEP_1) | instskip(NEXT) | instid1(VALU_DEP_1)
	v_or3_b32 v1, v1, v8, v5
	v_cvt_f64_f32_e32 v[8:9], v1
.LBB7_595:
	s_or_b32 exec_lo, exec_lo, s44
	s_mov_b32 s43, 0
	s_branch .LBB7_601
.LBB7_596:
	s_mov_b32 s44, -1
                                        ; implicit-def: $vgpr8_vgpr9
	s_branch .LBB7_607
.LBB7_597:
	s_or_saveexec_b32 s44, s44
	v_mov_b64_e32 v[8:9], 0x7ff8000020000000
	s_xor_b32 exec_lo, exec_lo, s44
	s_cbranch_execz .LBB7_580
.LBB7_598:
	v_cmp_ne_u16_e32 vcc_lo, 0, v1
	v_mov_b64_e32 v[8:9], 0
	s_and_not1_b32 s43, s43, exec_lo
	s_and_b32 s46, vcc_lo, exec_lo
	s_delay_alu instid0(SALU_CYCLE_1)
	s_or_b32 s43, s43, s46
	s_or_b32 exec_lo, exec_lo, s44
	s_and_saveexec_b32 s44, s43
	s_cbranch_execnz .LBB7_581
	s_branch .LBB7_582
.LBB7_599:
	s_mov_b32 s43, -1
                                        ; implicit-def: $vgpr8_vgpr9
	s_branch .LBB7_604
.LBB7_600:
	s_mov_b32 s43, -1
                                        ; implicit-def: $vgpr8_vgpr9
.LBB7_601:
	s_delay_alu instid0(SALU_CYCLE_1)
	s_and_b32 vcc_lo, exec_lo, s43
	s_cbranch_vccz .LBB7_603
; %bb.602:
	global_load_u8 v1, v[6:7], off
	s_wait_loadcnt 0x0
	v_lshlrev_b32_e32 v1, 24, v1
	s_delay_alu instid0(VALU_DEP_1) | instskip(SKIP_1) | instid1(VALU_DEP_1)
	v_and_b32_e32 v5, 0x7f000000, v1
	s_wait_xcnt 0x1
	v_clz_i32_u32_e32 v8, v5
	v_cmp_ne_u32_e32 vcc_lo, 0, v5
	v_add_nc_u32_e32 v10, 0x1000000, v5
	s_delay_alu instid0(VALU_DEP_3) | instskip(NEXT) | instid1(VALU_DEP_1)
	v_min_u32_e32 v8, 32, v8
	v_sub_nc_u32_e64 v8, v8, 4 clamp
	s_delay_alu instid0(VALU_DEP_1) | instskip(NEXT) | instid1(VALU_DEP_1)
	v_dual_lshlrev_b32 v9, v8, v5 :: v_dual_lshlrev_b32 v8, 23, v8
	v_lshrrev_b32_e32 v9, 4, v9
	s_delay_alu instid0(VALU_DEP_1) | instskip(NEXT) | instid1(VALU_DEP_1)
	v_dual_sub_nc_u32 v8, v9, v8 :: v_dual_ashrrev_i32 v9, 8, v10
	v_add_nc_u32_e32 v8, 0x3c000000, v8
	s_delay_alu instid0(VALU_DEP_1) | instskip(NEXT) | instid1(VALU_DEP_1)
	v_and_or_b32 v8, 0x7f800000, v9, v8
	v_cndmask_b32_e32 v5, 0, v8, vcc_lo
	s_delay_alu instid0(VALU_DEP_1) | instskip(NEXT) | instid1(VALU_DEP_1)
	v_and_or_b32 v1, 0x80000000, v1, v5
	v_cvt_f64_f32_e32 v[8:9], v1
.LBB7_603:
	s_mov_b32 s43, 0
.LBB7_604:
	s_delay_alu instid0(SALU_CYCLE_1)
	s_and_not1_b32 vcc_lo, exec_lo, s43
	s_cbranch_vccnz .LBB7_606
; %bb.605:
	global_load_u8 v1, v[6:7], off
	s_wait_loadcnt 0x0
	v_lshlrev_b32_e32 v5, 25, v1
	v_lshlrev_b16 v1, 8, v1
	s_wait_xcnt 0x1
	s_delay_alu instid0(VALU_DEP_2) | instskip(NEXT) | instid1(VALU_DEP_2)
	v_lshrrev_b32_e32 v8, 4, v5
	v_and_or_b32 v9, 0x7f00, v1, 0.5
	v_bfe_i32 v1, v1, 0, 16
	s_delay_alu instid0(VALU_DEP_3) | instskip(NEXT) | instid1(VALU_DEP_1)
	v_or_b32_e32 v8, 0x70000000, v8
	v_dual_add_f32 v9, -0.5, v9 :: v_dual_mul_f32 v8, 0x7800000, v8
	v_cmp_gt_u32_e32 vcc_lo, 0x8000000, v5
	s_delay_alu instid0(VALU_DEP_2) | instskip(NEXT) | instid1(VALU_DEP_1)
	v_cndmask_b32_e32 v5, v8, v9, vcc_lo
	v_and_or_b32 v1, 0x80000000, v1, v5
	s_delay_alu instid0(VALU_DEP_1)
	v_cvt_f64_f32_e32 v[8:9], v1
.LBB7_606:
	s_mov_b32 s44, 0
	s_mov_b32 s43, -1
.LBB7_607:
	s_and_not1_b32 vcc_lo, exec_lo, s44
	s_cbranch_vccnz .LBB7_620
; %bb.608:
	s_cmp_gt_i32 s42, 14
	s_cbranch_scc0 .LBB7_611
; %bb.609:
	s_cmp_eq_u32 s42, 15
	s_cbranch_scc0 .LBB7_614
; %bb.610:
	global_load_u16 v1, v[6:7], off
	s_mov_b32 s43, -1
	s_mov_b32 s25, 0
	s_wait_loadcnt 0x0
	v_lshlrev_b32_e32 v1, 16, v1
	s_wait_xcnt 0x1
	s_delay_alu instid0(VALU_DEP_1)
	v_cvt_f64_f32_e32 v[8:9], v1
	s_branch .LBB7_615
.LBB7_611:
	s_mov_b32 s44, -1
                                        ; implicit-def: $vgpr8_vgpr9
	s_branch .LBB7_616
.LBB7_612:
	s_or_saveexec_b32 s44, s44
	v_mov_b64_e32 v[8:9], 0x7ff8000020000000
	s_xor_b32 exec_lo, exec_lo, s44
	s_cbranch_execz .LBB7_593
.LBB7_613:
	v_cmp_ne_u16_e32 vcc_lo, 0, v1
	v_mov_b64_e32 v[8:9], 0
	s_and_not1_b32 s43, s43, exec_lo
	s_and_b32 s46, vcc_lo, exec_lo
	s_delay_alu instid0(SALU_CYCLE_1)
	s_or_b32 s43, s43, s46
	s_or_b32 exec_lo, exec_lo, s44
	s_and_saveexec_b32 s44, s43
	s_cbranch_execnz .LBB7_594
	s_branch .LBB7_595
.LBB7_614:
	s_mov_b32 s25, -1
                                        ; implicit-def: $vgpr8_vgpr9
.LBB7_615:
	s_mov_b32 s44, 0
.LBB7_616:
	s_delay_alu instid0(SALU_CYCLE_1)
	s_and_b32 vcc_lo, exec_lo, s44
	s_cbranch_vccz .LBB7_620
; %bb.617:
	s_cmp_eq_u32 s42, 11
	s_cbranch_scc0 .LBB7_619
; %bb.618:
	global_load_u8 v1, v[6:7], off
	s_wait_xcnt 0x1
	v_mov_b32_e32 v8, 0
	s_mov_b32 s25, 0
	s_mov_b32 s43, -1
	s_wait_loadcnt 0x0
	v_cmp_ne_u16_e32 vcc_lo, 0, v1
	v_cndmask_b32_e64 v9, 0, 0x3ff00000, vcc_lo
	s_branch .LBB7_620
.LBB7_619:
	s_mov_b32 s25, -1
                                        ; implicit-def: $vgpr8_vgpr9
.LBB7_620:
	s_mov_b32 s42, 0
.LBB7_621:
	s_delay_alu instid0(SALU_CYCLE_1)
	s_and_b32 vcc_lo, exec_lo, s42
	s_cbranch_vccz .LBB7_670
; %bb.622:
	s_and_b32 s0, 0xffff, s0
	s_delay_alu instid0(SALU_CYCLE_1)
	s_cmp_lt_i32 s0, 5
	s_cbranch_scc1 .LBB7_627
; %bb.623:
	s_cmp_lt_i32 s0, 8
	s_cbranch_scc1 .LBB7_628
; %bb.624:
	;; [unrolled: 3-line block ×3, first 2 shown]
	s_cmp_gt_i32 s0, 9
	s_cbranch_scc0 .LBB7_630
; %bb.626:
	global_load_b64 v[8:9], v[6:7], off
	s_mov_b32 s42, 0
	s_branch .LBB7_631
.LBB7_627:
	s_mov_b32 s42, -1
                                        ; implicit-def: $vgpr8_vgpr9
	s_branch .LBB7_649
.LBB7_628:
	s_mov_b32 s42, -1
                                        ; implicit-def: $vgpr8_vgpr9
	s_branch .LBB7_637
.LBB7_629:
	s_mov_b32 s42, -1
                                        ; implicit-def: $vgpr8_vgpr9
	s_branch .LBB7_634
.LBB7_630:
	s_mov_b32 s42, -1
                                        ; implicit-def: $vgpr8_vgpr9
.LBB7_631:
	s_delay_alu instid0(SALU_CYCLE_1)
	s_and_not1_b32 vcc_lo, exec_lo, s42
	s_cbranch_vccnz .LBB7_633
; %bb.632:
	global_load_b32 v1, v[6:7], off
	s_wait_loadcnt 0x0
	s_wait_xcnt 0x1
	v_cvt_f64_f32_e32 v[8:9], v1
.LBB7_633:
	s_mov_b32 s42, 0
.LBB7_634:
	s_delay_alu instid0(SALU_CYCLE_1)
	s_and_not1_b32 vcc_lo, exec_lo, s42
	s_cbranch_vccnz .LBB7_636
; %bb.635:
	global_load_b32 v1, v[6:7], off
	s_wait_loadcnt 0x0
	v_cvt_f32_f16_e32 v1, v1
	s_wait_xcnt 0x1
	s_delay_alu instid0(VALU_DEP_1)
	v_cvt_f64_f32_e32 v[8:9], v1
.LBB7_636:
	s_mov_b32 s42, 0
.LBB7_637:
	s_delay_alu instid0(SALU_CYCLE_1)
	s_and_not1_b32 vcc_lo, exec_lo, s42
	s_cbranch_vccnz .LBB7_648
; %bb.638:
	s_cmp_lt_i32 s0, 6
	s_cbranch_scc1 .LBB7_641
; %bb.639:
	s_cmp_gt_i32 s0, 6
	s_cbranch_scc0 .LBB7_642
; %bb.640:
	s_wait_loadcnt 0x0
	global_load_b64 v[8:9], v[6:7], off
	s_mov_b32 s42, 0
	s_branch .LBB7_643
.LBB7_641:
	s_mov_b32 s42, -1
                                        ; implicit-def: $vgpr8_vgpr9
	s_branch .LBB7_646
.LBB7_642:
	s_mov_b32 s42, -1
                                        ; implicit-def: $vgpr8_vgpr9
.LBB7_643:
	s_delay_alu instid0(SALU_CYCLE_1)
	s_and_not1_b32 vcc_lo, exec_lo, s42
	s_cbranch_vccnz .LBB7_645
; %bb.644:
	global_load_b32 v1, v[6:7], off
	s_wait_loadcnt 0x0
	s_wait_xcnt 0x1
	v_cvt_f64_f32_e32 v[8:9], v1
.LBB7_645:
	s_mov_b32 s42, 0
.LBB7_646:
	s_delay_alu instid0(SALU_CYCLE_1)
	s_and_not1_b32 vcc_lo, exec_lo, s42
	s_cbranch_vccnz .LBB7_648
; %bb.647:
	global_load_u16 v1, v[6:7], off
	s_wait_loadcnt 0x0
	v_cvt_f32_f16_e32 v1, v1
	s_wait_xcnt 0x1
	s_delay_alu instid0(VALU_DEP_1)
	v_cvt_f64_f32_e32 v[8:9], v1
.LBB7_648:
	s_mov_b32 s42, 0
.LBB7_649:
	s_delay_alu instid0(SALU_CYCLE_1)
	s_and_not1_b32 vcc_lo, exec_lo, s42
	s_cbranch_vccnz .LBB7_669
; %bb.650:
	s_cmp_lt_i32 s0, 2
	s_cbranch_scc1 .LBB7_654
; %bb.651:
	s_cmp_lt_i32 s0, 3
	s_cbranch_scc1 .LBB7_655
; %bb.652:
	s_cmp_gt_i32 s0, 3
	s_cbranch_scc0 .LBB7_656
; %bb.653:
	s_wait_loadcnt 0x0
	global_load_b64 v[8:9], v[6:7], off
	s_mov_b32 s42, 0
	s_wait_loadcnt 0x0
	v_cvt_f64_i32_e32 v[10:11], v9
	v_cvt_f64_u32_e32 v[8:9], v8
	s_delay_alu instid0(VALU_DEP_2) | instskip(NEXT) | instid1(VALU_DEP_1)
	v_ldexp_f64 v[10:11], v[10:11], 32
	v_add_f64_e32 v[8:9], v[10:11], v[8:9]
	s_branch .LBB7_657
.LBB7_654:
	s_mov_b32 s42, -1
                                        ; implicit-def: $vgpr8_vgpr9
	s_branch .LBB7_663
.LBB7_655:
	s_mov_b32 s42, -1
                                        ; implicit-def: $vgpr8_vgpr9
	s_branch .LBB7_660
.LBB7_656:
	s_mov_b32 s42, -1
                                        ; implicit-def: $vgpr8_vgpr9
.LBB7_657:
	s_delay_alu instid0(SALU_CYCLE_1)
	s_and_not1_b32 vcc_lo, exec_lo, s42
	s_cbranch_vccnz .LBB7_659
; %bb.658:
	global_load_b32 v1, v[6:7], off
	s_wait_loadcnt 0x0
	s_wait_xcnt 0x1
	v_cvt_f64_i32_e32 v[8:9], v1
.LBB7_659:
	s_mov_b32 s42, 0
.LBB7_660:
	s_delay_alu instid0(SALU_CYCLE_1)
	s_and_not1_b32 vcc_lo, exec_lo, s42
	s_cbranch_vccnz .LBB7_662
; %bb.661:
	global_load_i16 v1, v[6:7], off
	s_wait_loadcnt 0x0
	s_wait_xcnt 0x1
	v_cvt_f64_i32_e32 v[8:9], v1
.LBB7_662:
	s_mov_b32 s42, 0
.LBB7_663:
	s_delay_alu instid0(SALU_CYCLE_1)
	s_and_not1_b32 vcc_lo, exec_lo, s42
	s_cbranch_vccnz .LBB7_669
; %bb.664:
	s_cmp_gt_i32 s0, 0
	s_mov_b32 s0, 0
	s_cbranch_scc0 .LBB7_666
; %bb.665:
	global_load_i8 v1, v[6:7], off
	s_wait_loadcnt 0x0
	s_wait_xcnt 0x1
	v_cvt_f64_i32_e32 v[8:9], v1
	s_branch .LBB7_667
.LBB7_666:
	s_mov_b32 s0, -1
                                        ; implicit-def: $vgpr8_vgpr9
.LBB7_667:
	s_delay_alu instid0(SALU_CYCLE_1)
	s_and_not1_b32 vcc_lo, exec_lo, s0
	s_cbranch_vccnz .LBB7_669
; %bb.668:
	global_load_u8 v1, v[6:7], off
	s_wait_loadcnt 0x0
	s_wait_xcnt 0x1
	v_cvt_f64_u32_e32 v[8:9], v1
.LBB7_669:
	s_mov_b32 s43, -1
.LBB7_670:
	s_delay_alu instid0(SALU_CYCLE_1)
	s_and_not1_b32 vcc_lo, exec_lo, s43
	s_cbranch_vccnz .LBB7_678
; %bb.671:
	s_wait_loadcnt 0x0
	s_delay_alu instid0(VALU_DEP_1) | instskip(SKIP_2) | instid1(SALU_CYCLE_1)
	v_dual_mul_f64 v[8:9], v[2:3], v[8:9] :: v_dual_mov_b32 v1, 0
	v_cmp_lt_f64_e32 vcc_lo, 0, v[2:3]
	s_and_b32 s42, s31, 0xff
	s_cmp_lt_i32 s42, 11
	s_delay_alu instid0(VALU_DEP_2) | instskip(NEXT) | instid1(VALU_DEP_3)
	v_add_nc_u64_e32 v[6:7], s[4:5], v[0:1]
	v_dual_cndmask_b32 v1, v9, v3 :: v_dual_cndmask_b32 v0, v8, v2
	s_cbranch_scc1 .LBB7_679
; %bb.672:
	s_and_b32 s43, 0xffff, s42
	s_delay_alu instid0(SALU_CYCLE_1)
	s_cmp_gt_i32 s43, 25
	s_cbranch_scc0 .LBB7_680
; %bb.673:
	s_cmp_gt_i32 s43, 28
	s_cbranch_scc0 .LBB7_681
; %bb.674:
	;; [unrolled: 3-line block ×4, first 2 shown]
	s_mov_b32 s46, 0
	s_mov_b32 s0, -1
	s_cmp_eq_u32 s43, 46
	s_mov_b32 s44, 0
	s_cbranch_scc0 .LBB7_684
; %bb.677:
	v_cvt_f32_f64_e32 v2, v[0:1]
	s_mov_b32 s44, -1
	s_mov_b32 s0, 0
	s_delay_alu instid0(VALU_DEP_1) | instskip(SKIP_1) | instid1(VALU_DEP_2)
	v_bfe_u32 v3, v2, 16, 1
	v_cmp_o_f32_e32 vcc_lo, v2, v2
	v_add3_u32 v3, v2, v3, 0x7fff
	s_delay_alu instid0(VALU_DEP_1) | instskip(NEXT) | instid1(VALU_DEP_1)
	v_lshrrev_b32_e32 v3, 16, v3
	v_cndmask_b32_e32 v2, 0x7fc0, v3, vcc_lo
	global_store_b32 v[6:7], v2, off
	s_branch .LBB7_684
.LBB7_678:
	s_mov_b32 s46, 0
	s_mov_b32 s0, s38
	s_branch .LBB7_795
.LBB7_679:
	s_mov_b32 s43, -1
	s_mov_b32 s44, 0
	s_mov_b32 s0, s38
	s_branch .LBB7_753
.LBB7_680:
	s_mov_b32 s46, -1
	s_mov_b32 s44, 0
	s_mov_b32 s0, s38
	s_branch .LBB7_711
.LBB7_681:
	s_mov_b32 s46, -1
	s_mov_b32 s44, 0
	s_mov_b32 s0, s38
	s_branch .LBB7_694
.LBB7_682:
	s_mov_b32 s46, -1
	s_mov_b32 s44, 0
	s_mov_b32 s0, s38
	s_branch .LBB7_690
.LBB7_683:
	s_mov_b32 s46, -1
	s_mov_b32 s44, 0
	s_mov_b32 s0, s38
.LBB7_684:
	s_and_b32 vcc_lo, exec_lo, s46
	s_cbranch_vccz .LBB7_689
; %bb.685:
	s_cmp_eq_u32 s43, 44
	s_mov_b32 s0, -1
	s_cbranch_scc0 .LBB7_689
; %bb.686:
	s_wait_xcnt 0x0
	v_cvt_f32_f64_e32 v2, v[0:1]
	v_mov_b32_e32 v3, 0xff
	s_mov_b32 s44, exec_lo
	s_delay_alu instid0(VALU_DEP_2) | instskip(NEXT) | instid1(VALU_DEP_1)
	v_bfe_u32 v5, v2, 23, 8
	v_cmpx_ne_u32_e32 0xff, v5
	s_cbranch_execz .LBB7_688
; %bb.687:
	v_and_b32_e32 v3, 0x400000, v2
	v_and_or_b32 v5, 0x3fffff, v2, v5
	v_lshrrev_b32_e32 v2, 23, v2
	s_delay_alu instid0(VALU_DEP_3) | instskip(NEXT) | instid1(VALU_DEP_3)
	v_cmp_ne_u32_e32 vcc_lo, 0, v3
	v_cmp_ne_u32_e64 s0, 0, v5
	s_and_b32 s0, vcc_lo, s0
	s_delay_alu instid0(SALU_CYCLE_1) | instskip(NEXT) | instid1(VALU_DEP_1)
	v_cndmask_b32_e64 v3, 0, 1, s0
	v_add_nc_u32_e32 v3, v2, v3
.LBB7_688:
	s_or_b32 exec_lo, exec_lo, s44
	s_mov_b32 s44, -1
	s_mov_b32 s0, 0
	global_store_b8 v[6:7], v3, off
.LBB7_689:
	s_mov_b32 s46, 0
.LBB7_690:
	s_delay_alu instid0(SALU_CYCLE_1)
	s_and_b32 vcc_lo, exec_lo, s46
	s_cbranch_vccz .LBB7_693
; %bb.691:
	s_cmp_eq_u32 s43, 29
	s_mov_b32 s0, -1
	s_cbranch_scc0 .LBB7_693
; %bb.692:
	s_wait_xcnt 0x0
	v_trunc_f64_e32 v[2:3], v[0:1]
	s_mov_b32 s44, -1
	s_mov_b32 s0, 0
	s_mov_b32 s46, 0
	s_delay_alu instid0(VALU_DEP_1) | instskip(NEXT) | instid1(VALU_DEP_1)
	v_ldexp_f64 v[8:9], v[2:3], 0xffffffe0
	v_floor_f64_e32 v[8:9], v[8:9]
	s_delay_alu instid0(VALU_DEP_1) | instskip(SKIP_1) | instid1(VALU_DEP_2)
	v_fmamk_f64 v[2:3], v[8:9], 0xc1f00000, v[2:3]
	v_cvt_u32_f64_e32 v9, v[8:9]
	v_cvt_u32_f64_e32 v8, v[2:3]
	global_store_b64 v[6:7], v[8:9], off
	s_branch .LBB7_694
.LBB7_693:
	s_mov_b32 s46, 0
.LBB7_694:
	s_delay_alu instid0(SALU_CYCLE_1)
	s_and_b32 vcc_lo, exec_lo, s46
	s_cbranch_vccz .LBB7_710
; %bb.695:
	s_cmp_lt_i32 s43, 27
	s_mov_b32 s44, -1
	s_cbranch_scc1 .LBB7_701
; %bb.696:
	s_wait_xcnt 0x0
	v_cvt_u32_f64_e32 v2, v[0:1]
	s_cmp_gt_i32 s43, 27
	s_cbranch_scc0 .LBB7_698
; %bb.697:
	s_mov_b32 s44, 0
	global_store_b32 v[6:7], v2, off
.LBB7_698:
	s_and_not1_b32 vcc_lo, exec_lo, s44
	s_cbranch_vccnz .LBB7_700
; %bb.699:
	global_store_b16 v[6:7], v2, off
.LBB7_700:
	s_mov_b32 s44, 0
.LBB7_701:
	s_delay_alu instid0(SALU_CYCLE_1)
	s_and_not1_b32 vcc_lo, exec_lo, s44
	s_cbranch_vccnz .LBB7_709
; %bb.702:
	s_wait_xcnt 0x0
	v_cvt_f32_f64_e32 v2, v[0:1]
	v_mov_b32_e32 v5, 0x80
	s_mov_b32 s44, exec_lo
	s_delay_alu instid0(VALU_DEP_2) | instskip(NEXT) | instid1(VALU_DEP_1)
	v_and_b32_e32 v3, 0x7fffffff, v2
	v_cmpx_gt_u32_e32 0x43800000, v3
	s_cbranch_execz .LBB7_708
; %bb.703:
	v_cmp_lt_u32_e32 vcc_lo, 0x3bffffff, v3
	s_mov_b32 s46, 0
                                        ; implicit-def: $vgpr3
	s_and_saveexec_b32 s47, vcc_lo
	s_delay_alu instid0(SALU_CYCLE_1)
	s_xor_b32 s47, exec_lo, s47
	s_cbranch_execz .LBB7_823
; %bb.704:
	v_bfe_u32 v3, v2, 20, 1
	s_mov_b32 s46, exec_lo
	s_delay_alu instid0(VALU_DEP_1) | instskip(NEXT) | instid1(VALU_DEP_1)
	v_add3_u32 v3, v2, v3, 0x487ffff
	v_lshrrev_b32_e32 v3, 20, v3
	s_and_not1_saveexec_b32 s47, s47
	s_cbranch_execnz .LBB7_824
.LBB7_705:
	s_or_b32 exec_lo, exec_lo, s47
	v_mov_b32_e32 v5, 0
	s_and_saveexec_b32 s47, s46
.LBB7_706:
	v_lshrrev_b32_e32 v2, 24, v2
	s_delay_alu instid0(VALU_DEP_1)
	v_and_or_b32 v5, 0x80, v2, v3
.LBB7_707:
	s_or_b32 exec_lo, exec_lo, s47
.LBB7_708:
	s_delay_alu instid0(SALU_CYCLE_1)
	s_or_b32 exec_lo, exec_lo, s44
	global_store_b8 v[6:7], v5, off
.LBB7_709:
	s_mov_b32 s44, -1
.LBB7_710:
	s_mov_b32 s46, 0
.LBB7_711:
	s_delay_alu instid0(SALU_CYCLE_1)
	s_and_b32 vcc_lo, exec_lo, s46
	s_cbranch_vccz .LBB7_752
; %bb.712:
	s_cmp_gt_i32 s43, 22
	s_mov_b32 s46, -1
	s_cbranch_scc0 .LBB7_744
; %bb.713:
	s_cmp_lt_i32 s43, 24
	s_mov_b32 s44, -1
	s_cbranch_scc1 .LBB7_733
; %bb.714:
	s_cmp_gt_i32 s43, 24
	s_cbranch_scc0 .LBB7_722
; %bb.715:
	s_wait_xcnt 0x0
	v_cvt_f32_f64_e32 v2, v[0:1]
	v_mov_b32_e32 v5, 0x80
	s_mov_b32 s44, exec_lo
	s_delay_alu instid0(VALU_DEP_2) | instskip(NEXT) | instid1(VALU_DEP_1)
	v_and_b32_e32 v3, 0x7fffffff, v2
	v_cmpx_gt_u32_e32 0x47800000, v3
	s_cbranch_execz .LBB7_721
; %bb.716:
	v_cmp_lt_u32_e32 vcc_lo, 0x37ffffff, v3
	s_mov_b32 s46, 0
                                        ; implicit-def: $vgpr3
	s_and_saveexec_b32 s47, vcc_lo
	s_delay_alu instid0(SALU_CYCLE_1)
	s_xor_b32 s47, exec_lo, s47
	s_cbranch_execz .LBB7_955
; %bb.717:
	v_bfe_u32 v3, v2, 21, 1
	s_mov_b32 s46, exec_lo
	s_delay_alu instid0(VALU_DEP_1) | instskip(NEXT) | instid1(VALU_DEP_1)
	v_add3_u32 v3, v2, v3, 0x88fffff
	v_lshrrev_b32_e32 v3, 21, v3
	s_and_not1_saveexec_b32 s47, s47
	s_cbranch_execnz .LBB7_956
.LBB7_718:
	s_or_b32 exec_lo, exec_lo, s47
	v_mov_b32_e32 v5, 0
	s_and_saveexec_b32 s47, s46
.LBB7_719:
	v_lshrrev_b32_e32 v2, 24, v2
	s_delay_alu instid0(VALU_DEP_1)
	v_and_or_b32 v5, 0x80, v2, v3
.LBB7_720:
	s_or_b32 exec_lo, exec_lo, s47
.LBB7_721:
	s_delay_alu instid0(SALU_CYCLE_1)
	s_or_b32 exec_lo, exec_lo, s44
	s_mov_b32 s44, 0
	global_store_b8 v[6:7], v5, off
.LBB7_722:
	s_and_b32 vcc_lo, exec_lo, s44
	s_cbranch_vccz .LBB7_732
; %bb.723:
	s_wait_xcnt 0x0
	v_cvt_f32_f64_e32 v2, v[0:1]
	s_mov_b32 s44, exec_lo
                                        ; implicit-def: $vgpr3
	s_delay_alu instid0(VALU_DEP_1) | instskip(NEXT) | instid1(VALU_DEP_1)
	v_and_b32_e32 v5, 0x7fffffff, v2
	v_cmpx_gt_u32_e32 0x43f00000, v5
	s_xor_b32 s44, exec_lo, s44
	s_cbranch_execz .LBB7_729
; %bb.724:
	s_mov_b32 s46, exec_lo
                                        ; implicit-def: $vgpr3
	v_cmpx_lt_u32_e32 0x3c7fffff, v5
	s_xor_b32 s46, exec_lo, s46
; %bb.725:
	v_bfe_u32 v3, v2, 20, 1
	s_delay_alu instid0(VALU_DEP_1) | instskip(NEXT) | instid1(VALU_DEP_1)
	v_add3_u32 v3, v2, v3, 0x407ffff
	v_and_b32_e32 v5, 0xff00000, v3
	v_lshrrev_b32_e32 v3, 20, v3
	s_delay_alu instid0(VALU_DEP_2) | instskip(NEXT) | instid1(VALU_DEP_2)
	v_cmp_ne_u32_e32 vcc_lo, 0x7f00000, v5
	v_cndmask_b32_e32 v3, 0x7e, v3, vcc_lo
; %bb.726:
	s_and_not1_saveexec_b32 s46, s46
; %bb.727:
	v_add_f32_e64 v3, 0x46800000, |v2|
; %bb.728:
	s_or_b32 exec_lo, exec_lo, s46
                                        ; implicit-def: $vgpr5
.LBB7_729:
	s_and_not1_saveexec_b32 s44, s44
; %bb.730:
	v_mov_b32_e32 v3, 0x7f
	v_cmp_lt_u32_e32 vcc_lo, 0x7f800000, v5
	s_delay_alu instid0(VALU_DEP_2)
	v_cndmask_b32_e32 v3, 0x7e, v3, vcc_lo
; %bb.731:
	s_or_b32 exec_lo, exec_lo, s44
	v_lshrrev_b32_e32 v2, 24, v2
	s_delay_alu instid0(VALU_DEP_1)
	v_and_or_b32 v2, 0x80, v2, v3
	global_store_b8 v[6:7], v2, off
.LBB7_732:
	s_mov_b32 s44, 0
.LBB7_733:
	s_delay_alu instid0(SALU_CYCLE_1)
	s_and_not1_b32 vcc_lo, exec_lo, s44
	s_cbranch_vccnz .LBB7_743
; %bb.734:
	s_wait_xcnt 0x0
	v_cvt_f32_f64_e32 v2, v[0:1]
	s_mov_b32 s44, exec_lo
                                        ; implicit-def: $vgpr3
	s_delay_alu instid0(VALU_DEP_1) | instskip(NEXT) | instid1(VALU_DEP_1)
	v_and_b32_e32 v5, 0x7fffffff, v2
	v_cmpx_gt_u32_e32 0x47800000, v5
	s_xor_b32 s44, exec_lo, s44
	s_cbranch_execz .LBB7_740
; %bb.735:
	s_mov_b32 s46, exec_lo
                                        ; implicit-def: $vgpr3
	v_cmpx_lt_u32_e32 0x387fffff, v5
	s_xor_b32 s46, exec_lo, s46
; %bb.736:
	v_bfe_u32 v3, v2, 21, 1
	s_delay_alu instid0(VALU_DEP_1) | instskip(NEXT) | instid1(VALU_DEP_1)
	v_add3_u32 v3, v2, v3, 0x80fffff
	v_lshrrev_b32_e32 v3, 21, v3
; %bb.737:
	s_and_not1_saveexec_b32 s46, s46
; %bb.738:
	v_add_f32_e64 v3, 0x43000000, |v2|
; %bb.739:
	s_or_b32 exec_lo, exec_lo, s46
                                        ; implicit-def: $vgpr5
.LBB7_740:
	s_and_not1_saveexec_b32 s44, s44
; %bb.741:
	v_mov_b32_e32 v3, 0x7f
	v_cmp_lt_u32_e32 vcc_lo, 0x7f800000, v5
	s_delay_alu instid0(VALU_DEP_2)
	v_cndmask_b32_e32 v3, 0x7c, v3, vcc_lo
; %bb.742:
	s_or_b32 exec_lo, exec_lo, s44
	v_lshrrev_b32_e32 v2, 24, v2
	s_delay_alu instid0(VALU_DEP_1)
	v_and_or_b32 v2, 0x80, v2, v3
	global_store_b8 v[6:7], v2, off
.LBB7_743:
	s_mov_b32 s46, 0
	s_mov_b32 s44, -1
.LBB7_744:
	s_and_not1_b32 vcc_lo, exec_lo, s46
	s_cbranch_vccnz .LBB7_752
; %bb.745:
	s_cmp_gt_i32 s43, 14
	s_mov_b32 s46, -1
	s_cbranch_scc0 .LBB7_749
; %bb.746:
	s_cmp_eq_u32 s43, 15
	s_mov_b32 s0, -1
	s_cbranch_scc0 .LBB7_748
; %bb.747:
	s_wait_xcnt 0x0
	v_cvt_f32_f64_e32 v2, v[0:1]
	s_mov_b32 s44, -1
	s_mov_b32 s0, 0
	s_delay_alu instid0(VALU_DEP_1) | instskip(SKIP_1) | instid1(VALU_DEP_2)
	v_bfe_u32 v3, v2, 16, 1
	v_cmp_o_f32_e32 vcc_lo, v2, v2
	v_add3_u32 v3, v2, v3, 0x7fff
	s_delay_alu instid0(VALU_DEP_1) | instskip(NEXT) | instid1(VALU_DEP_1)
	v_lshrrev_b32_e32 v3, 16, v3
	v_cndmask_b32_e32 v2, 0x7fc0, v3, vcc_lo
	global_store_b16 v[6:7], v2, off
.LBB7_748:
	s_mov_b32 s46, 0
.LBB7_749:
	s_delay_alu instid0(SALU_CYCLE_1)
	s_and_b32 vcc_lo, exec_lo, s46
	s_cbranch_vccz .LBB7_752
; %bb.750:
	s_cmp_eq_u32 s43, 11
	s_mov_b32 s0, -1
	s_cbranch_scc0 .LBB7_752
; %bb.751:
	v_cmp_neq_f64_e32 vcc_lo, 0, v[0:1]
	s_mov_b32 s44, -1
	s_mov_b32 s0, 0
	s_wait_xcnt 0x0
	v_cndmask_b32_e64 v2, 0, 1, vcc_lo
	global_store_b8 v[6:7], v2, off
.LBB7_752:
	s_mov_b32 s43, 0
.LBB7_753:
	s_delay_alu instid0(SALU_CYCLE_1)
	s_and_b32 vcc_lo, exec_lo, s43
	s_cbranch_vccz .LBB7_792
; %bb.754:
	s_and_b32 s42, 0xffff, s42
	s_mov_b32 s43, -1
	s_cmp_lt_i32 s42, 5
	s_cbranch_scc1 .LBB7_775
; %bb.755:
	s_cmp_lt_i32 s42, 8
	s_cbranch_scc1 .LBB7_765
; %bb.756:
	;; [unrolled: 3-line block ×3, first 2 shown]
	s_cmp_gt_i32 s42, 9
	s_cbranch_scc0 .LBB7_759
; %bb.758:
	s_wait_xcnt 0x0
	v_mov_b32_e32 v2, 0
	s_mov_b32 s43, 0
	s_delay_alu instid0(VALU_DEP_1)
	v_mov_b32_e32 v3, v2
	global_store_b128 v[6:7], v[0:3], off
.LBB7_759:
	s_and_not1_b32 vcc_lo, exec_lo, s43
	s_cbranch_vccnz .LBB7_761
; %bb.760:
	s_wait_xcnt 0x0
	v_cvt_f32_f64_e32 v2, v[0:1]
	v_mov_b32_e32 v3, 0
	global_store_b64 v[6:7], v[2:3], off
.LBB7_761:
	s_mov_b32 s43, 0
.LBB7_762:
	s_delay_alu instid0(SALU_CYCLE_1)
	s_and_not1_b32 vcc_lo, exec_lo, s43
	s_cbranch_vccnz .LBB7_764
; %bb.763:
	s_wait_xcnt 0x0
	v_and_or_b32 v2, 0x1ff, v1, v0
	v_lshrrev_b32_e32 v3, 8, v1
	v_bfe_u32 v5, v1, 20, 11
	s_delay_alu instid0(VALU_DEP_3) | instskip(NEXT) | instid1(VALU_DEP_2)
	v_cmp_ne_u32_e32 vcc_lo, 0, v2
	v_sub_nc_u32_e32 v8, 0x3f1, v5
	v_add_nc_u32_e32 v5, 0xfffffc10, v5
	v_cndmask_b32_e64 v2, 0, 1, vcc_lo
	s_delay_alu instid0(VALU_DEP_1) | instskip(NEXT) | instid1(VALU_DEP_4)
	v_and_or_b32 v2, 0xffe, v3, v2
	v_med3_i32 v3, v8, 0, 13
	s_delay_alu instid0(VALU_DEP_2) | instskip(NEXT) | instid1(VALU_DEP_1)
	v_or_b32_e32 v8, 0x1000, v2
	v_lshrrev_b32_e32 v9, v3, v8
	s_delay_alu instid0(VALU_DEP_1) | instskip(NEXT) | instid1(VALU_DEP_1)
	v_lshlrev_b32_e32 v3, v3, v9
	v_cmp_ne_u32_e32 vcc_lo, v3, v8
	v_lshl_or_b32 v8, v5, 12, v2
	v_cndmask_b32_e64 v3, 0, 1, vcc_lo
	v_cmp_gt_i32_e32 vcc_lo, 1, v5
	s_delay_alu instid0(VALU_DEP_2) | instskip(NEXT) | instid1(VALU_DEP_1)
	v_or_b32_e32 v3, v9, v3
	v_cndmask_b32_e32 v3, v8, v3, vcc_lo
	s_delay_alu instid0(VALU_DEP_1) | instskip(NEXT) | instid1(VALU_DEP_1)
	v_dual_lshrrev_b32 v3, 2, v3 :: v_dual_bitop2_b32 v8, 7, v3 bitop3:0x40
	v_cmp_lt_i32_e32 vcc_lo, 5, v8
	v_cndmask_b32_e64 v9, 0, 1, vcc_lo
	v_cmp_eq_u32_e32 vcc_lo, 3, v8
	v_cndmask_b32_e64 v8, 0, 1, vcc_lo
	v_cmp_ne_u32_e32 vcc_lo, 0, v2
	s_delay_alu instid0(VALU_DEP_2) | instskip(SKIP_1) | instid1(VALU_DEP_1)
	v_or_b32_e32 v8, v8, v9
	v_mov_b32_e32 v9, 0x7e00
	v_dual_cndmask_b32 v2, 0x7c00, v9 :: v_dual_add_nc_u32 v3, v3, v8
	v_cmp_gt_i32_e32 vcc_lo, 31, v5
	s_delay_alu instid0(VALU_DEP_2) | instskip(SKIP_1) | instid1(VALU_DEP_2)
	v_dual_cndmask_b32 v3, 0x7c00, v3 :: v_dual_lshrrev_b32 v8, 16, v1
	v_cmp_eq_u32_e32 vcc_lo, 0x40f, v5
	v_cndmask_b32_e32 v2, v3, v2, vcc_lo
	s_delay_alu instid0(VALU_DEP_3) | instskip(NEXT) | instid1(VALU_DEP_1)
	v_and_b32_e32 v3, 0x8000, v8
	v_bitop3_b32 v2, v3, 0xffff, v2 bitop3:0xc8
	global_store_b32 v[6:7], v2, off
.LBB7_764:
	s_mov_b32 s43, 0
.LBB7_765:
	s_delay_alu instid0(SALU_CYCLE_1)
	s_and_not1_b32 vcc_lo, exec_lo, s43
	s_cbranch_vccnz .LBB7_774
; %bb.766:
	s_cmp_lt_i32 s42, 6
	s_mov_b32 s43, -1
	s_cbranch_scc1 .LBB7_772
; %bb.767:
	s_cmp_gt_i32 s42, 6
	s_cbranch_scc0 .LBB7_769
; %bb.768:
	s_mov_b32 s43, 0
	global_store_b64 v[6:7], v[0:1], off
.LBB7_769:
	s_and_not1_b32 vcc_lo, exec_lo, s43
	s_cbranch_vccnz .LBB7_771
; %bb.770:
	s_wait_xcnt 0x0
	v_cvt_f32_f64_e32 v2, v[0:1]
	global_store_b32 v[6:7], v2, off
.LBB7_771:
	s_mov_b32 s43, 0
.LBB7_772:
	s_delay_alu instid0(SALU_CYCLE_1)
	s_and_not1_b32 vcc_lo, exec_lo, s43
	s_cbranch_vccnz .LBB7_774
; %bb.773:
	s_wait_xcnt 0x0
	v_and_or_b32 v2, 0x1ff, v1, v0
	v_lshrrev_b32_e32 v3, 8, v1
	v_bfe_u32 v5, v1, 20, 11
	s_delay_alu instid0(VALU_DEP_3) | instskip(NEXT) | instid1(VALU_DEP_2)
	v_cmp_ne_u32_e32 vcc_lo, 0, v2
	v_sub_nc_u32_e32 v8, 0x3f1, v5
	v_add_nc_u32_e32 v5, 0xfffffc10, v5
	v_cndmask_b32_e64 v2, 0, 1, vcc_lo
	s_delay_alu instid0(VALU_DEP_1) | instskip(NEXT) | instid1(VALU_DEP_4)
	v_and_or_b32 v2, 0xffe, v3, v2
	v_med3_i32 v3, v8, 0, 13
	s_delay_alu instid0(VALU_DEP_2) | instskip(NEXT) | instid1(VALU_DEP_1)
	v_or_b32_e32 v8, 0x1000, v2
	v_lshrrev_b32_e32 v9, v3, v8
	s_delay_alu instid0(VALU_DEP_1) | instskip(NEXT) | instid1(VALU_DEP_1)
	v_lshlrev_b32_e32 v3, v3, v9
	v_cmp_ne_u32_e32 vcc_lo, v3, v8
	v_lshl_or_b32 v8, v5, 12, v2
	v_cndmask_b32_e64 v3, 0, 1, vcc_lo
	v_cmp_gt_i32_e32 vcc_lo, 1, v5
	s_delay_alu instid0(VALU_DEP_2) | instskip(NEXT) | instid1(VALU_DEP_1)
	v_or_b32_e32 v3, v9, v3
	v_cndmask_b32_e32 v3, v8, v3, vcc_lo
	s_delay_alu instid0(VALU_DEP_1) | instskip(NEXT) | instid1(VALU_DEP_1)
	v_dual_lshrrev_b32 v3, 2, v3 :: v_dual_bitop2_b32 v8, 7, v3 bitop3:0x40
	v_cmp_lt_i32_e32 vcc_lo, 5, v8
	v_cndmask_b32_e64 v9, 0, 1, vcc_lo
	v_cmp_eq_u32_e32 vcc_lo, 3, v8
	v_cndmask_b32_e64 v8, 0, 1, vcc_lo
	v_cmp_ne_u32_e32 vcc_lo, 0, v2
	s_delay_alu instid0(VALU_DEP_2) | instskip(SKIP_1) | instid1(VALU_DEP_1)
	v_or_b32_e32 v8, v8, v9
	v_mov_b32_e32 v9, 0x7e00
	v_dual_cndmask_b32 v2, 0x7c00, v9 :: v_dual_add_nc_u32 v3, v3, v8
	v_cmp_gt_i32_e32 vcc_lo, 31, v5
	s_delay_alu instid0(VALU_DEP_2) | instskip(SKIP_1) | instid1(VALU_DEP_2)
	v_cndmask_b32_e32 v3, 0x7c00, v3, vcc_lo
	v_cmp_eq_u32_e32 vcc_lo, 0x40f, v5
	v_dual_cndmask_b32 v2, v3, v2 :: v_dual_lshrrev_b32 v3, 16, v1
	s_delay_alu instid0(VALU_DEP_1)
	v_and_or_b32 v2, 0x8000, v3, v2
	global_store_b16 v[6:7], v2, off
.LBB7_774:
	s_mov_b32 s43, 0
.LBB7_775:
	s_delay_alu instid0(SALU_CYCLE_1)
	s_and_not1_b32 vcc_lo, exec_lo, s43
	s_cbranch_vccnz .LBB7_791
; %bb.776:
	s_cmp_lt_i32 s42, 2
	s_mov_b32 s43, -1
	s_cbranch_scc1 .LBB7_786
; %bb.777:
	s_cmp_lt_i32 s42, 3
	s_cbranch_scc1 .LBB7_783
; %bb.778:
	s_cmp_gt_i32 s42, 3
	s_cbranch_scc0 .LBB7_780
; %bb.779:
	s_wait_xcnt 0x0
	v_trunc_f64_e32 v[2:3], v[0:1]
	s_mov_b32 s43, 0
	s_delay_alu instid0(VALU_DEP_1) | instskip(NEXT) | instid1(VALU_DEP_1)
	v_ldexp_f64 v[8:9], v[2:3], 0xffffffe0
	v_floor_f64_e32 v[8:9], v[8:9]
	s_delay_alu instid0(VALU_DEP_1) | instskip(SKIP_1) | instid1(VALU_DEP_2)
	v_fmamk_f64 v[2:3], v[8:9], 0xc1f00000, v[2:3]
	v_cvt_i32_f64_e32 v9, v[8:9]
	v_cvt_u32_f64_e32 v8, v[2:3]
	global_store_b64 v[6:7], v[8:9], off
.LBB7_780:
	s_and_not1_b32 vcc_lo, exec_lo, s43
	s_cbranch_vccnz .LBB7_782
; %bb.781:
	s_wait_xcnt 0x0
	v_cvt_i32_f64_e32 v2, v[0:1]
	global_store_b32 v[6:7], v2, off
.LBB7_782:
	s_mov_b32 s43, 0
.LBB7_783:
	s_delay_alu instid0(SALU_CYCLE_1)
	s_and_not1_b32 vcc_lo, exec_lo, s43
	s_cbranch_vccnz .LBB7_785
; %bb.784:
	s_wait_xcnt 0x0
	v_cvt_i32_f64_e32 v2, v[0:1]
	global_store_b16 v[6:7], v2, off
.LBB7_785:
	s_mov_b32 s43, 0
.LBB7_786:
	s_delay_alu instid0(SALU_CYCLE_1)
	s_and_not1_b32 vcc_lo, exec_lo, s43
	s_cbranch_vccnz .LBB7_791
; %bb.787:
	s_cmp_gt_i32 s42, 0
	s_mov_b32 s42, -1
	s_cbranch_scc0 .LBB7_789
; %bb.788:
	s_wait_xcnt 0x0
	v_cvt_i32_f64_e32 v2, v[0:1]
	s_mov_b32 s42, 0
	global_store_b8 v[6:7], v2, off
.LBB7_789:
	s_and_not1_b32 vcc_lo, exec_lo, s42
	s_cbranch_vccnz .LBB7_791
; %bb.790:
	s_wait_xcnt 0x0
	v_trunc_f64_e32 v[0:1], v[0:1]
	s_delay_alu instid0(VALU_DEP_1) | instskip(NEXT) | instid1(VALU_DEP_1)
	v_ldexp_f64 v[2:3], v[0:1], 0xffffffe0
	v_floor_f64_e32 v[2:3], v[2:3]
	s_delay_alu instid0(VALU_DEP_1) | instskip(NEXT) | instid1(VALU_DEP_1)
	v_fmamk_f64 v[0:1], v[2:3], 0xc1f00000, v[0:1]
	v_cvt_u32_f64_e32 v0, v[0:1]
	global_store_b8 v[6:7], v0, off
.LBB7_791:
	s_mov_b32 s44, -1
.LBB7_792:
	s_delay_alu instid0(SALU_CYCLE_1)
	s_and_not1_b32 vcc_lo, exec_lo, s44
	s_cbranch_vccnz .LBB7_794
; %bb.793:
	v_add_nc_u32_e32 v4, 0x80, v4
	s_mov_b32 s46, -1
	s_branch .LBB7_796
.LBB7_794:
	s_mov_b32 s46, 0
.LBB7_795:
                                        ; implicit-def: $vgpr4
.LBB7_796:
	s_and_not1_b32 s42, s38, exec_lo
	s_and_b32 s0, s0, exec_lo
	s_and_b32 s25, s25, exec_lo
	s_or_b32 s43, s42, s0
	s_and_not1_b32 s0, s39, exec_lo
	s_and_not1_b32 s42, s40, exec_lo
	s_and_b32 s24, s24, exec_lo
	s_or_b32 s44, s0, s25
	s_or_b32 s42, s42, s24
	s_or_not1_b32 s47, s46, exec_lo
.LBB7_797:
	s_wait_xcnt 0x0
	s_or_b32 exec_lo, exec_lo, s45
	s_mov_b32 s25, 0
	s_mov_b32 s46, 0
	;; [unrolled: 1-line block ×3, first 2 shown]
                                        ; implicit-def: $sgpr0
                                        ; implicit-def: $vgpr8_vgpr9
                                        ; implicit-def: $vgpr0
                                        ; implicit-def: $vgpr2
                                        ; implicit-def: $vgpr6_vgpr7
	s_and_saveexec_b32 s45, s47
	s_cbranch_execz .LBB7_1296
; %bb.798:
	s_mov_b32 s51, -1
	s_mov_b32 s47, s42
	s_mov_b32 s49, s44
	;; [unrolled: 1-line block ×3, first 2 shown]
	s_mov_b32 s46, exec_lo
	v_cmpx_gt_i32_e64 s36, v4
	s_cbranch_execz .LBB7_1200
; %bb.799:
	s_and_not1_b32 vcc_lo, exec_lo, s29
	s_cbranch_vccnz .LBB7_805
; %bb.800:
	s_and_not1_b32 vcc_lo, exec_lo, s37
	s_cbranch_vccnz .LBB7_806
; %bb.801:
	v_dual_mov_b32 v0, 0 :: v_dual_mov_b32 v1, v4
	s_wait_loadcnt 0x0
	v_dual_mov_b32 v2, 0 :: v_dual_mov_b32 v6, 0
	s_add_co_i32 s0, s35, 1
	s_mov_b64 s[24:25], 0xffffffffffffffe8
	s_and_b32 s0, s0, 30
	s_add_nc_u64 s[24:25], s[2:3], s[24:25]
.LBB7_802:                              ; =>This Inner Loop Header: Depth=1
	s_clause 0x1
	s_load_b128 s[48:51], s[24:25], 0x1c
	s_load_b64 s[56:57], s[24:25], 0x2c
	s_add_co_i32 s0, s0, -2
	s_delay_alu instid0(SALU_CYCLE_1) | instskip(SKIP_2) | instid1(VALU_DEP_1)
	s_cmp_eq_u32 s0, 0
	s_wait_kmcnt 0x0
	v_mul_hi_u32 v3, s49, v1
	v_add_nc_u32_e32 v3, v1, v3
	s_delay_alu instid0(VALU_DEP_1) | instskip(NEXT) | instid1(VALU_DEP_1)
	v_lshrrev_b32_e32 v3, s50, v3
	v_mul_hi_u32 v5, s56, v3
	v_mul_lo_u32 v7, v3, s48
	s_clause 0x1
	s_load_b128 s[52:55], s[24:25], 0xdc
	s_load_b64 s[48:49], s[24:25], 0xec
	s_wait_xcnt 0x0
	s_add_nc_u64 s[24:25], s[24:25], 24
	s_delay_alu instid0(VALU_DEP_1) | instskip(NEXT) | instid1(VALU_DEP_1)
	v_dual_add_nc_u32 v5, v3, v5 :: v_dual_sub_nc_u32 v7, v1, v7
	v_lshrrev_b32_e32 v1, s57, v5
	s_wait_kmcnt 0x0
	s_delay_alu instid0(VALU_DEP_2) | instskip(NEXT) | instid1(VALU_DEP_2)
	v_mad_u32 v0, v7, s52, v0
	v_mul_lo_u32 v5, v1, s51
	v_mad_u32 v6, v7, s54, v6
	v_mad_u32 v2, v7, s53, v2
	s_delay_alu instid0(VALU_DEP_3) | instskip(NEXT) | instid1(VALU_DEP_1)
	v_sub_nc_u32_e32 v3, v3, v5
	v_mad_u32 v0, v3, s55, v0
	s_delay_alu instid0(VALU_DEP_4) | instskip(NEXT) | instid1(VALU_DEP_4)
	v_mad_u32 v6, v3, s49, v6
	v_mad_u32 v2, v3, s48, v2
	s_cbranch_scc0 .LBB7_802
; %bb.803:
	s_bitcmp1_b32 s35, 0
	s_cselect_b32 s0, -1, 0
	s_delay_alu instid0(SALU_CYCLE_1)
	s_and_b32 vcc_lo, exec_lo, s0
	s_cbranch_vccnz .LBB7_807
; %bb.804:
	s_clause 0x1
	s_load_b96 s[48:50], s[24:25], 0x1c
	s_load_b96 s[52:54], s[24:25], 0xdc
	s_wait_kmcnt 0x0
	v_mul_hi_u32 v3, s49, v1
	s_delay_alu instid0(VALU_DEP_1) | instskip(NEXT) | instid1(VALU_DEP_1)
	v_add_nc_u32_e32 v3, v1, v3
	v_lshrrev_b32_e32 v3, s50, v3
	s_delay_alu instid0(VALU_DEP_1) | instskip(NEXT) | instid1(VALU_DEP_1)
	v_mul_lo_u32 v3, v3, s48
	v_sub_nc_u32_e32 v1, v1, v3
	s_delay_alu instid0(VALU_DEP_1)
	v_mad_u32 v0, v1, s52, v0
	v_mad_u32 v2, v1, s53, v2
	;; [unrolled: 1-line block ×3, first 2 shown]
	s_branch .LBB7_807
.LBB7_805:
	s_mov_b32 s0, -1
                                        ; implicit-def: $vgpr6
                                        ; implicit-def: $vgpr2
                                        ; implicit-def: $vgpr0
	s_branch .LBB7_808
.LBB7_806:
	s_wait_loadcnt 0x0
	v_dual_mov_b32 v6, 0 :: v_dual_mov_b32 v2, 0
	v_mov_b32_e32 v0, 0
.LBB7_807:
	s_mov_b32 s0, 0
.LBB7_808:
	s_delay_alu instid0(SALU_CYCLE_1)
	s_and_not1_b32 vcc_lo, exec_lo, s0
	s_cbranch_vccnz .LBB7_811
; %bb.809:
	v_mov_b32_e32 v5, 0
	s_and_not1_b32 vcc_lo, exec_lo, s34
	s_delay_alu instid0(VALU_DEP_1) | instskip(NEXT) | instid1(VALU_DEP_1)
	v_mul_u64_e32 v[0:1], s[18:19], v[4:5]
	v_add_nc_u32_e32 v0, v4, v1
	s_wait_loadcnt 0x0
	s_delay_alu instid0(VALU_DEP_1) | instskip(NEXT) | instid1(VALU_DEP_1)
	v_lshrrev_b32_e32 v8, s10, v0
	v_mul_lo_u32 v0, v8, s8
	s_delay_alu instid0(VALU_DEP_1) | instskip(NEXT) | instid1(VALU_DEP_1)
	v_sub_nc_u32_e32 v1, v4, v0
	v_mul_lo_u32 v0, v1, s12
	v_mul_lo_u32 v6, v1, s14
	v_mul_lo_u32 v2, v1, s13
	s_cbranch_vccnz .LBB7_811
; %bb.810:
	v_mov_b32_e32 v9, v5
	s_delay_alu instid0(VALU_DEP_1) | instskip(NEXT) | instid1(VALU_DEP_1)
	v_mul_u64_e32 v[10:11], s[22:23], v[8:9]
	v_add_nc_u32_e32 v1, v8, v11
	s_delay_alu instid0(VALU_DEP_1) | instskip(NEXT) | instid1(VALU_DEP_1)
	v_lshrrev_b32_e32 v1, s1, v1
	v_mul_lo_u32 v1, v1, s11
	s_delay_alu instid0(VALU_DEP_1) | instskip(NEXT) | instid1(VALU_DEP_1)
	v_sub_nc_u32_e32 v1, v8, v1
	v_mad_u32 v0, v1, s15, v0
	v_mad_u32 v2, v1, s20, v2
	;; [unrolled: 1-line block ×3, first 2 shown]
.LBB7_811:
	s_wait_loadcnt 0x0
	v_mov_b32_e32 v3, 0
	s_and_b32 s0, s33, 0xff
	s_delay_alu instid0(SALU_CYCLE_1) | instskip(NEXT) | instid1(VALU_DEP_1)
	s_cmp_lt_i32 s0, 11
	v_add_nc_u64_e32 v[8:9], s[6:7], v[2:3]
	s_cbranch_scc1 .LBB7_818
; %bb.812:
	s_and_b32 s25, 0xffff, s0
	s_delay_alu instid0(SALU_CYCLE_1)
	s_cmp_gt_i32 s25, 25
	s_cbranch_scc0 .LBB7_819
; %bb.813:
	s_cmp_gt_i32 s25, 28
	s_cbranch_scc0 .LBB7_820
; %bb.814:
	;; [unrolled: 3-line block ×4, first 2 shown]
	s_cmp_eq_u32 s25, 46
	s_mov_b32 s48, 0
	s_cbranch_scc0 .LBB7_825
; %bb.817:
	global_load_b32 v1, v[8:9], off
	s_mov_b32 s47, -1
	s_mov_b32 s24, 0
	s_wait_loadcnt 0x0
	v_lshlrev_b32_e32 v1, 16, v1
	s_delay_alu instid0(VALU_DEP_1)
	v_cvt_f64_f32_e32 v[2:3], v1
	s_branch .LBB7_827
.LBB7_818:
	s_mov_b32 s25, -1
	s_mov_b32 s47, 0
	s_mov_b32 s24, s42
                                        ; implicit-def: $vgpr2_vgpr3
	s_branch .LBB7_892
.LBB7_819:
	s_mov_b32 s48, -1
	s_mov_b32 s47, 0
	s_mov_b32 s24, s42
                                        ; implicit-def: $vgpr2_vgpr3
	s_branch .LBB7_856
.LBB7_820:
	s_mov_b32 s48, -1
	s_mov_b32 s47, 0
	s_mov_b32 s24, s42
                                        ; implicit-def: $vgpr2_vgpr3
	s_branch .LBB7_837
.LBB7_821:
	s_mov_b32 s48, -1
	s_mov_b32 s47, 0
	s_mov_b32 s24, s42
                                        ; implicit-def: $vgpr2_vgpr3
	s_branch .LBB7_832
.LBB7_822:
	s_mov_b32 s48, -1
	s_mov_b32 s47, 0
	s_mov_b32 s24, s42
	s_branch .LBB7_826
.LBB7_823:
	s_and_not1_saveexec_b32 s47, s47
	s_cbranch_execz .LBB7_705
.LBB7_824:
	v_add_f32_e64 v3, 0x46000000, |v2|
	s_and_not1_b32 s46, s46, exec_lo
	s_delay_alu instid0(VALU_DEP_1) | instskip(NEXT) | instid1(VALU_DEP_1)
	v_and_b32_e32 v3, 0xff, v3
	v_cmp_ne_u32_e32 vcc_lo, 0, v3
	s_and_b32 s48, vcc_lo, exec_lo
	s_delay_alu instid0(SALU_CYCLE_1)
	s_or_b32 s46, s46, s48
	s_or_b32 exec_lo, exec_lo, s47
	v_mov_b32_e32 v5, 0
	s_and_saveexec_b32 s47, s46
	s_cbranch_execnz .LBB7_706
	s_branch .LBB7_707
.LBB7_825:
	s_mov_b32 s24, -1
	s_mov_b32 s47, 0
.LBB7_826:
                                        ; implicit-def: $vgpr2_vgpr3
.LBB7_827:
	s_and_b32 vcc_lo, exec_lo, s48
	s_cbranch_vccz .LBB7_831
; %bb.828:
	s_cmp_eq_u32 s25, 44
	s_cbranch_scc0 .LBB7_830
; %bb.829:
	global_load_u8 v1, v[8:9], off
	s_mov_b32 s24, 0
	s_mov_b32 s47, -1
	s_wait_loadcnt 0x0
	v_cmp_ne_u32_e32 vcc_lo, 0xff, v1
	v_lshlrev_b32_e32 v2, 23, v1
	s_delay_alu instid0(VALU_DEP_1) | instskip(NEXT) | instid1(VALU_DEP_1)
	v_cvt_f64_f32_e32 v[2:3], v2
	v_cndmask_b32_e32 v2, 0x20000000, v2, vcc_lo
	s_delay_alu instid0(VALU_DEP_2) | instskip(SKIP_1) | instid1(VALU_DEP_2)
	v_cndmask_b32_e32 v3, 0x7ff80000, v3, vcc_lo
	v_cmp_ne_u32_e32 vcc_lo, 0, v1
	v_cndmask_b32_e32 v3, 0x38000000, v3, vcc_lo
	s_delay_alu instid0(VALU_DEP_4)
	v_cndmask_b32_e32 v2, 0, v2, vcc_lo
	s_branch .LBB7_831
.LBB7_830:
	s_mov_b32 s24, -1
                                        ; implicit-def: $vgpr2_vgpr3
.LBB7_831:
	s_mov_b32 s48, 0
.LBB7_832:
	s_delay_alu instid0(SALU_CYCLE_1)
	s_and_b32 vcc_lo, exec_lo, s48
	s_cbranch_vccz .LBB7_836
; %bb.833:
	s_cmp_eq_u32 s25, 29
	s_cbranch_scc0 .LBB7_835
; %bb.834:
	global_load_b64 v[2:3], v[8:9], off
	s_mov_b32 s47, -1
	s_mov_b32 s24, 0
	s_mov_b32 s48, 0
	s_wait_loadcnt 0x0
	v_cvt_f64_u32_e32 v[10:11], v3
	v_cvt_f64_u32_e32 v[2:3], v2
	s_delay_alu instid0(VALU_DEP_2) | instskip(NEXT) | instid1(VALU_DEP_1)
	v_ldexp_f64 v[10:11], v[10:11], 32
	v_add_f64_e32 v[2:3], v[10:11], v[2:3]
	s_branch .LBB7_837
.LBB7_835:
	s_mov_b32 s24, -1
                                        ; implicit-def: $vgpr2_vgpr3
.LBB7_836:
	s_mov_b32 s48, 0
.LBB7_837:
	s_delay_alu instid0(SALU_CYCLE_1)
	s_and_b32 vcc_lo, exec_lo, s48
	s_cbranch_vccz .LBB7_855
; %bb.838:
	s_cmp_lt_i32 s25, 27
	s_cbranch_scc1 .LBB7_841
; %bb.839:
	s_cmp_gt_i32 s25, 27
	s_cbranch_scc0 .LBB7_842
; %bb.840:
	global_load_b32 v1, v[8:9], off
	s_mov_b32 s47, 0
	s_wait_loadcnt 0x0
	v_cvt_f64_u32_e32 v[2:3], v1
	s_branch .LBB7_843
.LBB7_841:
	s_mov_b32 s47, -1
                                        ; implicit-def: $vgpr2_vgpr3
	s_branch .LBB7_846
.LBB7_842:
	s_mov_b32 s47, -1
                                        ; implicit-def: $vgpr2_vgpr3
.LBB7_843:
	s_delay_alu instid0(SALU_CYCLE_1)
	s_and_not1_b32 vcc_lo, exec_lo, s47
	s_cbranch_vccnz .LBB7_845
; %bb.844:
	global_load_u16 v1, v[8:9], off
	s_wait_loadcnt 0x0
	v_cvt_f64_u32_e32 v[2:3], v1
.LBB7_845:
	s_mov_b32 s47, 0
.LBB7_846:
	s_delay_alu instid0(SALU_CYCLE_1)
	s_and_not1_b32 vcc_lo, exec_lo, s47
	s_cbranch_vccnz .LBB7_854
; %bb.847:
	global_load_u8 v1, v[8:9], off
	s_mov_b32 s47, 0
	s_mov_b32 s48, exec_lo
	s_wait_loadcnt 0x0
	v_cmpx_lt_i16_e32 0x7f, v1
	s_xor_b32 s48, exec_lo, s48
	s_cbranch_execz .LBB7_868
; %bb.848:
	s_mov_b32 s47, -1
	s_mov_b32 s49, exec_lo
	v_cmpx_eq_u16_e32 0x80, v1
; %bb.849:
	s_xor_b32 s47, exec_lo, -1
; %bb.850:
	s_or_b32 exec_lo, exec_lo, s49
	s_delay_alu instid0(SALU_CYCLE_1)
	s_and_b32 s47, s47, exec_lo
	s_or_saveexec_b32 s48, s48
	v_mov_b64_e32 v[2:3], 0x7ff8000020000000
	s_xor_b32 exec_lo, exec_lo, s48
	s_cbranch_execnz .LBB7_869
.LBB7_851:
	s_or_b32 exec_lo, exec_lo, s48
	s_and_saveexec_b32 s48, s47
	s_cbranch_execz .LBB7_853
.LBB7_852:
	v_and_b32_e32 v2, 0xffff, v1
	s_delay_alu instid0(VALU_DEP_1) | instskip(SKIP_1) | instid1(VALU_DEP_2)
	v_and_b32_e32 v3, 7, v2
	v_bfe_u32 v10, v2, 3, 4
	v_clz_i32_u32_e32 v5, v3
	s_delay_alu instid0(VALU_DEP_2) | instskip(NEXT) | instid1(VALU_DEP_2)
	v_cmp_eq_u32_e32 vcc_lo, 0, v10
	v_min_u32_e32 v5, 32, v5
	s_delay_alu instid0(VALU_DEP_1) | instskip(NEXT) | instid1(VALU_DEP_1)
	v_subrev_nc_u32_e32 v7, 28, v5
	v_dual_lshlrev_b32 v2, v7, v2 :: v_dual_sub_nc_u32 v5, 29, v5
	s_delay_alu instid0(VALU_DEP_1) | instskip(NEXT) | instid1(VALU_DEP_1)
	v_dual_lshlrev_b32 v1, 24, v1 :: v_dual_bitop2_b32 v2, 7, v2 bitop3:0x40
	v_dual_cndmask_b32 v2, v3, v2 :: v_dual_cndmask_b32 v5, v10, v5
	s_delay_alu instid0(VALU_DEP_2) | instskip(NEXT) | instid1(VALU_DEP_2)
	v_and_b32_e32 v1, 0x80000000, v1
	v_lshlrev_b32_e32 v2, 20, v2
	s_delay_alu instid0(VALU_DEP_3) | instskip(NEXT) | instid1(VALU_DEP_1)
	v_lshl_add_u32 v3, v5, 23, 0x3b800000
	v_or3_b32 v1, v1, v3, v2
	s_delay_alu instid0(VALU_DEP_1)
	v_cvt_f64_f32_e32 v[2:3], v1
.LBB7_853:
	s_or_b32 exec_lo, exec_lo, s48
.LBB7_854:
	s_mov_b32 s47, -1
.LBB7_855:
	s_mov_b32 s48, 0
.LBB7_856:
	s_delay_alu instid0(SALU_CYCLE_1)
	s_and_b32 vcc_lo, exec_lo, s48
	s_cbranch_vccz .LBB7_891
; %bb.857:
	s_cmp_gt_i32 s25, 22
	s_cbranch_scc0 .LBB7_867
; %bb.858:
	s_cmp_lt_i32 s25, 24
	s_cbranch_scc1 .LBB7_870
; %bb.859:
	s_cmp_gt_i32 s25, 24
	s_cbranch_scc0 .LBB7_871
; %bb.860:
	global_load_u8 v1, v[8:9], off
	s_mov_b32 s47, 0
	s_mov_b32 s48, exec_lo
	s_wait_loadcnt 0x0
	v_cmpx_lt_i16_e32 0x7f, v1
	s_xor_b32 s48, exec_lo, s48
	s_cbranch_execz .LBB7_883
; %bb.861:
	s_mov_b32 s47, -1
	s_mov_b32 s49, exec_lo
	v_cmpx_eq_u16_e32 0x80, v1
; %bb.862:
	s_xor_b32 s47, exec_lo, -1
; %bb.863:
	s_or_b32 exec_lo, exec_lo, s49
	s_delay_alu instid0(SALU_CYCLE_1)
	s_and_b32 s47, s47, exec_lo
	s_or_saveexec_b32 s48, s48
	v_mov_b64_e32 v[2:3], 0x7ff8000020000000
	s_xor_b32 exec_lo, exec_lo, s48
	s_cbranch_execnz .LBB7_884
.LBB7_864:
	s_or_b32 exec_lo, exec_lo, s48
	s_and_saveexec_b32 s48, s47
	s_cbranch_execz .LBB7_866
.LBB7_865:
	v_and_b32_e32 v2, 0xffff, v1
	s_delay_alu instid0(VALU_DEP_1) | instskip(SKIP_1) | instid1(VALU_DEP_2)
	v_and_b32_e32 v3, 3, v2
	v_bfe_u32 v10, v2, 2, 5
	v_clz_i32_u32_e32 v5, v3
	s_delay_alu instid0(VALU_DEP_2) | instskip(NEXT) | instid1(VALU_DEP_2)
	v_cmp_eq_u32_e32 vcc_lo, 0, v10
	v_min_u32_e32 v5, 32, v5
	s_delay_alu instid0(VALU_DEP_1) | instskip(NEXT) | instid1(VALU_DEP_1)
	v_subrev_nc_u32_e32 v7, 29, v5
	v_dual_lshlrev_b32 v2, v7, v2 :: v_dual_sub_nc_u32 v5, 30, v5
	s_delay_alu instid0(VALU_DEP_1) | instskip(NEXT) | instid1(VALU_DEP_1)
	v_dual_lshlrev_b32 v1, 24, v1 :: v_dual_bitop2_b32 v2, 3, v2 bitop3:0x40
	v_dual_cndmask_b32 v2, v3, v2 :: v_dual_cndmask_b32 v5, v10, v5
	s_delay_alu instid0(VALU_DEP_2) | instskip(NEXT) | instid1(VALU_DEP_2)
	v_and_b32_e32 v1, 0x80000000, v1
	v_lshlrev_b32_e32 v2, 21, v2
	s_delay_alu instid0(VALU_DEP_3) | instskip(NEXT) | instid1(VALU_DEP_1)
	v_lshl_add_u32 v3, v5, 23, 0x37800000
	v_or3_b32 v1, v1, v3, v2
	s_delay_alu instid0(VALU_DEP_1)
	v_cvt_f64_f32_e32 v[2:3], v1
.LBB7_866:
	s_or_b32 exec_lo, exec_lo, s48
	s_mov_b32 s47, 0
	s_branch .LBB7_872
.LBB7_867:
	s_mov_b32 s48, -1
                                        ; implicit-def: $vgpr2_vgpr3
	s_branch .LBB7_878
.LBB7_868:
	s_or_saveexec_b32 s48, s48
	v_mov_b64_e32 v[2:3], 0x7ff8000020000000
	s_xor_b32 exec_lo, exec_lo, s48
	s_cbranch_execz .LBB7_851
.LBB7_869:
	v_cmp_ne_u16_e32 vcc_lo, 0, v1
	v_mov_b64_e32 v[2:3], 0
	s_and_not1_b32 s47, s47, exec_lo
	s_and_b32 s49, vcc_lo, exec_lo
	s_delay_alu instid0(SALU_CYCLE_1)
	s_or_b32 s47, s47, s49
	s_or_b32 exec_lo, exec_lo, s48
	s_and_saveexec_b32 s48, s47
	s_cbranch_execnz .LBB7_852
	s_branch .LBB7_853
.LBB7_870:
	s_mov_b32 s47, -1
                                        ; implicit-def: $vgpr2_vgpr3
	s_branch .LBB7_875
.LBB7_871:
	s_mov_b32 s47, -1
                                        ; implicit-def: $vgpr2_vgpr3
.LBB7_872:
	s_delay_alu instid0(SALU_CYCLE_1)
	s_and_b32 vcc_lo, exec_lo, s47
	s_cbranch_vccz .LBB7_874
; %bb.873:
	global_load_u8 v1, v[8:9], off
	s_wait_loadcnt 0x0
	v_lshlrev_b32_e32 v1, 24, v1
	s_delay_alu instid0(VALU_DEP_1) | instskip(NEXT) | instid1(VALU_DEP_1)
	v_and_b32_e32 v2, 0x7f000000, v1
	v_clz_i32_u32_e32 v3, v2
	v_cmp_ne_u32_e32 vcc_lo, 0, v2
	v_add_nc_u32_e32 v7, 0x1000000, v2
	s_delay_alu instid0(VALU_DEP_3) | instskip(NEXT) | instid1(VALU_DEP_1)
	v_min_u32_e32 v3, 32, v3
	v_sub_nc_u32_e64 v3, v3, 4 clamp
	s_delay_alu instid0(VALU_DEP_1) | instskip(NEXT) | instid1(VALU_DEP_1)
	v_dual_lshlrev_b32 v5, v3, v2 :: v_dual_lshlrev_b32 v3, 23, v3
	v_lshrrev_b32_e32 v5, 4, v5
	s_delay_alu instid0(VALU_DEP_1) | instskip(SKIP_1) | instid1(VALU_DEP_2)
	v_sub_nc_u32_e32 v3, v5, v3
	v_ashrrev_i32_e32 v5, 8, v7
	v_add_nc_u32_e32 v3, 0x3c000000, v3
	s_delay_alu instid0(VALU_DEP_1) | instskip(NEXT) | instid1(VALU_DEP_1)
	v_and_or_b32 v3, 0x7f800000, v5, v3
	v_cndmask_b32_e32 v2, 0, v3, vcc_lo
	s_delay_alu instid0(VALU_DEP_1) | instskip(NEXT) | instid1(VALU_DEP_1)
	v_and_or_b32 v1, 0x80000000, v1, v2
	v_cvt_f64_f32_e32 v[2:3], v1
.LBB7_874:
	s_mov_b32 s47, 0
.LBB7_875:
	s_delay_alu instid0(SALU_CYCLE_1)
	s_and_not1_b32 vcc_lo, exec_lo, s47
	s_cbranch_vccnz .LBB7_877
; %bb.876:
	global_load_u8 v1, v[8:9], off
	s_wait_loadcnt 0x0
	v_lshlrev_b32_e32 v2, 25, v1
	v_lshlrev_b16 v1, 8, v1
	s_delay_alu instid0(VALU_DEP_1) | instskip(NEXT) | instid1(VALU_DEP_3)
	v_and_or_b32 v5, 0x7f00, v1, 0.5
	v_lshrrev_b32_e32 v3, 4, v2
	v_bfe_i32 v1, v1, 0, 16
	s_delay_alu instid0(VALU_DEP_3) | instskip(NEXT) | instid1(VALU_DEP_3)
	v_add_f32_e32 v5, -0.5, v5
	v_or_b32_e32 v3, 0x70000000, v3
	s_delay_alu instid0(VALU_DEP_1) | instskip(SKIP_1) | instid1(VALU_DEP_2)
	v_mul_f32_e32 v3, 0x7800000, v3
	v_cmp_gt_u32_e32 vcc_lo, 0x8000000, v2
	v_cndmask_b32_e32 v2, v3, v5, vcc_lo
	s_delay_alu instid0(VALU_DEP_1) | instskip(NEXT) | instid1(VALU_DEP_1)
	v_and_or_b32 v1, 0x80000000, v1, v2
	v_cvt_f64_f32_e32 v[2:3], v1
.LBB7_877:
	s_mov_b32 s48, 0
	s_mov_b32 s47, -1
.LBB7_878:
	s_and_not1_b32 vcc_lo, exec_lo, s48
	s_cbranch_vccnz .LBB7_891
; %bb.879:
	s_cmp_gt_i32 s25, 14
	s_cbranch_scc0 .LBB7_882
; %bb.880:
	s_cmp_eq_u32 s25, 15
	s_cbranch_scc0 .LBB7_885
; %bb.881:
	global_load_u16 v1, v[8:9], off
	s_mov_b32 s47, -1
	s_mov_b32 s24, 0
	s_wait_loadcnt 0x0
	v_lshlrev_b32_e32 v1, 16, v1
	s_delay_alu instid0(VALU_DEP_1)
	v_cvt_f64_f32_e32 v[2:3], v1
	s_branch .LBB7_886
.LBB7_882:
	s_mov_b32 s48, -1
                                        ; implicit-def: $vgpr2_vgpr3
	s_branch .LBB7_887
.LBB7_883:
	s_or_saveexec_b32 s48, s48
	v_mov_b64_e32 v[2:3], 0x7ff8000020000000
	s_xor_b32 exec_lo, exec_lo, s48
	s_cbranch_execz .LBB7_864
.LBB7_884:
	v_cmp_ne_u16_e32 vcc_lo, 0, v1
	v_mov_b64_e32 v[2:3], 0
	s_and_not1_b32 s47, s47, exec_lo
	s_and_b32 s49, vcc_lo, exec_lo
	s_delay_alu instid0(SALU_CYCLE_1)
	s_or_b32 s47, s47, s49
	s_or_b32 exec_lo, exec_lo, s48
	s_and_saveexec_b32 s48, s47
	s_cbranch_execnz .LBB7_865
	s_branch .LBB7_866
.LBB7_885:
	s_mov_b32 s24, -1
                                        ; implicit-def: $vgpr2_vgpr3
.LBB7_886:
	s_mov_b32 s48, 0
.LBB7_887:
	s_delay_alu instid0(SALU_CYCLE_1)
	s_and_b32 vcc_lo, exec_lo, s48
	s_cbranch_vccz .LBB7_891
; %bb.888:
	s_cmp_eq_u32 s25, 11
	s_cbranch_scc0 .LBB7_890
; %bb.889:
	global_load_u8 v1, v[8:9], off
	v_mov_b32_e32 v2, 0
	s_mov_b32 s24, 0
	s_mov_b32 s47, -1
	s_wait_loadcnt 0x0
	v_cmp_ne_u16_e32 vcc_lo, 0, v1
	v_cndmask_b32_e64 v3, 0, 0x3ff00000, vcc_lo
	s_branch .LBB7_891
.LBB7_890:
	s_mov_b32 s24, -1
                                        ; implicit-def: $vgpr2_vgpr3
.LBB7_891:
	s_mov_b32 s25, 0
.LBB7_892:
	s_delay_alu instid0(SALU_CYCLE_1)
	s_and_b32 vcc_lo, exec_lo, s25
	s_cbranch_vccz .LBB7_941
; %bb.893:
	s_and_b32 s0, 0xffff, s0
	s_delay_alu instid0(SALU_CYCLE_1)
	s_cmp_lt_i32 s0, 5
	s_cbranch_scc1 .LBB7_898
; %bb.894:
	s_cmp_lt_i32 s0, 8
	s_cbranch_scc1 .LBB7_899
; %bb.895:
	;; [unrolled: 3-line block ×3, first 2 shown]
	s_cmp_gt_i32 s0, 9
	s_cbranch_scc0 .LBB7_901
; %bb.897:
	global_load_b64 v[2:3], v[8:9], off
	s_mov_b32 s25, 0
	s_branch .LBB7_902
.LBB7_898:
	s_mov_b32 s25, -1
                                        ; implicit-def: $vgpr2_vgpr3
	s_branch .LBB7_920
.LBB7_899:
	s_mov_b32 s25, -1
                                        ; implicit-def: $vgpr2_vgpr3
	s_branch .LBB7_908
.LBB7_900:
	s_mov_b32 s25, -1
                                        ; implicit-def: $vgpr2_vgpr3
	s_branch .LBB7_905
.LBB7_901:
	s_mov_b32 s25, -1
                                        ; implicit-def: $vgpr2_vgpr3
.LBB7_902:
	s_delay_alu instid0(SALU_CYCLE_1)
	s_and_not1_b32 vcc_lo, exec_lo, s25
	s_cbranch_vccnz .LBB7_904
; %bb.903:
	global_load_b32 v1, v[8:9], off
	s_wait_loadcnt 0x0
	v_cvt_f64_f32_e32 v[2:3], v1
.LBB7_904:
	s_mov_b32 s25, 0
.LBB7_905:
	s_delay_alu instid0(SALU_CYCLE_1)
	s_and_not1_b32 vcc_lo, exec_lo, s25
	s_cbranch_vccnz .LBB7_907
; %bb.906:
	global_load_b32 v1, v[8:9], off
	s_wait_loadcnt 0x0
	v_cvt_f32_f16_e32 v1, v1
	s_delay_alu instid0(VALU_DEP_1)
	v_cvt_f64_f32_e32 v[2:3], v1
.LBB7_907:
	s_mov_b32 s25, 0
.LBB7_908:
	s_delay_alu instid0(SALU_CYCLE_1)
	s_and_not1_b32 vcc_lo, exec_lo, s25
	s_cbranch_vccnz .LBB7_919
; %bb.909:
	s_cmp_lt_i32 s0, 6
	s_cbranch_scc1 .LBB7_912
; %bb.910:
	s_cmp_gt_i32 s0, 6
	s_cbranch_scc0 .LBB7_913
; %bb.911:
	s_wait_loadcnt 0x0
	global_load_b64 v[2:3], v[8:9], off
	s_mov_b32 s25, 0
	s_branch .LBB7_914
.LBB7_912:
	s_mov_b32 s25, -1
                                        ; implicit-def: $vgpr2_vgpr3
	s_branch .LBB7_917
.LBB7_913:
	s_mov_b32 s25, -1
                                        ; implicit-def: $vgpr2_vgpr3
.LBB7_914:
	s_delay_alu instid0(SALU_CYCLE_1)
	s_and_not1_b32 vcc_lo, exec_lo, s25
	s_cbranch_vccnz .LBB7_916
; %bb.915:
	global_load_b32 v1, v[8:9], off
	s_wait_loadcnt 0x0
	v_cvt_f64_f32_e32 v[2:3], v1
.LBB7_916:
	s_mov_b32 s25, 0
.LBB7_917:
	s_delay_alu instid0(SALU_CYCLE_1)
	s_and_not1_b32 vcc_lo, exec_lo, s25
	s_cbranch_vccnz .LBB7_919
; %bb.918:
	global_load_u16 v1, v[8:9], off
	s_wait_loadcnt 0x0
	v_cvt_f32_f16_e32 v1, v1
	s_delay_alu instid0(VALU_DEP_1)
	v_cvt_f64_f32_e32 v[2:3], v1
.LBB7_919:
	s_mov_b32 s25, 0
.LBB7_920:
	s_delay_alu instid0(SALU_CYCLE_1)
	s_and_not1_b32 vcc_lo, exec_lo, s25
	s_cbranch_vccnz .LBB7_940
; %bb.921:
	s_cmp_lt_i32 s0, 2
	s_cbranch_scc1 .LBB7_925
; %bb.922:
	s_cmp_lt_i32 s0, 3
	s_cbranch_scc1 .LBB7_926
; %bb.923:
	s_cmp_gt_i32 s0, 3
	s_cbranch_scc0 .LBB7_927
; %bb.924:
	s_wait_loadcnt 0x0
	global_load_b64 v[2:3], v[8:9], off
	s_mov_b32 s25, 0
	s_wait_loadcnt 0x0
	v_cvt_f64_i32_e32 v[10:11], v3
	v_cvt_f64_u32_e32 v[2:3], v2
	s_delay_alu instid0(VALU_DEP_2) | instskip(NEXT) | instid1(VALU_DEP_1)
	v_ldexp_f64 v[10:11], v[10:11], 32
	v_add_f64_e32 v[2:3], v[10:11], v[2:3]
	s_branch .LBB7_928
.LBB7_925:
	s_mov_b32 s25, -1
                                        ; implicit-def: $vgpr2_vgpr3
	s_branch .LBB7_934
.LBB7_926:
	s_mov_b32 s25, -1
                                        ; implicit-def: $vgpr2_vgpr3
	s_branch .LBB7_931
.LBB7_927:
	s_mov_b32 s25, -1
                                        ; implicit-def: $vgpr2_vgpr3
.LBB7_928:
	s_delay_alu instid0(SALU_CYCLE_1)
	s_and_not1_b32 vcc_lo, exec_lo, s25
	s_cbranch_vccnz .LBB7_930
; %bb.929:
	global_load_b32 v1, v[8:9], off
	s_wait_loadcnt 0x0
	v_cvt_f64_i32_e32 v[2:3], v1
.LBB7_930:
	s_mov_b32 s25, 0
.LBB7_931:
	s_delay_alu instid0(SALU_CYCLE_1)
	s_and_not1_b32 vcc_lo, exec_lo, s25
	s_cbranch_vccnz .LBB7_933
; %bb.932:
	global_load_i16 v1, v[8:9], off
	s_wait_loadcnt 0x0
	v_cvt_f64_i32_e32 v[2:3], v1
.LBB7_933:
	s_mov_b32 s25, 0
.LBB7_934:
	s_delay_alu instid0(SALU_CYCLE_1)
	s_and_not1_b32 vcc_lo, exec_lo, s25
	s_cbranch_vccnz .LBB7_940
; %bb.935:
	s_cmp_gt_i32 s0, 0
	s_mov_b32 s0, 0
	s_cbranch_scc0 .LBB7_937
; %bb.936:
	global_load_i8 v1, v[8:9], off
	s_wait_loadcnt 0x0
	v_cvt_f64_i32_e32 v[2:3], v1
	s_branch .LBB7_938
.LBB7_937:
	s_mov_b32 s0, -1
                                        ; implicit-def: $vgpr2_vgpr3
.LBB7_938:
	s_delay_alu instid0(SALU_CYCLE_1)
	s_and_not1_b32 vcc_lo, exec_lo, s0
	s_cbranch_vccnz .LBB7_940
; %bb.939:
	global_load_u8 v1, v[8:9], off
	s_wait_loadcnt 0x0
	v_cvt_f64_u32_e32 v[2:3], v1
.LBB7_940:
	s_mov_b32 s47, -1
.LBB7_941:
	s_delay_alu instid0(SALU_CYCLE_1)
	s_and_not1_b32 vcc_lo, exec_lo, s47
	s_cbranch_vccnz .LBB7_949
; %bb.942:
	v_mov_b32_e32 v7, 0
	s_and_b32 s0, s9, 0xff
	s_delay_alu instid0(SALU_CYCLE_1) | instskip(NEXT) | instid1(VALU_DEP_1)
	s_cmp_lt_i32 s0, 11
	v_add_nc_u64_e32 v[6:7], s[16:17], v[6:7]
	s_cbranch_scc1 .LBB7_950
; %bb.943:
	s_and_b32 s47, 0xffff, s0
	s_delay_alu instid0(SALU_CYCLE_1)
	s_cmp_gt_i32 s47, 25
	s_cbranch_scc0 .LBB7_951
; %bb.944:
	s_cmp_gt_i32 s47, 28
	s_cbranch_scc0 .LBB7_952
; %bb.945:
	;; [unrolled: 3-line block ×4, first 2 shown]
	s_cmp_eq_u32 s47, 46
	s_mov_b32 s49, 0
	s_cbranch_scc0 .LBB7_957
; %bb.948:
	global_load_b32 v1, v[6:7], off
	s_mov_b32 s48, -1
	s_mov_b32 s25, 0
	s_wait_loadcnt 0x0
	v_lshlrev_b32_e32 v1, 16, v1
	s_wait_xcnt 0x1
	s_delay_alu instid0(VALU_DEP_1)
	v_cvt_f64_f32_e32 v[8:9], v1
	s_branch .LBB7_959
.LBB7_949:
	s_mov_b32 s50, 0
	s_mov_b32 s0, s43
	;; [unrolled: 1-line block ×3, first 2 shown]
	s_branch .LBB7_1198
.LBB7_950:
	s_mov_b32 s47, -1
	s_mov_b32 s48, 0
	s_mov_b32 s25, s44
                                        ; implicit-def: $vgpr8_vgpr9
	s_branch .LBB7_1024
.LBB7_951:
	s_mov_b32 s49, -1
	s_mov_b32 s48, 0
	s_mov_b32 s25, s44
                                        ; implicit-def: $vgpr8_vgpr9
	s_branch .LBB7_988
.LBB7_952:
	s_mov_b32 s49, -1
	s_mov_b32 s48, 0
	s_mov_b32 s25, s44
                                        ; implicit-def: $vgpr8_vgpr9
	s_branch .LBB7_969
.LBB7_953:
	s_mov_b32 s49, -1
	s_mov_b32 s48, 0
	s_mov_b32 s25, s44
                                        ; implicit-def: $vgpr8_vgpr9
	s_branch .LBB7_964
.LBB7_954:
	s_mov_b32 s49, -1
	s_mov_b32 s48, 0
	s_mov_b32 s25, s44
	s_branch .LBB7_958
.LBB7_955:
	s_and_not1_saveexec_b32 s47, s47
	s_cbranch_execz .LBB7_718
.LBB7_956:
	v_add_f32_e64 v3, 0x42800000, |v2|
	s_and_not1_b32 s46, s46, exec_lo
	s_delay_alu instid0(VALU_DEP_1) | instskip(NEXT) | instid1(VALU_DEP_1)
	v_and_b32_e32 v3, 0xff, v3
	v_cmp_ne_u32_e32 vcc_lo, 0, v3
	s_and_b32 s48, vcc_lo, exec_lo
	s_delay_alu instid0(SALU_CYCLE_1)
	s_or_b32 s46, s46, s48
	s_or_b32 exec_lo, exec_lo, s47
	v_mov_b32_e32 v5, 0
	s_and_saveexec_b32 s47, s46
	s_cbranch_execnz .LBB7_719
	s_branch .LBB7_720
.LBB7_957:
	s_mov_b32 s25, -1
	s_mov_b32 s48, 0
.LBB7_958:
                                        ; implicit-def: $vgpr8_vgpr9
.LBB7_959:
	s_and_b32 vcc_lo, exec_lo, s49
	s_cbranch_vccz .LBB7_963
; %bb.960:
	s_cmp_eq_u32 s47, 44
	s_cbranch_scc0 .LBB7_962
; %bb.961:
	global_load_u8 v1, v[6:7], off
	s_mov_b32 s25, 0
	s_mov_b32 s48, -1
	s_wait_loadcnt 0x0
	v_lshlrev_b32_e32 v5, 23, v1
	v_cmp_ne_u32_e32 vcc_lo, 0xff, v1
	s_wait_xcnt 0x1
	s_delay_alu instid0(VALU_DEP_2) | instskip(NEXT) | instid1(VALU_DEP_1)
	v_cvt_f64_f32_e32 v[8:9], v5
	v_cndmask_b32_e32 v5, 0x20000000, v8, vcc_lo
	s_delay_alu instid0(VALU_DEP_2) | instskip(SKIP_1) | instid1(VALU_DEP_2)
	v_cndmask_b32_e32 v8, 0x7ff80000, v9, vcc_lo
	v_cmp_ne_u32_e32 vcc_lo, 0, v1
	v_cndmask_b32_e32 v9, 0x38000000, v8, vcc_lo
	s_delay_alu instid0(VALU_DEP_4)
	v_cndmask_b32_e32 v8, 0, v5, vcc_lo
	s_branch .LBB7_963
.LBB7_962:
	s_mov_b32 s25, -1
                                        ; implicit-def: $vgpr8_vgpr9
.LBB7_963:
	s_mov_b32 s49, 0
.LBB7_964:
	s_delay_alu instid0(SALU_CYCLE_1)
	s_and_b32 vcc_lo, exec_lo, s49
	s_cbranch_vccz .LBB7_968
; %bb.965:
	s_cmp_eq_u32 s47, 29
	s_cbranch_scc0 .LBB7_967
; %bb.966:
	global_load_b64 v[8:9], v[6:7], off
	s_mov_b32 s48, -1
	s_mov_b32 s25, 0
	s_mov_b32 s49, 0
	s_wait_loadcnt 0x0
	v_cvt_f64_u32_e32 v[10:11], v9
	v_cvt_f64_u32_e32 v[8:9], v8
	s_delay_alu instid0(VALU_DEP_2) | instskip(NEXT) | instid1(VALU_DEP_1)
	v_ldexp_f64 v[10:11], v[10:11], 32
	v_add_f64_e32 v[8:9], v[10:11], v[8:9]
	s_branch .LBB7_969
.LBB7_967:
	s_mov_b32 s25, -1
                                        ; implicit-def: $vgpr8_vgpr9
.LBB7_968:
	s_mov_b32 s49, 0
.LBB7_969:
	s_delay_alu instid0(SALU_CYCLE_1)
	s_and_b32 vcc_lo, exec_lo, s49
	s_cbranch_vccz .LBB7_987
; %bb.970:
	s_cmp_lt_i32 s47, 27
	s_cbranch_scc1 .LBB7_973
; %bb.971:
	s_cmp_gt_i32 s47, 27
	s_cbranch_scc0 .LBB7_974
; %bb.972:
	global_load_b32 v1, v[6:7], off
	s_mov_b32 s48, 0
	s_wait_loadcnt 0x0
	s_wait_xcnt 0x1
	v_cvt_f64_u32_e32 v[8:9], v1
	s_branch .LBB7_975
.LBB7_973:
	s_mov_b32 s48, -1
                                        ; implicit-def: $vgpr8_vgpr9
	s_branch .LBB7_978
.LBB7_974:
	s_mov_b32 s48, -1
                                        ; implicit-def: $vgpr8_vgpr9
.LBB7_975:
	s_delay_alu instid0(SALU_CYCLE_1)
	s_and_not1_b32 vcc_lo, exec_lo, s48
	s_cbranch_vccnz .LBB7_977
; %bb.976:
	global_load_u16 v1, v[6:7], off
	s_wait_loadcnt 0x0
	s_wait_xcnt 0x1
	v_cvt_f64_u32_e32 v[8:9], v1
.LBB7_977:
	s_mov_b32 s48, 0
.LBB7_978:
	s_delay_alu instid0(SALU_CYCLE_1)
	s_and_not1_b32 vcc_lo, exec_lo, s48
	s_cbranch_vccnz .LBB7_986
; %bb.979:
	global_load_u8 v1, v[6:7], off
	s_mov_b32 s48, 0
	s_mov_b32 s49, exec_lo
	s_wait_loadcnt 0x0
	v_cmpx_lt_i16_e32 0x7f, v1
	s_xor_b32 s49, exec_lo, s49
	s_cbranch_execz .LBB7_1000
; %bb.980:
	s_mov_b32 s48, -1
	s_mov_b32 s50, exec_lo
	v_cmpx_eq_u16_e32 0x80, v1
; %bb.981:
	s_xor_b32 s48, exec_lo, -1
; %bb.982:
	s_or_b32 exec_lo, exec_lo, s50
	s_delay_alu instid0(SALU_CYCLE_1)
	s_and_b32 s48, s48, exec_lo
	s_or_saveexec_b32 s49, s49
	v_mov_b64_e32 v[8:9], 0x7ff8000020000000
	s_xor_b32 exec_lo, exec_lo, s49
	s_cbranch_execnz .LBB7_1001
.LBB7_983:
	s_or_b32 exec_lo, exec_lo, s49
	s_and_saveexec_b32 s49, s48
	s_cbranch_execz .LBB7_985
.LBB7_984:
	v_and_b32_e32 v5, 0xffff, v1
	v_lshlrev_b32_e32 v1, 24, v1
	s_delay_alu instid0(VALU_DEP_2) | instskip(SKIP_1) | instid1(VALU_DEP_3)
	v_and_b32_e32 v8, 7, v5
	v_bfe_u32 v11, v5, 3, 4
	v_and_b32_e32 v1, 0x80000000, v1
	s_delay_alu instid0(VALU_DEP_3) | instskip(NEXT) | instid1(VALU_DEP_3)
	v_clz_i32_u32_e32 v9, v8
	v_cmp_eq_u32_e32 vcc_lo, 0, v11
	s_delay_alu instid0(VALU_DEP_2) | instskip(NEXT) | instid1(VALU_DEP_1)
	v_min_u32_e32 v9, 32, v9
	v_subrev_nc_u32_e32 v10, 28, v9
	v_sub_nc_u32_e32 v9, 29, v9
	s_delay_alu instid0(VALU_DEP_2) | instskip(NEXT) | instid1(VALU_DEP_2)
	v_lshlrev_b32_e32 v5, v10, v5
	v_cndmask_b32_e32 v9, v11, v9, vcc_lo
	s_delay_alu instid0(VALU_DEP_2) | instskip(NEXT) | instid1(VALU_DEP_1)
	v_and_b32_e32 v5, 7, v5
	v_cndmask_b32_e32 v5, v8, v5, vcc_lo
	s_delay_alu instid0(VALU_DEP_3) | instskip(NEXT) | instid1(VALU_DEP_2)
	v_lshl_add_u32 v8, v9, 23, 0x3b800000
	v_lshlrev_b32_e32 v5, 20, v5
	s_delay_alu instid0(VALU_DEP_1) | instskip(NEXT) | instid1(VALU_DEP_1)
	v_or3_b32 v1, v1, v8, v5
	v_cvt_f64_f32_e32 v[8:9], v1
.LBB7_985:
	s_or_b32 exec_lo, exec_lo, s49
.LBB7_986:
	s_mov_b32 s48, -1
.LBB7_987:
	s_mov_b32 s49, 0
.LBB7_988:
	s_delay_alu instid0(SALU_CYCLE_1)
	s_and_b32 vcc_lo, exec_lo, s49
	s_cbranch_vccz .LBB7_1023
; %bb.989:
	s_cmp_gt_i32 s47, 22
	s_cbranch_scc0 .LBB7_999
; %bb.990:
	s_cmp_lt_i32 s47, 24
	s_cbranch_scc1 .LBB7_1002
; %bb.991:
	s_cmp_gt_i32 s47, 24
	s_cbranch_scc0 .LBB7_1003
; %bb.992:
	global_load_u8 v1, v[6:7], off
	s_mov_b32 s48, 0
	s_mov_b32 s49, exec_lo
	s_wait_loadcnt 0x0
	v_cmpx_lt_i16_e32 0x7f, v1
	s_xor_b32 s49, exec_lo, s49
	s_cbranch_execz .LBB7_1015
; %bb.993:
	s_mov_b32 s48, -1
	s_mov_b32 s50, exec_lo
	v_cmpx_eq_u16_e32 0x80, v1
; %bb.994:
	s_xor_b32 s48, exec_lo, -1
; %bb.995:
	s_or_b32 exec_lo, exec_lo, s50
	s_delay_alu instid0(SALU_CYCLE_1)
	s_and_b32 s48, s48, exec_lo
	s_or_saveexec_b32 s49, s49
	v_mov_b64_e32 v[8:9], 0x7ff8000020000000
	s_xor_b32 exec_lo, exec_lo, s49
	s_cbranch_execnz .LBB7_1016
.LBB7_996:
	s_or_b32 exec_lo, exec_lo, s49
	s_and_saveexec_b32 s49, s48
	s_cbranch_execz .LBB7_998
.LBB7_997:
	v_and_b32_e32 v5, 0xffff, v1
	v_lshlrev_b32_e32 v1, 24, v1
	s_delay_alu instid0(VALU_DEP_2) | instskip(SKIP_1) | instid1(VALU_DEP_3)
	v_and_b32_e32 v8, 3, v5
	v_bfe_u32 v11, v5, 2, 5
	v_and_b32_e32 v1, 0x80000000, v1
	s_delay_alu instid0(VALU_DEP_3) | instskip(NEXT) | instid1(VALU_DEP_3)
	v_clz_i32_u32_e32 v9, v8
	v_cmp_eq_u32_e32 vcc_lo, 0, v11
	s_delay_alu instid0(VALU_DEP_2) | instskip(NEXT) | instid1(VALU_DEP_1)
	v_min_u32_e32 v9, 32, v9
	v_subrev_nc_u32_e32 v10, 29, v9
	v_sub_nc_u32_e32 v9, 30, v9
	s_delay_alu instid0(VALU_DEP_2) | instskip(NEXT) | instid1(VALU_DEP_2)
	v_lshlrev_b32_e32 v5, v10, v5
	v_cndmask_b32_e32 v9, v11, v9, vcc_lo
	s_delay_alu instid0(VALU_DEP_2) | instskip(NEXT) | instid1(VALU_DEP_1)
	v_and_b32_e32 v5, 3, v5
	v_cndmask_b32_e32 v5, v8, v5, vcc_lo
	s_delay_alu instid0(VALU_DEP_3) | instskip(NEXT) | instid1(VALU_DEP_2)
	v_lshl_add_u32 v8, v9, 23, 0x37800000
	v_lshlrev_b32_e32 v5, 21, v5
	s_delay_alu instid0(VALU_DEP_1) | instskip(NEXT) | instid1(VALU_DEP_1)
	v_or3_b32 v1, v1, v8, v5
	v_cvt_f64_f32_e32 v[8:9], v1
.LBB7_998:
	s_or_b32 exec_lo, exec_lo, s49
	s_mov_b32 s48, 0
	s_branch .LBB7_1004
.LBB7_999:
	s_mov_b32 s49, -1
                                        ; implicit-def: $vgpr8_vgpr9
	s_branch .LBB7_1010
.LBB7_1000:
	s_or_saveexec_b32 s49, s49
	v_mov_b64_e32 v[8:9], 0x7ff8000020000000
	s_xor_b32 exec_lo, exec_lo, s49
	s_cbranch_execz .LBB7_983
.LBB7_1001:
	v_cmp_ne_u16_e32 vcc_lo, 0, v1
	v_mov_b64_e32 v[8:9], 0
	s_and_not1_b32 s48, s48, exec_lo
	s_and_b32 s50, vcc_lo, exec_lo
	s_delay_alu instid0(SALU_CYCLE_1)
	s_or_b32 s48, s48, s50
	s_or_b32 exec_lo, exec_lo, s49
	s_and_saveexec_b32 s49, s48
	s_cbranch_execnz .LBB7_984
	s_branch .LBB7_985
.LBB7_1002:
	s_mov_b32 s48, -1
                                        ; implicit-def: $vgpr8_vgpr9
	s_branch .LBB7_1007
.LBB7_1003:
	s_mov_b32 s48, -1
                                        ; implicit-def: $vgpr8_vgpr9
.LBB7_1004:
	s_delay_alu instid0(SALU_CYCLE_1)
	s_and_b32 vcc_lo, exec_lo, s48
	s_cbranch_vccz .LBB7_1006
; %bb.1005:
	global_load_u8 v1, v[6:7], off
	s_wait_loadcnt 0x0
	v_lshlrev_b32_e32 v1, 24, v1
	s_delay_alu instid0(VALU_DEP_1) | instskip(SKIP_1) | instid1(VALU_DEP_1)
	v_and_b32_e32 v5, 0x7f000000, v1
	s_wait_xcnt 0x1
	v_clz_i32_u32_e32 v8, v5
	v_cmp_ne_u32_e32 vcc_lo, 0, v5
	v_add_nc_u32_e32 v10, 0x1000000, v5
	s_delay_alu instid0(VALU_DEP_3) | instskip(NEXT) | instid1(VALU_DEP_1)
	v_min_u32_e32 v8, 32, v8
	v_sub_nc_u32_e64 v8, v8, 4 clamp
	s_delay_alu instid0(VALU_DEP_1) | instskip(NEXT) | instid1(VALU_DEP_1)
	v_dual_lshlrev_b32 v9, v8, v5 :: v_dual_lshlrev_b32 v8, 23, v8
	v_lshrrev_b32_e32 v9, 4, v9
	s_delay_alu instid0(VALU_DEP_1) | instskip(NEXT) | instid1(VALU_DEP_1)
	v_dual_sub_nc_u32 v8, v9, v8 :: v_dual_ashrrev_i32 v9, 8, v10
	v_add_nc_u32_e32 v8, 0x3c000000, v8
	s_delay_alu instid0(VALU_DEP_1) | instskip(NEXT) | instid1(VALU_DEP_1)
	v_and_or_b32 v8, 0x7f800000, v9, v8
	v_cndmask_b32_e32 v5, 0, v8, vcc_lo
	s_delay_alu instid0(VALU_DEP_1) | instskip(NEXT) | instid1(VALU_DEP_1)
	v_and_or_b32 v1, 0x80000000, v1, v5
	v_cvt_f64_f32_e32 v[8:9], v1
.LBB7_1006:
	s_mov_b32 s48, 0
.LBB7_1007:
	s_delay_alu instid0(SALU_CYCLE_1)
	s_and_not1_b32 vcc_lo, exec_lo, s48
	s_cbranch_vccnz .LBB7_1009
; %bb.1008:
	global_load_u8 v1, v[6:7], off
	s_wait_loadcnt 0x0
	v_lshlrev_b32_e32 v5, 25, v1
	v_lshlrev_b16 v1, 8, v1
	s_wait_xcnt 0x1
	s_delay_alu instid0(VALU_DEP_2) | instskip(NEXT) | instid1(VALU_DEP_2)
	v_lshrrev_b32_e32 v8, 4, v5
	v_and_or_b32 v9, 0x7f00, v1, 0.5
	v_bfe_i32 v1, v1, 0, 16
	s_delay_alu instid0(VALU_DEP_3) | instskip(NEXT) | instid1(VALU_DEP_1)
	v_or_b32_e32 v8, 0x70000000, v8
	v_dual_add_f32 v9, -0.5, v9 :: v_dual_mul_f32 v8, 0x7800000, v8
	v_cmp_gt_u32_e32 vcc_lo, 0x8000000, v5
	s_delay_alu instid0(VALU_DEP_2) | instskip(NEXT) | instid1(VALU_DEP_1)
	v_cndmask_b32_e32 v5, v8, v9, vcc_lo
	v_and_or_b32 v1, 0x80000000, v1, v5
	s_delay_alu instid0(VALU_DEP_1)
	v_cvt_f64_f32_e32 v[8:9], v1
.LBB7_1009:
	s_mov_b32 s49, 0
	s_mov_b32 s48, -1
.LBB7_1010:
	s_and_not1_b32 vcc_lo, exec_lo, s49
	s_cbranch_vccnz .LBB7_1023
; %bb.1011:
	s_cmp_gt_i32 s47, 14
	s_cbranch_scc0 .LBB7_1014
; %bb.1012:
	s_cmp_eq_u32 s47, 15
	s_cbranch_scc0 .LBB7_1017
; %bb.1013:
	global_load_u16 v1, v[6:7], off
	s_mov_b32 s48, -1
	s_mov_b32 s25, 0
	s_wait_loadcnt 0x0
	v_lshlrev_b32_e32 v1, 16, v1
	s_wait_xcnt 0x1
	s_delay_alu instid0(VALU_DEP_1)
	v_cvt_f64_f32_e32 v[8:9], v1
	s_branch .LBB7_1018
.LBB7_1014:
	s_mov_b32 s49, -1
                                        ; implicit-def: $vgpr8_vgpr9
	s_branch .LBB7_1019
.LBB7_1015:
	s_or_saveexec_b32 s49, s49
	v_mov_b64_e32 v[8:9], 0x7ff8000020000000
	s_xor_b32 exec_lo, exec_lo, s49
	s_cbranch_execz .LBB7_996
.LBB7_1016:
	v_cmp_ne_u16_e32 vcc_lo, 0, v1
	v_mov_b64_e32 v[8:9], 0
	s_and_not1_b32 s48, s48, exec_lo
	s_and_b32 s50, vcc_lo, exec_lo
	s_delay_alu instid0(SALU_CYCLE_1)
	s_or_b32 s48, s48, s50
	s_or_b32 exec_lo, exec_lo, s49
	s_and_saveexec_b32 s49, s48
	s_cbranch_execnz .LBB7_997
	s_branch .LBB7_998
.LBB7_1017:
	s_mov_b32 s25, -1
                                        ; implicit-def: $vgpr8_vgpr9
.LBB7_1018:
	s_mov_b32 s49, 0
.LBB7_1019:
	s_delay_alu instid0(SALU_CYCLE_1)
	s_and_b32 vcc_lo, exec_lo, s49
	s_cbranch_vccz .LBB7_1023
; %bb.1020:
	s_cmp_eq_u32 s47, 11
	s_cbranch_scc0 .LBB7_1022
; %bb.1021:
	global_load_u8 v1, v[6:7], off
	s_wait_xcnt 0x1
	v_mov_b32_e32 v8, 0
	s_mov_b32 s25, 0
	s_mov_b32 s48, -1
	s_wait_loadcnt 0x0
	v_cmp_ne_u16_e32 vcc_lo, 0, v1
	v_cndmask_b32_e64 v9, 0, 0x3ff00000, vcc_lo
	s_branch .LBB7_1023
.LBB7_1022:
	s_mov_b32 s25, -1
                                        ; implicit-def: $vgpr8_vgpr9
.LBB7_1023:
	s_mov_b32 s47, 0
.LBB7_1024:
	s_delay_alu instid0(SALU_CYCLE_1)
	s_and_b32 vcc_lo, exec_lo, s47
	s_cbranch_vccz .LBB7_1073
; %bb.1025:
	s_and_b32 s0, 0xffff, s0
	s_delay_alu instid0(SALU_CYCLE_1)
	s_cmp_lt_i32 s0, 5
	s_cbranch_scc1 .LBB7_1030
; %bb.1026:
	s_cmp_lt_i32 s0, 8
	s_cbranch_scc1 .LBB7_1031
; %bb.1027:
	;; [unrolled: 3-line block ×3, first 2 shown]
	s_cmp_gt_i32 s0, 9
	s_cbranch_scc0 .LBB7_1033
; %bb.1029:
	global_load_b64 v[8:9], v[6:7], off
	s_mov_b32 s47, 0
	s_branch .LBB7_1034
.LBB7_1030:
	s_mov_b32 s47, -1
                                        ; implicit-def: $vgpr8_vgpr9
	s_branch .LBB7_1052
.LBB7_1031:
	s_mov_b32 s47, -1
                                        ; implicit-def: $vgpr8_vgpr9
	s_branch .LBB7_1040
.LBB7_1032:
	s_mov_b32 s47, -1
                                        ; implicit-def: $vgpr8_vgpr9
	s_branch .LBB7_1037
.LBB7_1033:
	s_mov_b32 s47, -1
                                        ; implicit-def: $vgpr8_vgpr9
.LBB7_1034:
	s_delay_alu instid0(SALU_CYCLE_1)
	s_and_not1_b32 vcc_lo, exec_lo, s47
	s_cbranch_vccnz .LBB7_1036
; %bb.1035:
	global_load_b32 v1, v[6:7], off
	s_wait_loadcnt 0x0
	s_wait_xcnt 0x1
	v_cvt_f64_f32_e32 v[8:9], v1
.LBB7_1036:
	s_mov_b32 s47, 0
.LBB7_1037:
	s_delay_alu instid0(SALU_CYCLE_1)
	s_and_not1_b32 vcc_lo, exec_lo, s47
	s_cbranch_vccnz .LBB7_1039
; %bb.1038:
	global_load_b32 v1, v[6:7], off
	s_wait_loadcnt 0x0
	v_cvt_f32_f16_e32 v1, v1
	s_wait_xcnt 0x1
	s_delay_alu instid0(VALU_DEP_1)
	v_cvt_f64_f32_e32 v[8:9], v1
.LBB7_1039:
	s_mov_b32 s47, 0
.LBB7_1040:
	s_delay_alu instid0(SALU_CYCLE_1)
	s_and_not1_b32 vcc_lo, exec_lo, s47
	s_cbranch_vccnz .LBB7_1051
; %bb.1041:
	s_cmp_lt_i32 s0, 6
	s_cbranch_scc1 .LBB7_1044
; %bb.1042:
	s_cmp_gt_i32 s0, 6
	s_cbranch_scc0 .LBB7_1045
; %bb.1043:
	s_wait_loadcnt 0x0
	global_load_b64 v[8:9], v[6:7], off
	s_mov_b32 s47, 0
	s_branch .LBB7_1046
.LBB7_1044:
	s_mov_b32 s47, -1
                                        ; implicit-def: $vgpr8_vgpr9
	s_branch .LBB7_1049
.LBB7_1045:
	s_mov_b32 s47, -1
                                        ; implicit-def: $vgpr8_vgpr9
.LBB7_1046:
	s_delay_alu instid0(SALU_CYCLE_1)
	s_and_not1_b32 vcc_lo, exec_lo, s47
	s_cbranch_vccnz .LBB7_1048
; %bb.1047:
	global_load_b32 v1, v[6:7], off
	s_wait_loadcnt 0x0
	s_wait_xcnt 0x1
	v_cvt_f64_f32_e32 v[8:9], v1
.LBB7_1048:
	s_mov_b32 s47, 0
.LBB7_1049:
	s_delay_alu instid0(SALU_CYCLE_1)
	s_and_not1_b32 vcc_lo, exec_lo, s47
	s_cbranch_vccnz .LBB7_1051
; %bb.1050:
	global_load_u16 v1, v[6:7], off
	s_wait_loadcnt 0x0
	v_cvt_f32_f16_e32 v1, v1
	s_wait_xcnt 0x1
	s_delay_alu instid0(VALU_DEP_1)
	v_cvt_f64_f32_e32 v[8:9], v1
.LBB7_1051:
	s_mov_b32 s47, 0
.LBB7_1052:
	s_delay_alu instid0(SALU_CYCLE_1)
	s_and_not1_b32 vcc_lo, exec_lo, s47
	s_cbranch_vccnz .LBB7_1072
; %bb.1053:
	s_cmp_lt_i32 s0, 2
	s_cbranch_scc1 .LBB7_1057
; %bb.1054:
	s_cmp_lt_i32 s0, 3
	s_cbranch_scc1 .LBB7_1058
; %bb.1055:
	s_cmp_gt_i32 s0, 3
	s_cbranch_scc0 .LBB7_1059
; %bb.1056:
	s_wait_loadcnt 0x0
	global_load_b64 v[8:9], v[6:7], off
	s_mov_b32 s47, 0
	s_wait_loadcnt 0x0
	v_cvt_f64_i32_e32 v[10:11], v9
	v_cvt_f64_u32_e32 v[8:9], v8
	s_delay_alu instid0(VALU_DEP_2) | instskip(NEXT) | instid1(VALU_DEP_1)
	v_ldexp_f64 v[10:11], v[10:11], 32
	v_add_f64_e32 v[8:9], v[10:11], v[8:9]
	s_branch .LBB7_1060
.LBB7_1057:
	s_mov_b32 s47, -1
                                        ; implicit-def: $vgpr8_vgpr9
	s_branch .LBB7_1066
.LBB7_1058:
	s_mov_b32 s47, -1
                                        ; implicit-def: $vgpr8_vgpr9
	s_branch .LBB7_1063
.LBB7_1059:
	s_mov_b32 s47, -1
                                        ; implicit-def: $vgpr8_vgpr9
.LBB7_1060:
	s_delay_alu instid0(SALU_CYCLE_1)
	s_and_not1_b32 vcc_lo, exec_lo, s47
	s_cbranch_vccnz .LBB7_1062
; %bb.1061:
	global_load_b32 v1, v[6:7], off
	s_wait_loadcnt 0x0
	s_wait_xcnt 0x1
	v_cvt_f64_i32_e32 v[8:9], v1
.LBB7_1062:
	s_mov_b32 s47, 0
.LBB7_1063:
	s_delay_alu instid0(SALU_CYCLE_1)
	s_and_not1_b32 vcc_lo, exec_lo, s47
	s_cbranch_vccnz .LBB7_1065
; %bb.1064:
	global_load_i16 v1, v[6:7], off
	s_wait_loadcnt 0x0
	s_wait_xcnt 0x1
	v_cvt_f64_i32_e32 v[8:9], v1
.LBB7_1065:
	s_mov_b32 s47, 0
.LBB7_1066:
	s_delay_alu instid0(SALU_CYCLE_1)
	s_and_not1_b32 vcc_lo, exec_lo, s47
	s_cbranch_vccnz .LBB7_1072
; %bb.1067:
	s_cmp_gt_i32 s0, 0
	s_mov_b32 s0, 0
	s_cbranch_scc0 .LBB7_1069
; %bb.1068:
	global_load_i8 v1, v[6:7], off
	s_wait_loadcnt 0x0
	s_wait_xcnt 0x1
	v_cvt_f64_i32_e32 v[8:9], v1
	s_branch .LBB7_1070
.LBB7_1069:
	s_mov_b32 s0, -1
                                        ; implicit-def: $vgpr8_vgpr9
.LBB7_1070:
	s_delay_alu instid0(SALU_CYCLE_1)
	s_and_not1_b32 vcc_lo, exec_lo, s0
	s_cbranch_vccnz .LBB7_1072
; %bb.1071:
	global_load_u8 v1, v[6:7], off
	s_wait_loadcnt 0x0
	s_wait_xcnt 0x1
	v_cvt_f64_u32_e32 v[8:9], v1
.LBB7_1072:
	s_mov_b32 s48, -1
.LBB7_1073:
	s_delay_alu instid0(SALU_CYCLE_1)
	s_and_not1_b32 vcc_lo, exec_lo, s48
	s_cbranch_vccnz .LBB7_1081
; %bb.1074:
	s_wait_loadcnt 0x0
	s_delay_alu instid0(VALU_DEP_1) | instskip(SKIP_2) | instid1(SALU_CYCLE_1)
	v_dual_mul_f64 v[8:9], v[2:3], v[8:9] :: v_dual_mov_b32 v1, 0
	v_cmp_lt_f64_e32 vcc_lo, 0, v[2:3]
	s_and_b32 s47, s31, 0xff
	s_cmp_lt_i32 s47, 11
	s_delay_alu instid0(VALU_DEP_2) | instskip(NEXT) | instid1(VALU_DEP_3)
	v_add_nc_u64_e32 v[6:7], s[4:5], v[0:1]
	v_dual_cndmask_b32 v1, v9, v3 :: v_dual_cndmask_b32 v0, v8, v2
	s_cbranch_scc1 .LBB7_1082
; %bb.1075:
	s_and_b32 s48, 0xffff, s47
	s_delay_alu instid0(SALU_CYCLE_1)
	s_cmp_gt_i32 s48, 25
	s_cbranch_scc0 .LBB7_1083
; %bb.1076:
	s_cmp_gt_i32 s48, 28
	s_cbranch_scc0 .LBB7_1084
; %bb.1077:
	;; [unrolled: 3-line block ×4, first 2 shown]
	s_mov_b32 s50, 0
	s_mov_b32 s0, -1
	s_cmp_eq_u32 s48, 46
	s_mov_b32 s49, 0
	s_cbranch_scc0 .LBB7_1087
; %bb.1080:
	v_cvt_f32_f64_e32 v2, v[0:1]
	s_mov_b32 s49, -1
	s_mov_b32 s0, 0
	s_delay_alu instid0(VALU_DEP_1) | instskip(SKIP_1) | instid1(VALU_DEP_2)
	v_bfe_u32 v3, v2, 16, 1
	v_cmp_o_f32_e32 vcc_lo, v2, v2
	v_add3_u32 v3, v2, v3, 0x7fff
	s_delay_alu instid0(VALU_DEP_1) | instskip(NEXT) | instid1(VALU_DEP_1)
	v_lshrrev_b32_e32 v3, 16, v3
	v_cndmask_b32_e32 v2, 0x7fc0, v3, vcc_lo
	global_store_b32 v[6:7], v2, off
	s_branch .LBB7_1087
.LBB7_1081:
	s_mov_b32 s50, 0
	s_mov_b32 s0, s43
	s_branch .LBB7_1198
.LBB7_1082:
	s_mov_b32 s48, -1
	s_mov_b32 s49, 0
	s_mov_b32 s0, s43
	s_branch .LBB7_1156
.LBB7_1083:
	s_mov_b32 s50, -1
	s_mov_b32 s49, 0
	s_mov_b32 s0, s43
	s_branch .LBB7_1114
.LBB7_1084:
	s_mov_b32 s50, -1
	s_mov_b32 s49, 0
	s_mov_b32 s0, s43
	s_branch .LBB7_1097
.LBB7_1085:
	s_mov_b32 s50, -1
	s_mov_b32 s49, 0
	s_mov_b32 s0, s43
	s_branch .LBB7_1093
.LBB7_1086:
	s_mov_b32 s50, -1
	s_mov_b32 s49, 0
	s_mov_b32 s0, s43
.LBB7_1087:
	s_and_b32 vcc_lo, exec_lo, s50
	s_cbranch_vccz .LBB7_1092
; %bb.1088:
	s_cmp_eq_u32 s48, 44
	s_mov_b32 s0, -1
	s_cbranch_scc0 .LBB7_1092
; %bb.1089:
	s_wait_xcnt 0x0
	v_cvt_f32_f64_e32 v2, v[0:1]
	v_mov_b32_e32 v3, 0xff
	s_mov_b32 s49, exec_lo
	s_delay_alu instid0(VALU_DEP_2) | instskip(NEXT) | instid1(VALU_DEP_1)
	v_bfe_u32 v5, v2, 23, 8
	v_cmpx_ne_u32_e32 0xff, v5
	s_cbranch_execz .LBB7_1091
; %bb.1090:
	v_and_b32_e32 v3, 0x400000, v2
	v_and_or_b32 v5, 0x3fffff, v2, v5
	v_lshrrev_b32_e32 v2, 23, v2
	s_delay_alu instid0(VALU_DEP_3) | instskip(NEXT) | instid1(VALU_DEP_3)
	v_cmp_ne_u32_e32 vcc_lo, 0, v3
	v_cmp_ne_u32_e64 s0, 0, v5
	s_and_b32 s0, vcc_lo, s0
	s_delay_alu instid0(SALU_CYCLE_1) | instskip(NEXT) | instid1(VALU_DEP_1)
	v_cndmask_b32_e64 v3, 0, 1, s0
	v_add_nc_u32_e32 v3, v2, v3
.LBB7_1091:
	s_or_b32 exec_lo, exec_lo, s49
	s_mov_b32 s49, -1
	s_mov_b32 s0, 0
	global_store_b8 v[6:7], v3, off
.LBB7_1092:
	s_mov_b32 s50, 0
.LBB7_1093:
	s_delay_alu instid0(SALU_CYCLE_1)
	s_and_b32 vcc_lo, exec_lo, s50
	s_cbranch_vccz .LBB7_1096
; %bb.1094:
	s_cmp_eq_u32 s48, 29
	s_mov_b32 s0, -1
	s_cbranch_scc0 .LBB7_1096
; %bb.1095:
	s_wait_xcnt 0x0
	v_trunc_f64_e32 v[2:3], v[0:1]
	s_mov_b32 s49, -1
	s_mov_b32 s0, 0
	s_mov_b32 s50, 0
	s_delay_alu instid0(VALU_DEP_1) | instskip(NEXT) | instid1(VALU_DEP_1)
	v_ldexp_f64 v[8:9], v[2:3], 0xffffffe0
	v_floor_f64_e32 v[8:9], v[8:9]
	s_delay_alu instid0(VALU_DEP_1) | instskip(SKIP_1) | instid1(VALU_DEP_2)
	v_fmamk_f64 v[2:3], v[8:9], 0xc1f00000, v[2:3]
	v_cvt_u32_f64_e32 v9, v[8:9]
	v_cvt_u32_f64_e32 v8, v[2:3]
	global_store_b64 v[6:7], v[8:9], off
	s_branch .LBB7_1097
.LBB7_1096:
	s_mov_b32 s50, 0
.LBB7_1097:
	s_delay_alu instid0(SALU_CYCLE_1)
	s_and_b32 vcc_lo, exec_lo, s50
	s_cbranch_vccz .LBB7_1113
; %bb.1098:
	s_cmp_lt_i32 s48, 27
	s_mov_b32 s49, -1
	s_cbranch_scc1 .LBB7_1104
; %bb.1099:
	s_cmp_gt_i32 s48, 27
	s_cbranch_scc0 .LBB7_1101
; %bb.1100:
	s_wait_xcnt 0x0
	v_cvt_u32_f64_e32 v2, v[0:1]
	s_mov_b32 s49, 0
	global_store_b32 v[6:7], v2, off
.LBB7_1101:
	s_and_not1_b32 vcc_lo, exec_lo, s49
	s_cbranch_vccnz .LBB7_1103
; %bb.1102:
	s_wait_xcnt 0x0
	v_cvt_u32_f64_e32 v2, v[0:1]
	global_store_b16 v[6:7], v2, off
.LBB7_1103:
	s_mov_b32 s49, 0
.LBB7_1104:
	s_delay_alu instid0(SALU_CYCLE_1)
	s_and_not1_b32 vcc_lo, exec_lo, s49
	s_cbranch_vccnz .LBB7_1112
; %bb.1105:
	s_wait_xcnt 0x0
	v_cvt_f32_f64_e32 v2, v[0:1]
	v_mov_b32_e32 v5, 0x80
	s_mov_b32 s49, exec_lo
	s_delay_alu instid0(VALU_DEP_2) | instskip(NEXT) | instid1(VALU_DEP_1)
	v_and_b32_e32 v3, 0x7fffffff, v2
	v_cmpx_gt_u32_e32 0x43800000, v3
	s_cbranch_execz .LBB7_1111
; %bb.1106:
	v_cmp_lt_u32_e32 vcc_lo, 0x3bffffff, v3
	s_mov_b32 s50, 0
                                        ; implicit-def: $vgpr3
	s_and_saveexec_b32 s51, vcc_lo
	s_delay_alu instid0(SALU_CYCLE_1)
	s_xor_b32 s51, exec_lo, s51
	s_cbranch_execz .LBB7_1226
; %bb.1107:
	v_bfe_u32 v3, v2, 20, 1
	s_mov_b32 s50, exec_lo
	s_delay_alu instid0(VALU_DEP_1) | instskip(NEXT) | instid1(VALU_DEP_1)
	v_add3_u32 v3, v2, v3, 0x487ffff
	v_lshrrev_b32_e32 v3, 20, v3
	s_and_not1_saveexec_b32 s51, s51
	s_cbranch_execnz .LBB7_1227
.LBB7_1108:
	s_or_b32 exec_lo, exec_lo, s51
	v_mov_b32_e32 v5, 0
	s_and_saveexec_b32 s51, s50
.LBB7_1109:
	v_lshrrev_b32_e32 v2, 24, v2
	s_delay_alu instid0(VALU_DEP_1)
	v_and_or_b32 v5, 0x80, v2, v3
.LBB7_1110:
	s_or_b32 exec_lo, exec_lo, s51
.LBB7_1111:
	s_delay_alu instid0(SALU_CYCLE_1)
	s_or_b32 exec_lo, exec_lo, s49
	global_store_b8 v[6:7], v5, off
.LBB7_1112:
	s_mov_b32 s49, -1
.LBB7_1113:
	s_mov_b32 s50, 0
.LBB7_1114:
	s_delay_alu instid0(SALU_CYCLE_1)
	s_and_b32 vcc_lo, exec_lo, s50
	s_cbranch_vccz .LBB7_1155
; %bb.1115:
	s_cmp_gt_i32 s48, 22
	s_mov_b32 s50, -1
	s_cbranch_scc0 .LBB7_1147
; %bb.1116:
	s_cmp_lt_i32 s48, 24
	s_mov_b32 s49, -1
	s_cbranch_scc1 .LBB7_1136
; %bb.1117:
	s_cmp_gt_i32 s48, 24
	s_cbranch_scc0 .LBB7_1125
; %bb.1118:
	s_wait_xcnt 0x0
	v_cvt_f32_f64_e32 v2, v[0:1]
	v_mov_b32_e32 v5, 0x80
	s_mov_b32 s49, exec_lo
	s_delay_alu instid0(VALU_DEP_2) | instskip(NEXT) | instid1(VALU_DEP_1)
	v_and_b32_e32 v3, 0x7fffffff, v2
	v_cmpx_gt_u32_e32 0x47800000, v3
	s_cbranch_execz .LBB7_1124
; %bb.1119:
	v_cmp_lt_u32_e32 vcc_lo, 0x37ffffff, v3
	s_mov_b32 s50, 0
                                        ; implicit-def: $vgpr3
	s_and_saveexec_b32 s51, vcc_lo
	s_delay_alu instid0(SALU_CYCLE_1)
	s_xor_b32 s51, exec_lo, s51
	s_cbranch_execz .LBB7_2298
; %bb.1120:
	v_bfe_u32 v3, v2, 21, 1
	s_mov_b32 s50, exec_lo
	s_delay_alu instid0(VALU_DEP_1) | instskip(NEXT) | instid1(VALU_DEP_1)
	v_add3_u32 v3, v2, v3, 0x88fffff
	v_lshrrev_b32_e32 v3, 21, v3
	s_and_not1_saveexec_b32 s51, s51
	s_cbranch_execnz .LBB7_2299
.LBB7_1121:
	s_or_b32 exec_lo, exec_lo, s51
	v_mov_b32_e32 v5, 0
	s_and_saveexec_b32 s51, s50
.LBB7_1122:
	v_lshrrev_b32_e32 v2, 24, v2
	s_delay_alu instid0(VALU_DEP_1)
	v_and_or_b32 v5, 0x80, v2, v3
.LBB7_1123:
	s_or_b32 exec_lo, exec_lo, s51
.LBB7_1124:
	s_delay_alu instid0(SALU_CYCLE_1)
	s_or_b32 exec_lo, exec_lo, s49
	s_mov_b32 s49, 0
	global_store_b8 v[6:7], v5, off
.LBB7_1125:
	s_and_b32 vcc_lo, exec_lo, s49
	s_cbranch_vccz .LBB7_1135
; %bb.1126:
	s_wait_xcnt 0x0
	v_cvt_f32_f64_e32 v2, v[0:1]
	s_mov_b32 s49, exec_lo
                                        ; implicit-def: $vgpr3
	s_delay_alu instid0(VALU_DEP_1) | instskip(NEXT) | instid1(VALU_DEP_1)
	v_and_b32_e32 v5, 0x7fffffff, v2
	v_cmpx_gt_u32_e32 0x43f00000, v5
	s_xor_b32 s49, exec_lo, s49
	s_cbranch_execz .LBB7_1132
; %bb.1127:
	s_mov_b32 s50, exec_lo
                                        ; implicit-def: $vgpr3
	v_cmpx_lt_u32_e32 0x3c7fffff, v5
	s_xor_b32 s50, exec_lo, s50
; %bb.1128:
	v_bfe_u32 v3, v2, 20, 1
	s_delay_alu instid0(VALU_DEP_1) | instskip(NEXT) | instid1(VALU_DEP_1)
	v_add3_u32 v3, v2, v3, 0x407ffff
	v_and_b32_e32 v5, 0xff00000, v3
	v_lshrrev_b32_e32 v3, 20, v3
	s_delay_alu instid0(VALU_DEP_2) | instskip(NEXT) | instid1(VALU_DEP_2)
	v_cmp_ne_u32_e32 vcc_lo, 0x7f00000, v5
	v_cndmask_b32_e32 v3, 0x7e, v3, vcc_lo
; %bb.1129:
	s_and_not1_saveexec_b32 s50, s50
; %bb.1130:
	v_add_f32_e64 v3, 0x46800000, |v2|
; %bb.1131:
	s_or_b32 exec_lo, exec_lo, s50
                                        ; implicit-def: $vgpr5
.LBB7_1132:
	s_and_not1_saveexec_b32 s49, s49
; %bb.1133:
	v_mov_b32_e32 v3, 0x7f
	v_cmp_lt_u32_e32 vcc_lo, 0x7f800000, v5
	s_delay_alu instid0(VALU_DEP_2)
	v_cndmask_b32_e32 v3, 0x7e, v3, vcc_lo
; %bb.1134:
	s_or_b32 exec_lo, exec_lo, s49
	v_lshrrev_b32_e32 v2, 24, v2
	s_delay_alu instid0(VALU_DEP_1)
	v_and_or_b32 v2, 0x80, v2, v3
	global_store_b8 v[6:7], v2, off
.LBB7_1135:
	s_mov_b32 s49, 0
.LBB7_1136:
	s_delay_alu instid0(SALU_CYCLE_1)
	s_and_not1_b32 vcc_lo, exec_lo, s49
	s_cbranch_vccnz .LBB7_1146
; %bb.1137:
	s_wait_xcnt 0x0
	v_cvt_f32_f64_e32 v2, v[0:1]
	s_mov_b32 s49, exec_lo
                                        ; implicit-def: $vgpr3
	s_delay_alu instid0(VALU_DEP_1) | instskip(NEXT) | instid1(VALU_DEP_1)
	v_and_b32_e32 v5, 0x7fffffff, v2
	v_cmpx_gt_u32_e32 0x47800000, v5
	s_xor_b32 s49, exec_lo, s49
	s_cbranch_execz .LBB7_1143
; %bb.1138:
	s_mov_b32 s50, exec_lo
                                        ; implicit-def: $vgpr3
	v_cmpx_lt_u32_e32 0x387fffff, v5
	s_xor_b32 s50, exec_lo, s50
; %bb.1139:
	v_bfe_u32 v3, v2, 21, 1
	s_delay_alu instid0(VALU_DEP_1) | instskip(NEXT) | instid1(VALU_DEP_1)
	v_add3_u32 v3, v2, v3, 0x80fffff
	v_lshrrev_b32_e32 v3, 21, v3
; %bb.1140:
	s_and_not1_saveexec_b32 s50, s50
; %bb.1141:
	v_add_f32_e64 v3, 0x43000000, |v2|
; %bb.1142:
	s_or_b32 exec_lo, exec_lo, s50
                                        ; implicit-def: $vgpr5
.LBB7_1143:
	s_and_not1_saveexec_b32 s49, s49
; %bb.1144:
	v_mov_b32_e32 v3, 0x7f
	v_cmp_lt_u32_e32 vcc_lo, 0x7f800000, v5
	s_delay_alu instid0(VALU_DEP_2)
	v_cndmask_b32_e32 v3, 0x7c, v3, vcc_lo
; %bb.1145:
	s_or_b32 exec_lo, exec_lo, s49
	v_lshrrev_b32_e32 v2, 24, v2
	s_delay_alu instid0(VALU_DEP_1)
	v_and_or_b32 v2, 0x80, v2, v3
	global_store_b8 v[6:7], v2, off
.LBB7_1146:
	s_mov_b32 s50, 0
	s_mov_b32 s49, -1
.LBB7_1147:
	s_and_not1_b32 vcc_lo, exec_lo, s50
	s_cbranch_vccnz .LBB7_1155
; %bb.1148:
	s_cmp_gt_i32 s48, 14
	s_mov_b32 s50, -1
	s_cbranch_scc0 .LBB7_1152
; %bb.1149:
	s_cmp_eq_u32 s48, 15
	s_mov_b32 s0, -1
	s_cbranch_scc0 .LBB7_1151
; %bb.1150:
	s_wait_xcnt 0x0
	v_cvt_f32_f64_e32 v2, v[0:1]
	s_mov_b32 s49, -1
	s_mov_b32 s0, 0
	s_delay_alu instid0(VALU_DEP_1) | instskip(SKIP_1) | instid1(VALU_DEP_2)
	v_bfe_u32 v3, v2, 16, 1
	v_cmp_o_f32_e32 vcc_lo, v2, v2
	v_add3_u32 v3, v2, v3, 0x7fff
	s_delay_alu instid0(VALU_DEP_1) | instskip(NEXT) | instid1(VALU_DEP_1)
	v_lshrrev_b32_e32 v3, 16, v3
	v_cndmask_b32_e32 v2, 0x7fc0, v3, vcc_lo
	global_store_b16 v[6:7], v2, off
.LBB7_1151:
	s_mov_b32 s50, 0
.LBB7_1152:
	s_delay_alu instid0(SALU_CYCLE_1)
	s_and_b32 vcc_lo, exec_lo, s50
	s_cbranch_vccz .LBB7_1155
; %bb.1153:
	s_cmp_eq_u32 s48, 11
	s_mov_b32 s0, -1
	s_cbranch_scc0 .LBB7_1155
; %bb.1154:
	v_cmp_neq_f64_e32 vcc_lo, 0, v[0:1]
	s_mov_b32 s49, -1
	s_mov_b32 s0, 0
	s_wait_xcnt 0x0
	v_cndmask_b32_e64 v2, 0, 1, vcc_lo
	global_store_b8 v[6:7], v2, off
.LBB7_1155:
	s_mov_b32 s48, 0
.LBB7_1156:
	s_delay_alu instid0(SALU_CYCLE_1)
	s_and_b32 vcc_lo, exec_lo, s48
	s_cbranch_vccz .LBB7_1195
; %bb.1157:
	s_and_b32 s47, 0xffff, s47
	s_mov_b32 s48, -1
	s_cmp_lt_i32 s47, 5
	s_cbranch_scc1 .LBB7_1178
; %bb.1158:
	s_cmp_lt_i32 s47, 8
	s_cbranch_scc1 .LBB7_1168
; %bb.1159:
	;; [unrolled: 3-line block ×3, first 2 shown]
	s_cmp_gt_i32 s47, 9
	s_cbranch_scc0 .LBB7_1162
; %bb.1161:
	s_wait_xcnt 0x0
	v_mov_b32_e32 v2, 0
	s_mov_b32 s48, 0
	s_delay_alu instid0(VALU_DEP_1)
	v_mov_b32_e32 v3, v2
	global_store_b128 v[6:7], v[0:3], off
.LBB7_1162:
	s_and_not1_b32 vcc_lo, exec_lo, s48
	s_cbranch_vccnz .LBB7_1164
; %bb.1163:
	s_wait_xcnt 0x0
	v_cvt_f32_f64_e32 v2, v[0:1]
	v_mov_b32_e32 v3, 0
	global_store_b64 v[6:7], v[2:3], off
.LBB7_1164:
	s_mov_b32 s48, 0
.LBB7_1165:
	s_delay_alu instid0(SALU_CYCLE_1)
	s_and_not1_b32 vcc_lo, exec_lo, s48
	s_cbranch_vccnz .LBB7_1167
; %bb.1166:
	s_wait_xcnt 0x0
	v_and_or_b32 v2, 0x1ff, v1, v0
	v_lshrrev_b32_e32 v3, 8, v1
	v_bfe_u32 v5, v1, 20, 11
	s_delay_alu instid0(VALU_DEP_3) | instskip(NEXT) | instid1(VALU_DEP_2)
	v_cmp_ne_u32_e32 vcc_lo, 0, v2
	v_sub_nc_u32_e32 v8, 0x3f1, v5
	v_add_nc_u32_e32 v5, 0xfffffc10, v5
	v_cndmask_b32_e64 v2, 0, 1, vcc_lo
	s_delay_alu instid0(VALU_DEP_1) | instskip(NEXT) | instid1(VALU_DEP_4)
	v_and_or_b32 v2, 0xffe, v3, v2
	v_med3_i32 v3, v8, 0, 13
	s_delay_alu instid0(VALU_DEP_2) | instskip(NEXT) | instid1(VALU_DEP_1)
	v_or_b32_e32 v8, 0x1000, v2
	v_lshrrev_b32_e32 v9, v3, v8
	s_delay_alu instid0(VALU_DEP_1) | instskip(NEXT) | instid1(VALU_DEP_1)
	v_lshlrev_b32_e32 v3, v3, v9
	v_cmp_ne_u32_e32 vcc_lo, v3, v8
	v_lshl_or_b32 v8, v5, 12, v2
	v_cndmask_b32_e64 v3, 0, 1, vcc_lo
	v_cmp_gt_i32_e32 vcc_lo, 1, v5
	s_delay_alu instid0(VALU_DEP_2) | instskip(NEXT) | instid1(VALU_DEP_1)
	v_or_b32_e32 v3, v9, v3
	v_cndmask_b32_e32 v3, v8, v3, vcc_lo
	s_delay_alu instid0(VALU_DEP_1) | instskip(NEXT) | instid1(VALU_DEP_1)
	v_dual_lshrrev_b32 v3, 2, v3 :: v_dual_bitop2_b32 v8, 7, v3 bitop3:0x40
	v_cmp_lt_i32_e32 vcc_lo, 5, v8
	v_cndmask_b32_e64 v9, 0, 1, vcc_lo
	v_cmp_eq_u32_e32 vcc_lo, 3, v8
	v_cndmask_b32_e64 v8, 0, 1, vcc_lo
	v_cmp_ne_u32_e32 vcc_lo, 0, v2
	s_delay_alu instid0(VALU_DEP_2) | instskip(SKIP_1) | instid1(VALU_DEP_1)
	v_or_b32_e32 v8, v8, v9
	v_mov_b32_e32 v9, 0x7e00
	v_dual_cndmask_b32 v2, 0x7c00, v9 :: v_dual_add_nc_u32 v3, v3, v8
	v_cmp_gt_i32_e32 vcc_lo, 31, v5
	s_delay_alu instid0(VALU_DEP_2) | instskip(SKIP_1) | instid1(VALU_DEP_2)
	v_dual_cndmask_b32 v3, 0x7c00, v3 :: v_dual_lshrrev_b32 v8, 16, v1
	v_cmp_eq_u32_e32 vcc_lo, 0x40f, v5
	v_cndmask_b32_e32 v2, v3, v2, vcc_lo
	s_delay_alu instid0(VALU_DEP_3) | instskip(NEXT) | instid1(VALU_DEP_1)
	v_and_b32_e32 v3, 0x8000, v8
	v_bitop3_b32 v2, v3, 0xffff, v2 bitop3:0xc8
	global_store_b32 v[6:7], v2, off
.LBB7_1167:
	s_mov_b32 s48, 0
.LBB7_1168:
	s_delay_alu instid0(SALU_CYCLE_1)
	s_and_not1_b32 vcc_lo, exec_lo, s48
	s_cbranch_vccnz .LBB7_1177
; %bb.1169:
	s_cmp_lt_i32 s47, 6
	s_mov_b32 s48, -1
	s_cbranch_scc1 .LBB7_1175
; %bb.1170:
	s_cmp_gt_i32 s47, 6
	s_cbranch_scc0 .LBB7_1172
; %bb.1171:
	s_mov_b32 s48, 0
	global_store_b64 v[6:7], v[0:1], off
.LBB7_1172:
	s_and_not1_b32 vcc_lo, exec_lo, s48
	s_cbranch_vccnz .LBB7_1174
; %bb.1173:
	s_wait_xcnt 0x0
	v_cvt_f32_f64_e32 v2, v[0:1]
	global_store_b32 v[6:7], v2, off
.LBB7_1174:
	s_mov_b32 s48, 0
.LBB7_1175:
	s_delay_alu instid0(SALU_CYCLE_1)
	s_and_not1_b32 vcc_lo, exec_lo, s48
	s_cbranch_vccnz .LBB7_1177
; %bb.1176:
	s_wait_xcnt 0x0
	v_and_or_b32 v2, 0x1ff, v1, v0
	v_lshrrev_b32_e32 v3, 8, v1
	v_bfe_u32 v5, v1, 20, 11
	s_delay_alu instid0(VALU_DEP_3) | instskip(NEXT) | instid1(VALU_DEP_2)
	v_cmp_ne_u32_e32 vcc_lo, 0, v2
	v_sub_nc_u32_e32 v8, 0x3f1, v5
	v_add_nc_u32_e32 v5, 0xfffffc10, v5
	v_cndmask_b32_e64 v2, 0, 1, vcc_lo
	s_delay_alu instid0(VALU_DEP_1) | instskip(NEXT) | instid1(VALU_DEP_4)
	v_and_or_b32 v2, 0xffe, v3, v2
	v_med3_i32 v3, v8, 0, 13
	s_delay_alu instid0(VALU_DEP_2) | instskip(NEXT) | instid1(VALU_DEP_1)
	v_or_b32_e32 v8, 0x1000, v2
	v_lshrrev_b32_e32 v9, v3, v8
	s_delay_alu instid0(VALU_DEP_1) | instskip(NEXT) | instid1(VALU_DEP_1)
	v_lshlrev_b32_e32 v3, v3, v9
	v_cmp_ne_u32_e32 vcc_lo, v3, v8
	v_lshl_or_b32 v8, v5, 12, v2
	v_cndmask_b32_e64 v3, 0, 1, vcc_lo
	v_cmp_gt_i32_e32 vcc_lo, 1, v5
	s_delay_alu instid0(VALU_DEP_2) | instskip(NEXT) | instid1(VALU_DEP_1)
	v_or_b32_e32 v3, v9, v3
	v_cndmask_b32_e32 v3, v8, v3, vcc_lo
	s_delay_alu instid0(VALU_DEP_1) | instskip(NEXT) | instid1(VALU_DEP_1)
	v_dual_lshrrev_b32 v3, 2, v3 :: v_dual_bitop2_b32 v8, 7, v3 bitop3:0x40
	v_cmp_lt_i32_e32 vcc_lo, 5, v8
	v_cndmask_b32_e64 v9, 0, 1, vcc_lo
	v_cmp_eq_u32_e32 vcc_lo, 3, v8
	v_cndmask_b32_e64 v8, 0, 1, vcc_lo
	v_cmp_ne_u32_e32 vcc_lo, 0, v2
	s_delay_alu instid0(VALU_DEP_2) | instskip(SKIP_1) | instid1(VALU_DEP_1)
	v_or_b32_e32 v8, v8, v9
	v_mov_b32_e32 v9, 0x7e00
	v_dual_cndmask_b32 v2, 0x7c00, v9 :: v_dual_add_nc_u32 v3, v3, v8
	v_cmp_gt_i32_e32 vcc_lo, 31, v5
	s_delay_alu instid0(VALU_DEP_2) | instskip(SKIP_1) | instid1(VALU_DEP_2)
	v_cndmask_b32_e32 v3, 0x7c00, v3, vcc_lo
	v_cmp_eq_u32_e32 vcc_lo, 0x40f, v5
	v_dual_cndmask_b32 v2, v3, v2 :: v_dual_lshrrev_b32 v3, 16, v1
	s_delay_alu instid0(VALU_DEP_1)
	v_and_or_b32 v2, 0x8000, v3, v2
	global_store_b16 v[6:7], v2, off
.LBB7_1177:
	s_mov_b32 s48, 0
.LBB7_1178:
	s_delay_alu instid0(SALU_CYCLE_1)
	s_and_not1_b32 vcc_lo, exec_lo, s48
	s_cbranch_vccnz .LBB7_1194
; %bb.1179:
	s_cmp_lt_i32 s47, 2
	s_mov_b32 s48, -1
	s_cbranch_scc1 .LBB7_1189
; %bb.1180:
	s_cmp_lt_i32 s47, 3
	s_cbranch_scc1 .LBB7_1186
; %bb.1181:
	s_cmp_gt_i32 s47, 3
	s_cbranch_scc0 .LBB7_1183
; %bb.1182:
	s_wait_xcnt 0x0
	v_trunc_f64_e32 v[2:3], v[0:1]
	s_mov_b32 s48, 0
	s_delay_alu instid0(VALU_DEP_1) | instskip(NEXT) | instid1(VALU_DEP_1)
	v_ldexp_f64 v[8:9], v[2:3], 0xffffffe0
	v_floor_f64_e32 v[8:9], v[8:9]
	s_delay_alu instid0(VALU_DEP_1) | instskip(SKIP_1) | instid1(VALU_DEP_2)
	v_fmamk_f64 v[2:3], v[8:9], 0xc1f00000, v[2:3]
	v_cvt_i32_f64_e32 v9, v[8:9]
	v_cvt_u32_f64_e32 v8, v[2:3]
	global_store_b64 v[6:7], v[8:9], off
.LBB7_1183:
	s_and_not1_b32 vcc_lo, exec_lo, s48
	s_cbranch_vccnz .LBB7_1185
; %bb.1184:
	s_wait_xcnt 0x0
	v_cvt_i32_f64_e32 v2, v[0:1]
	global_store_b32 v[6:7], v2, off
.LBB7_1185:
	s_mov_b32 s48, 0
.LBB7_1186:
	s_delay_alu instid0(SALU_CYCLE_1)
	s_and_not1_b32 vcc_lo, exec_lo, s48
	s_cbranch_vccnz .LBB7_1188
; %bb.1187:
	s_wait_xcnt 0x0
	v_cvt_i32_f64_e32 v2, v[0:1]
	global_store_b16 v[6:7], v2, off
.LBB7_1188:
	s_mov_b32 s48, 0
.LBB7_1189:
	s_delay_alu instid0(SALU_CYCLE_1)
	s_and_not1_b32 vcc_lo, exec_lo, s48
	s_cbranch_vccnz .LBB7_1194
; %bb.1190:
	s_cmp_gt_i32 s47, 0
	s_mov_b32 s47, -1
	s_cbranch_scc0 .LBB7_1192
; %bb.1191:
	s_wait_xcnt 0x0
	v_cvt_i32_f64_e32 v2, v[0:1]
	s_mov_b32 s47, 0
	global_store_b8 v[6:7], v2, off
.LBB7_1192:
	s_and_not1_b32 vcc_lo, exec_lo, s47
	s_cbranch_vccnz .LBB7_1194
; %bb.1193:
	s_wait_xcnt 0x0
	v_trunc_f64_e32 v[0:1], v[0:1]
	s_delay_alu instid0(VALU_DEP_1) | instskip(NEXT) | instid1(VALU_DEP_1)
	v_ldexp_f64 v[2:3], v[0:1], 0xffffffe0
	v_floor_f64_e32 v[2:3], v[2:3]
	s_delay_alu instid0(VALU_DEP_1) | instskip(NEXT) | instid1(VALU_DEP_1)
	v_fmamk_f64 v[0:1], v[2:3], 0xc1f00000, v[0:1]
	v_cvt_u32_f64_e32 v0, v[0:1]
	global_store_b8 v[6:7], v0, off
.LBB7_1194:
	s_mov_b32 s49, -1
.LBB7_1195:
	s_delay_alu instid0(SALU_CYCLE_1)
	s_and_not1_b32 vcc_lo, exec_lo, s49
	s_cbranch_vccnz .LBB7_1197
; %bb.1196:
	v_add_nc_u32_e32 v4, 0x80, v4
	s_mov_b32 s50, -1
	s_branch .LBB7_1199
.LBB7_1197:
	s_mov_b32 s50, 0
.LBB7_1198:
                                        ; implicit-def: $vgpr4
.LBB7_1199:
	s_and_not1_b32 s47, s43, exec_lo
	s_and_b32 s0, s0, exec_lo
	s_and_b32 s25, s25, exec_lo
	s_or_b32 s48, s47, s0
	s_and_not1_b32 s0, s44, exec_lo
	s_and_not1_b32 s47, s42, exec_lo
	s_and_b32 s24, s24, exec_lo
	s_or_b32 s49, s0, s25
	s_or_b32 s47, s47, s24
	s_or_not1_b32 s51, s50, exec_lo
.LBB7_1200:
	s_wait_xcnt 0x0
	s_or_b32 exec_lo, exec_lo, s46
	s_mov_b32 s25, 0
	s_mov_b32 s50, 0
	;; [unrolled: 1-line block ×3, first 2 shown]
                                        ; implicit-def: $sgpr0
                                        ; implicit-def: $vgpr8_vgpr9
                                        ; implicit-def: $vgpr0
                                        ; implicit-def: $vgpr2
                                        ; implicit-def: $vgpr6_vgpr7
	s_and_saveexec_b32 s46, s51
	s_cbranch_execz .LBB7_1295
; %bb.1201:
	v_cmp_gt_i32_e32 vcc_lo, s36, v4
	s_mov_b32 s51, s47
                                        ; implicit-def: $sgpr0
                                        ; implicit-def: $vgpr8_vgpr9
                                        ; implicit-def: $vgpr0
                                        ; implicit-def: $vgpr2
                                        ; implicit-def: $vgpr6_vgpr7
	s_and_saveexec_b32 s36, vcc_lo
	s_cbranch_execz .LBB7_1294
; %bb.1202:
	s_and_not1_b32 vcc_lo, exec_lo, s29
	s_cbranch_vccnz .LBB7_1208
; %bb.1203:
	s_and_not1_b32 vcc_lo, exec_lo, s37
	s_cbranch_vccnz .LBB7_1209
; %bb.1204:
	s_wait_loadcnt 0x0
	v_dual_mov_b32 v2, 0 :: v_dual_mov_b32 v1, v4
	v_dual_mov_b32 v6, 0 :: v_dual_mov_b32 v0, 0
	s_add_co_i32 s0, s35, 1
	s_mov_b64 s[24:25], 0xffffffffffffffe8
	s_and_b32 s0, s0, 30
	s_add_nc_u64 s[24:25], s[2:3], s[24:25]
.LBB7_1205:                             ; =>This Inner Loop Header: Depth=1
	s_clause 0x1
	s_load_b128 s[52:55], s[24:25], 0x1c
	s_load_b64 s[50:51], s[24:25], 0x2c
	s_add_co_i32 s0, s0, -2
	s_delay_alu instid0(SALU_CYCLE_1) | instskip(SKIP_2) | instid1(VALU_DEP_1)
	s_cmp_eq_u32 s0, 0
	s_wait_kmcnt 0x0
	v_mul_hi_u32 v3, s53, v1
	v_add_nc_u32_e32 v3, v1, v3
	s_delay_alu instid0(VALU_DEP_1) | instskip(NEXT) | instid1(VALU_DEP_1)
	v_lshrrev_b32_e32 v3, s54, v3
	v_mul_hi_u32 v5, s50, v3
	v_mul_lo_u32 v7, v3, s52
	s_clause 0x1
	s_load_b128 s[56:59], s[24:25], 0xdc
	s_load_b64 s[52:53], s[24:25], 0xec
	s_wait_xcnt 0x0
	s_add_nc_u64 s[24:25], s[24:25], 24
	s_delay_alu instid0(VALU_DEP_1) | instskip(NEXT) | instid1(VALU_DEP_1)
	v_dual_add_nc_u32 v5, v3, v5 :: v_dual_sub_nc_u32 v7, v1, v7
	v_lshrrev_b32_e32 v1, s51, v5
	s_wait_kmcnt 0x0
	s_delay_alu instid0(VALU_DEP_2) | instskip(NEXT) | instid1(VALU_DEP_2)
	v_mad_u32 v2, v7, s56, v2
	v_mul_lo_u32 v5, v1, s55
	v_mad_u32 v0, v7, s58, v0
	v_mad_u32 v6, v7, s57, v6
	s_delay_alu instid0(VALU_DEP_3) | instskip(NEXT) | instid1(VALU_DEP_1)
	v_sub_nc_u32_e32 v3, v3, v5
	v_mad_u32 v2, v3, s59, v2
	s_delay_alu instid0(VALU_DEP_4) | instskip(NEXT) | instid1(VALU_DEP_4)
	v_mad_u32 v0, v3, s53, v0
	v_mad_u32 v6, v3, s52, v6
	s_cbranch_scc0 .LBB7_1205
; %bb.1206:
	s_bitcmp1_b32 s35, 0
	s_cselect_b32 s0, -1, 0
	s_delay_alu instid0(SALU_CYCLE_1)
	s_and_b32 vcc_lo, exec_lo, s0
	s_cbranch_vccnz .LBB7_1210
; %bb.1207:
	s_clause 0x1
	s_load_b96 s[52:54], s[24:25], 0x1c
	s_load_b96 s[56:58], s[24:25], 0xdc
	s_wait_kmcnt 0x0
	v_mul_hi_u32 v3, s53, v1
	s_delay_alu instid0(VALU_DEP_1) | instskip(NEXT) | instid1(VALU_DEP_1)
	v_add_nc_u32_e32 v3, v1, v3
	v_lshrrev_b32_e32 v3, s54, v3
	s_delay_alu instid0(VALU_DEP_1) | instskip(NEXT) | instid1(VALU_DEP_1)
	v_mul_lo_u32 v3, v3, s52
	v_sub_nc_u32_e32 v1, v1, v3
	s_delay_alu instid0(VALU_DEP_1)
	v_mad_u32 v2, v1, s56, v2
	v_mad_u32 v6, v1, s57, v6
	;; [unrolled: 1-line block ×3, first 2 shown]
	s_branch .LBB7_1210
.LBB7_1208:
	s_mov_b32 s0, -1
                                        ; implicit-def: $vgpr0
                                        ; implicit-def: $vgpr6
                                        ; implicit-def: $vgpr2
	s_branch .LBB7_1211
.LBB7_1209:
	v_dual_mov_b32 v0, 0 :: v_dual_mov_b32 v6, 0
	s_wait_loadcnt 0x0
	v_mov_b32_e32 v2, 0
.LBB7_1210:
	s_mov_b32 s0, 0
.LBB7_1211:
	s_delay_alu instid0(SALU_CYCLE_1)
	s_and_not1_b32 vcc_lo, exec_lo, s0
	s_cbranch_vccnz .LBB7_1214
; %bb.1212:
	v_mov_b32_e32 v5, 0
	s_and_not1_b32 vcc_lo, exec_lo, s34
	s_delay_alu instid0(VALU_DEP_1) | instskip(NEXT) | instid1(VALU_DEP_1)
	v_mul_u64_e32 v[0:1], s[18:19], v[4:5]
	v_add_nc_u32_e32 v0, v4, v1
	s_wait_loadcnt 0x0
	s_delay_alu instid0(VALU_DEP_1) | instskip(NEXT) | instid1(VALU_DEP_1)
	v_lshrrev_b32_e32 v8, s10, v0
	v_mul_lo_u32 v0, v8, s8
	s_delay_alu instid0(VALU_DEP_1) | instskip(NEXT) | instid1(VALU_DEP_1)
	v_sub_nc_u32_e32 v1, v4, v0
	v_mul_lo_u32 v2, v1, s12
	v_mul_lo_u32 v0, v1, s14
	;; [unrolled: 1-line block ×3, first 2 shown]
	s_cbranch_vccnz .LBB7_1214
; %bb.1213:
	v_mov_b32_e32 v9, v5
	s_delay_alu instid0(VALU_DEP_1) | instskip(NEXT) | instid1(VALU_DEP_1)
	v_mul_u64_e32 v[4:5], s[22:23], v[8:9]
	v_add_nc_u32_e32 v1, v8, v5
	s_delay_alu instid0(VALU_DEP_1) | instskip(NEXT) | instid1(VALU_DEP_1)
	v_lshrrev_b32_e32 v1, s1, v1
	v_mul_lo_u32 v1, v1, s11
	s_delay_alu instid0(VALU_DEP_1) | instskip(NEXT) | instid1(VALU_DEP_1)
	v_sub_nc_u32_e32 v1, v8, v1
	v_mad_u32 v2, v1, s15, v2
	v_mad_u32 v6, v1, s20, v6
	;; [unrolled: 1-line block ×3, first 2 shown]
.LBB7_1214:
	v_mov_b32_e32 v7, 0
	s_and_b32 s0, s33, 0xff
	s_delay_alu instid0(SALU_CYCLE_1) | instskip(SKIP_1) | instid1(VALU_DEP_1)
	s_cmp_lt_i32 s0, 11
	s_wait_loadcnt 0x0
	v_add_nc_u64_e32 v[8:9], s[6:7], v[6:7]
	s_cbranch_scc1 .LBB7_1221
; %bb.1215:
	s_and_b32 s1, 0xffff, s0
	s_mov_b32 s7, 0
	s_cmp_gt_i32 s1, 25
	s_cbranch_scc0 .LBB7_1222
; %bb.1216:
	s_cmp_gt_i32 s1, 28
	s_cbranch_scc0 .LBB7_1223
; %bb.1217:
	;; [unrolled: 3-line block ×4, first 2 shown]
	s_cmp_eq_u32 s1, 46
	s_mov_b32 s10, 0
	s_cbranch_scc0 .LBB7_1228
; %bb.1220:
	global_load_b32 v1, v[8:9], off
	s_mov_b32 s6, 0
	s_mov_b32 s8, -1
	s_wait_loadcnt 0x0
	v_lshlrev_b32_e32 v1, 16, v1
	s_delay_alu instid0(VALU_DEP_1)
	v_cvt_f64_f32_e32 v[6:7], v1
	s_branch .LBB7_1230
.LBB7_1221:
	s_mov_b32 s1, -1
	s_mov_b32 s8, 0
	s_mov_b32 s7, 0
	;; [unrolled: 1-line block ×3, first 2 shown]
                                        ; implicit-def: $vgpr6_vgpr7
	s_branch .LBB7_1293
.LBB7_1222:
	s_mov_b32 s10, -1
	s_mov_b32 s8, 0
	s_mov_b32 s6, s47
                                        ; implicit-def: $vgpr6_vgpr7
	s_branch .LBB7_1259
.LBB7_1223:
	s_mov_b32 s10, -1
	s_mov_b32 s8, 0
	s_mov_b32 s6, s47
                                        ; implicit-def: $vgpr6_vgpr7
	s_branch .LBB7_1240
.LBB7_1224:
	s_mov_b32 s10, -1
	s_mov_b32 s8, 0
	s_mov_b32 s6, s47
                                        ; implicit-def: $vgpr6_vgpr7
	s_branch .LBB7_1235
.LBB7_1225:
	s_mov_b32 s10, -1
	s_mov_b32 s8, 0
	s_mov_b32 s6, s47
	s_branch .LBB7_1229
.LBB7_1226:
	s_and_not1_saveexec_b32 s51, s51
	s_cbranch_execz .LBB7_1108
.LBB7_1227:
	v_add_f32_e64 v3, 0x46000000, |v2|
	s_and_not1_b32 s50, s50, exec_lo
	s_delay_alu instid0(VALU_DEP_1) | instskip(NEXT) | instid1(VALU_DEP_1)
	v_and_b32_e32 v3, 0xff, v3
	v_cmp_ne_u32_e32 vcc_lo, 0, v3
	s_and_b32 s52, vcc_lo, exec_lo
	s_delay_alu instid0(SALU_CYCLE_1)
	s_or_b32 s50, s50, s52
	s_or_b32 exec_lo, exec_lo, s51
	v_mov_b32_e32 v5, 0
	s_and_saveexec_b32 s51, s50
	s_cbranch_execnz .LBB7_1109
	s_branch .LBB7_1110
.LBB7_1228:
	s_mov_b32 s6, -1
	s_mov_b32 s8, 0
.LBB7_1229:
                                        ; implicit-def: $vgpr6_vgpr7
.LBB7_1230:
	s_and_b32 vcc_lo, exec_lo, s10
	s_cbranch_vccz .LBB7_1234
; %bb.1231:
	s_cmp_eq_u32 s1, 44
	s_cbranch_scc0 .LBB7_1233
; %bb.1232:
	global_load_u8 v1, v[8:9], off
	s_mov_b32 s6, 0
	s_mov_b32 s8, -1
	s_wait_loadcnt 0x0
	v_lshlrev_b32_e32 v3, 23, v1
	v_cmp_ne_u32_e32 vcc_lo, 0xff, v1
	s_delay_alu instid0(VALU_DEP_2) | instskip(NEXT) | instid1(VALU_DEP_1)
	v_cvt_f64_f32_e32 v[4:5], v3
	v_cndmask_b32_e32 v3, 0x20000000, v4, vcc_lo
	s_delay_alu instid0(VALU_DEP_2) | instskip(SKIP_1) | instid1(VALU_DEP_2)
	v_cndmask_b32_e32 v4, 0x7ff80000, v5, vcc_lo
	v_cmp_ne_u32_e32 vcc_lo, 0, v1
	v_cndmask_b32_e32 v7, 0x38000000, v4, vcc_lo
	s_delay_alu instid0(VALU_DEP_4)
	v_cndmask_b32_e32 v6, 0, v3, vcc_lo
	s_branch .LBB7_1234
.LBB7_1233:
	s_mov_b32 s6, -1
                                        ; implicit-def: $vgpr6_vgpr7
.LBB7_1234:
	s_mov_b32 s10, 0
.LBB7_1235:
	s_delay_alu instid0(SALU_CYCLE_1)
	s_and_b32 vcc_lo, exec_lo, s10
	s_cbranch_vccz .LBB7_1239
; %bb.1236:
	s_cmp_eq_u32 s1, 29
	s_cbranch_scc0 .LBB7_1238
; %bb.1237:
	global_load_b64 v[4:5], v[8:9], off
	s_mov_b32 s6, 0
	s_mov_b32 s8, -1
	s_mov_b32 s10, 0
	s_wait_loadcnt 0x0
	v_cvt_f64_u32_e32 v[6:7], v5
	v_cvt_f64_u32_e32 v[4:5], v4
	s_delay_alu instid0(VALU_DEP_2) | instskip(NEXT) | instid1(VALU_DEP_1)
	v_ldexp_f64 v[6:7], v[6:7], 32
	v_add_f64_e32 v[6:7], v[6:7], v[4:5]
	s_branch .LBB7_1240
.LBB7_1238:
	s_mov_b32 s6, -1
                                        ; implicit-def: $vgpr6_vgpr7
.LBB7_1239:
	s_mov_b32 s10, 0
.LBB7_1240:
	s_delay_alu instid0(SALU_CYCLE_1)
	s_and_b32 vcc_lo, exec_lo, s10
	s_cbranch_vccz .LBB7_1258
; %bb.1241:
	s_cmp_lt_i32 s1, 27
	s_cbranch_scc1 .LBB7_1244
; %bb.1242:
	s_cmp_gt_i32 s1, 27
	s_cbranch_scc0 .LBB7_1245
; %bb.1243:
	global_load_b32 v1, v[8:9], off
	s_mov_b32 s8, 0
	s_wait_loadcnt 0x0
	v_cvt_f64_u32_e32 v[6:7], v1
	s_branch .LBB7_1246
.LBB7_1244:
	s_mov_b32 s8, -1
                                        ; implicit-def: $vgpr6_vgpr7
	s_branch .LBB7_1249
.LBB7_1245:
	s_mov_b32 s8, -1
                                        ; implicit-def: $vgpr6_vgpr7
.LBB7_1246:
	s_delay_alu instid0(SALU_CYCLE_1)
	s_and_not1_b32 vcc_lo, exec_lo, s8
	s_cbranch_vccnz .LBB7_1248
; %bb.1247:
	global_load_u16 v1, v[8:9], off
	s_wait_loadcnt 0x0
	v_cvt_f64_u32_e32 v[6:7], v1
.LBB7_1248:
	s_mov_b32 s8, 0
.LBB7_1249:
	s_delay_alu instid0(SALU_CYCLE_1)
	s_and_not1_b32 vcc_lo, exec_lo, s8
	s_cbranch_vccnz .LBB7_1257
; %bb.1250:
	global_load_u8 v1, v[8:9], off
	s_mov_b32 s8, 0
	s_mov_b32 s10, exec_lo
	s_wait_loadcnt 0x0
	v_cmpx_lt_i16_e32 0x7f, v1
	s_xor_b32 s10, exec_lo, s10
	s_cbranch_execz .LBB7_1271
; %bb.1251:
	s_mov_b32 s8, -1
	s_mov_b32 s11, exec_lo
	v_cmpx_eq_u16_e32 0x80, v1
; %bb.1252:
	s_xor_b32 s8, exec_lo, -1
; %bb.1253:
	s_or_b32 exec_lo, exec_lo, s11
	s_delay_alu instid0(SALU_CYCLE_1)
	s_and_b32 s8, s8, exec_lo
	s_or_saveexec_b32 s10, s10
	v_mov_b64_e32 v[6:7], 0x7ff8000020000000
	s_xor_b32 exec_lo, exec_lo, s10
	s_cbranch_execnz .LBB7_1272
.LBB7_1254:
	s_or_b32 exec_lo, exec_lo, s10
	s_and_saveexec_b32 s10, s8
	s_cbranch_execz .LBB7_1256
.LBB7_1255:
	v_and_b32_e32 v3, 0xffff, v1
	s_delay_alu instid0(VALU_DEP_1) | instskip(SKIP_1) | instid1(VALU_DEP_2)
	v_and_b32_e32 v4, 7, v3
	v_bfe_u32 v7, v3, 3, 4
	v_clz_i32_u32_e32 v5, v4
	s_delay_alu instid0(VALU_DEP_2) | instskip(NEXT) | instid1(VALU_DEP_2)
	v_cmp_eq_u32_e32 vcc_lo, 0, v7
	v_min_u32_e32 v5, 32, v5
	s_delay_alu instid0(VALU_DEP_1) | instskip(NEXT) | instid1(VALU_DEP_1)
	v_subrev_nc_u32_e32 v6, 28, v5
	v_dual_lshlrev_b32 v3, v6, v3 :: v_dual_sub_nc_u32 v5, 29, v5
	s_delay_alu instid0(VALU_DEP_1) | instskip(NEXT) | instid1(VALU_DEP_1)
	v_dual_lshlrev_b32 v1, 24, v1 :: v_dual_bitop2_b32 v3, 7, v3 bitop3:0x40
	v_dual_cndmask_b32 v3, v4, v3, vcc_lo :: v_dual_cndmask_b32 v5, v7, v5, vcc_lo
	s_delay_alu instid0(VALU_DEP_2) | instskip(NEXT) | instid1(VALU_DEP_2)
	v_and_b32_e32 v1, 0x80000000, v1
	v_lshlrev_b32_e32 v3, 20, v3
	s_delay_alu instid0(VALU_DEP_3) | instskip(NEXT) | instid1(VALU_DEP_1)
	v_lshl_add_u32 v4, v5, 23, 0x3b800000
	v_or3_b32 v1, v1, v4, v3
	s_delay_alu instid0(VALU_DEP_1)
	v_cvt_f64_f32_e32 v[6:7], v1
.LBB7_1256:
	s_or_b32 exec_lo, exec_lo, s10
.LBB7_1257:
	s_mov_b32 s8, -1
.LBB7_1258:
	s_mov_b32 s10, 0
.LBB7_1259:
	s_delay_alu instid0(SALU_CYCLE_1)
	s_and_b32 vcc_lo, exec_lo, s10
	s_cbranch_vccz .LBB7_1292
; %bb.1260:
	s_cmp_gt_i32 s1, 22
	s_cbranch_scc0 .LBB7_1270
; %bb.1261:
	s_cmp_lt_i32 s1, 24
	s_cbranch_scc1 .LBB7_1273
; %bb.1262:
	s_cmp_gt_i32 s1, 24
	s_cbranch_scc0 .LBB7_1274
; %bb.1263:
	global_load_u8 v1, v[8:9], off
	s_mov_b32 s8, exec_lo
	s_wait_loadcnt 0x0
	v_cmpx_lt_i16_e32 0x7f, v1
	s_xor_b32 s8, exec_lo, s8
	s_cbranch_execz .LBB7_1286
; %bb.1264:
	s_mov_b32 s7, -1
	s_mov_b32 s10, exec_lo
	v_cmpx_eq_u16_e32 0x80, v1
; %bb.1265:
	s_xor_b32 s7, exec_lo, -1
; %bb.1266:
	s_or_b32 exec_lo, exec_lo, s10
	s_delay_alu instid0(SALU_CYCLE_1)
	s_and_b32 s7, s7, exec_lo
	s_or_saveexec_b32 s8, s8
	v_mov_b64_e32 v[6:7], 0x7ff8000020000000
	s_xor_b32 exec_lo, exec_lo, s8
	s_cbranch_execnz .LBB7_1287
.LBB7_1267:
	s_or_b32 exec_lo, exec_lo, s8
	s_and_saveexec_b32 s8, s7
	s_cbranch_execz .LBB7_1269
.LBB7_1268:
	v_and_b32_e32 v3, 0xffff, v1
	s_delay_alu instid0(VALU_DEP_1) | instskip(SKIP_1) | instid1(VALU_DEP_2)
	v_and_b32_e32 v4, 3, v3
	v_bfe_u32 v7, v3, 2, 5
	v_clz_i32_u32_e32 v5, v4
	s_delay_alu instid0(VALU_DEP_2) | instskip(NEXT) | instid1(VALU_DEP_2)
	v_cmp_eq_u32_e32 vcc_lo, 0, v7
	v_min_u32_e32 v5, 32, v5
	s_delay_alu instid0(VALU_DEP_1) | instskip(NEXT) | instid1(VALU_DEP_1)
	v_subrev_nc_u32_e32 v6, 29, v5
	v_dual_lshlrev_b32 v3, v6, v3 :: v_dual_sub_nc_u32 v5, 30, v5
	s_delay_alu instid0(VALU_DEP_1) | instskip(NEXT) | instid1(VALU_DEP_1)
	v_dual_lshlrev_b32 v1, 24, v1 :: v_dual_bitop2_b32 v3, 3, v3 bitop3:0x40
	v_dual_cndmask_b32 v3, v4, v3, vcc_lo :: v_dual_cndmask_b32 v5, v7, v5, vcc_lo
	s_delay_alu instid0(VALU_DEP_2) | instskip(NEXT) | instid1(VALU_DEP_2)
	v_and_b32_e32 v1, 0x80000000, v1
	v_lshlrev_b32_e32 v3, 21, v3
	s_delay_alu instid0(VALU_DEP_3) | instskip(NEXT) | instid1(VALU_DEP_1)
	v_lshl_add_u32 v4, v5, 23, 0x37800000
	v_or3_b32 v1, v1, v4, v3
	s_delay_alu instid0(VALU_DEP_1)
	v_cvt_f64_f32_e32 v[6:7], v1
.LBB7_1269:
	s_or_b32 exec_lo, exec_lo, s8
	s_mov_b32 s7, 0
	s_branch .LBB7_1275
.LBB7_1270:
	s_mov_b32 s7, -1
                                        ; implicit-def: $vgpr6_vgpr7
	s_branch .LBB7_1281
.LBB7_1271:
	s_or_saveexec_b32 s10, s10
	v_mov_b64_e32 v[6:7], 0x7ff8000020000000
	s_xor_b32 exec_lo, exec_lo, s10
	s_cbranch_execz .LBB7_1254
.LBB7_1272:
	v_cmp_ne_u16_e32 vcc_lo, 0, v1
	v_mov_b64_e32 v[6:7], 0
	s_and_not1_b32 s8, s8, exec_lo
	s_and_b32 s11, vcc_lo, exec_lo
	s_delay_alu instid0(SALU_CYCLE_1)
	s_or_b32 s8, s8, s11
	s_or_b32 exec_lo, exec_lo, s10
	s_and_saveexec_b32 s10, s8
	s_cbranch_execnz .LBB7_1255
	s_branch .LBB7_1256
.LBB7_1273:
	s_mov_b32 s7, -1
                                        ; implicit-def: $vgpr6_vgpr7
	s_branch .LBB7_1278
.LBB7_1274:
	s_mov_b32 s7, -1
                                        ; implicit-def: $vgpr6_vgpr7
.LBB7_1275:
	s_delay_alu instid0(SALU_CYCLE_1)
	s_and_b32 vcc_lo, exec_lo, s7
	s_cbranch_vccz .LBB7_1277
; %bb.1276:
	global_load_u8 v1, v[8:9], off
	s_wait_loadcnt 0x0
	v_lshlrev_b32_e32 v1, 24, v1
	s_delay_alu instid0(VALU_DEP_1) | instskip(NEXT) | instid1(VALU_DEP_1)
	v_and_b32_e32 v3, 0x7f000000, v1
	v_clz_i32_u32_e32 v4, v3
	v_cmp_ne_u32_e32 vcc_lo, 0, v3
	v_add_nc_u32_e32 v6, 0x1000000, v3
	s_delay_alu instid0(VALU_DEP_3) | instskip(NEXT) | instid1(VALU_DEP_1)
	v_min_u32_e32 v4, 32, v4
	v_sub_nc_u32_e64 v4, v4, 4 clamp
	s_delay_alu instid0(VALU_DEP_1) | instskip(NEXT) | instid1(VALU_DEP_1)
	v_dual_lshlrev_b32 v5, v4, v3 :: v_dual_lshlrev_b32 v4, 23, v4
	v_lshrrev_b32_e32 v5, 4, v5
	s_delay_alu instid0(VALU_DEP_1) | instskip(NEXT) | instid1(VALU_DEP_1)
	v_dual_sub_nc_u32 v4, v5, v4 :: v_dual_ashrrev_i32 v5, 8, v6
	v_add_nc_u32_e32 v4, 0x3c000000, v4
	s_delay_alu instid0(VALU_DEP_1) | instskip(NEXT) | instid1(VALU_DEP_1)
	v_and_or_b32 v4, 0x7f800000, v5, v4
	v_cndmask_b32_e32 v3, 0, v4, vcc_lo
	s_delay_alu instid0(VALU_DEP_1) | instskip(NEXT) | instid1(VALU_DEP_1)
	v_and_or_b32 v1, 0x80000000, v1, v3
	v_cvt_f64_f32_e32 v[6:7], v1
.LBB7_1277:
	s_mov_b32 s7, 0
.LBB7_1278:
	s_delay_alu instid0(SALU_CYCLE_1)
	s_and_not1_b32 vcc_lo, exec_lo, s7
	s_cbranch_vccnz .LBB7_1280
; %bb.1279:
	global_load_u8 v1, v[8:9], off
	s_wait_loadcnt 0x0
	v_lshlrev_b32_e32 v3, 25, v1
	v_lshlrev_b16 v1, 8, v1
	s_delay_alu instid0(VALU_DEP_1) | instskip(NEXT) | instid1(VALU_DEP_3)
	v_and_or_b32 v5, 0x7f00, v1, 0.5
	v_lshrrev_b32_e32 v4, 4, v3
	v_bfe_i32 v1, v1, 0, 16
	s_delay_alu instid0(VALU_DEP_3) | instskip(NEXT) | instid1(VALU_DEP_3)
	v_add_f32_e32 v5, -0.5, v5
	v_or_b32_e32 v4, 0x70000000, v4
	s_delay_alu instid0(VALU_DEP_1) | instskip(SKIP_1) | instid1(VALU_DEP_2)
	v_mul_f32_e32 v4, 0x7800000, v4
	v_cmp_gt_u32_e32 vcc_lo, 0x8000000, v3
	v_cndmask_b32_e32 v3, v4, v5, vcc_lo
	s_delay_alu instid0(VALU_DEP_1) | instskip(NEXT) | instid1(VALU_DEP_1)
	v_and_or_b32 v1, 0x80000000, v1, v3
	v_cvt_f64_f32_e32 v[6:7], v1
.LBB7_1280:
	s_mov_b32 s7, 0
	s_mov_b32 s8, -1
.LBB7_1281:
	s_and_not1_b32 vcc_lo, exec_lo, s7
	s_mov_b32 s7, 0
	s_cbranch_vccnz .LBB7_1292
; %bb.1282:
	s_cmp_gt_i32 s1, 14
	s_cbranch_scc0 .LBB7_1285
; %bb.1283:
	s_cmp_eq_u32 s1, 15
	s_cbranch_scc0 .LBB7_1288
; %bb.1284:
	global_load_u16 v1, v[8:9], off
	s_mov_b32 s6, 0
	s_mov_b32 s8, -1
	s_wait_loadcnt 0x0
	v_lshlrev_b32_e32 v1, 16, v1
	s_delay_alu instid0(VALU_DEP_1)
	v_cvt_f64_f32_e32 v[6:7], v1
	s_branch .LBB7_1290
.LBB7_1285:
	s_mov_b32 s7, -1
	s_branch .LBB7_1289
.LBB7_1286:
	s_or_saveexec_b32 s8, s8
	v_mov_b64_e32 v[6:7], 0x7ff8000020000000
	s_xor_b32 exec_lo, exec_lo, s8
	s_cbranch_execz .LBB7_1267
.LBB7_1287:
	v_cmp_ne_u16_e32 vcc_lo, 0, v1
	v_mov_b64_e32 v[6:7], 0
	s_and_not1_b32 s7, s7, exec_lo
	s_and_b32 s10, vcc_lo, exec_lo
	s_delay_alu instid0(SALU_CYCLE_1)
	s_or_b32 s7, s7, s10
	s_or_b32 exec_lo, exec_lo, s8
	s_and_saveexec_b32 s8, s7
	s_cbranch_execnz .LBB7_1268
	s_branch .LBB7_1269
.LBB7_1288:
	s_mov_b32 s6, -1
.LBB7_1289:
                                        ; implicit-def: $vgpr6_vgpr7
.LBB7_1290:
	s_and_b32 vcc_lo, exec_lo, s7
	s_mov_b32 s7, 0
	s_cbranch_vccz .LBB7_1292
; %bb.1291:
	s_cmp_lg_u32 s1, 11
	s_mov_b32 s7, -1
	s_cselect_b32 s1, -1, 0
	s_and_not1_b32 s6, s6, exec_lo
	s_and_b32 s1, s1, exec_lo
	s_delay_alu instid0(SALU_CYCLE_1)
	s_or_b32 s6, s6, s1
.LBB7_1292:
	s_mov_b32 s1, 0
.LBB7_1293:
	s_delay_alu instid0(SALU_CYCLE_1)
	s_and_b32 s50, s1, exec_lo
	s_and_not1_b32 s1, s47, exec_lo
	s_and_b32 s6, s6, exec_lo
	s_and_b32 s24, s8, exec_lo
	;; [unrolled: 1-line block ×3, first 2 shown]
	s_or_b32 s51, s1, s6
.LBB7_1294:
	s_wait_xcnt 0x0
	s_or_b32 exec_lo, exec_lo, s36
	s_delay_alu instid0(SALU_CYCLE_1)
	s_and_not1_b32 s1, s47, exec_lo
	s_and_b32 s6, s51, exec_lo
	s_and_b32 s24, s24, exec_lo
	;; [unrolled: 1-line block ×4, first 2 shown]
	s_or_b32 s47, s1, s6
.LBB7_1295:
	s_or_b32 exec_lo, exec_lo, s46
	s_delay_alu instid0(SALU_CYCLE_1)
	s_and_not1_b32 s1, s43, exec_lo
	s_and_b32 s6, s48, exec_lo
	s_and_not1_b32 s7, s44, exec_lo
	s_and_b32 s8, s49, exec_lo
	s_or_b32 s43, s1, s6
	s_and_not1_b32 s1, s42, exec_lo
	s_and_b32 s6, s47, exec_lo
	s_or_b32 s44, s7, s8
	s_and_b32 s24, s24, exec_lo
	s_and_b32 s46, s50, exec_lo
	;; [unrolled: 1-line block ×3, first 2 shown]
	s_or_b32 s42, s1, s6
.LBB7_1296:
	s_or_b32 exec_lo, exec_lo, s45
	s_delay_alu instid0(SALU_CYCLE_1)
	s_and_not1_b32 s1, s38, exec_lo
	s_and_b32 s6, s43, exec_lo
	s_and_not1_b32 s7, s39, exec_lo
	s_and_b32 s8, s44, exec_lo
	s_or_b32 s38, s1, s6
	s_and_not1_b32 s1, s40, exec_lo
	s_and_b32 s6, s42, exec_lo
	s_or_b32 s39, s7, s8
	s_and_b32 s24, s24, exec_lo
	s_and_b32 s43, s46, exec_lo
	;; [unrolled: 1-line block ×3, first 2 shown]
	s_or_b32 s40, s1, s6
	s_or_b32 exec_lo, exec_lo, s41
	s_mov_b32 s1, 0
	s_and_saveexec_b32 s6, s40
	s_cbranch_execz .LBB7_402
.LBB7_1297:
	s_mov_b32 s1, exec_lo
	s_and_not1_b32 s19, s19, exec_lo
	s_trap 2
	s_or_b32 exec_lo, exec_lo, s6
	s_and_saveexec_b32 s6, s19
	s_delay_alu instid0(SALU_CYCLE_1)
	s_xor_b32 s6, exec_lo, s6
	s_cbranch_execnz .LBB7_403
.LBB7_1298:
	s_or_b32 exec_lo, exec_lo, s6
	s_and_saveexec_b32 s6, s43
	s_cbranch_execz .LBB7_1344
.LBB7_1299:
	s_sext_i32_i16 s7, s0
	s_delay_alu instid0(SALU_CYCLE_1)
	s_cmp_lt_i32 s7, 5
	s_cbranch_scc1 .LBB7_1304
; %bb.1300:
	s_cmp_lt_i32 s7, 8
	s_cbranch_scc1 .LBB7_1305
; %bb.1301:
	;; [unrolled: 3-line block ×3, first 2 shown]
	s_cmp_gt_i32 s7, 9
	s_cbranch_scc0 .LBB7_1307
; %bb.1303:
	s_wait_loadcnt 0x0
	global_load_b64 v[6:7], v[8:9], off
	s_mov_b32 s7, 0
	s_branch .LBB7_1308
.LBB7_1304:
                                        ; implicit-def: $vgpr6_vgpr7
	s_branch .LBB7_1325
.LBB7_1305:
                                        ; implicit-def: $vgpr6_vgpr7
	s_branch .LBB7_1314
.LBB7_1306:
	s_mov_b32 s7, -1
                                        ; implicit-def: $vgpr6_vgpr7
	s_branch .LBB7_1311
.LBB7_1307:
	s_mov_b32 s7, -1
                                        ; implicit-def: $vgpr6_vgpr7
.LBB7_1308:
	s_delay_alu instid0(SALU_CYCLE_1)
	s_and_not1_b32 vcc_lo, exec_lo, s7
	s_cbranch_vccnz .LBB7_1310
; %bb.1309:
	s_wait_loadcnt 0x0
	global_load_b32 v1, v[8:9], off
	s_wait_loadcnt 0x0
	v_cvt_f64_f32_e32 v[6:7], v1
.LBB7_1310:
	s_mov_b32 s7, 0
.LBB7_1311:
	s_delay_alu instid0(SALU_CYCLE_1)
	s_and_not1_b32 vcc_lo, exec_lo, s7
	s_cbranch_vccnz .LBB7_1313
; %bb.1312:
	s_wait_loadcnt 0x0
	global_load_b32 v1, v[8:9], off
	s_wait_loadcnt 0x0
	v_cvt_f32_f16_e32 v1, v1
	s_delay_alu instid0(VALU_DEP_1)
	v_cvt_f64_f32_e32 v[6:7], v1
.LBB7_1313:
	s_cbranch_execnz .LBB7_1324
.LBB7_1314:
	s_sext_i32_i16 s7, s0
	s_delay_alu instid0(SALU_CYCLE_1)
	s_cmp_lt_i32 s7, 6
	s_cbranch_scc1 .LBB7_1317
; %bb.1315:
	s_cmp_gt_i32 s7, 6
	s_cbranch_scc0 .LBB7_1318
; %bb.1316:
	s_wait_loadcnt 0x0
	global_load_b64 v[6:7], v[8:9], off
	s_mov_b32 s7, 0
	s_branch .LBB7_1319
.LBB7_1317:
	s_mov_b32 s7, -1
                                        ; implicit-def: $vgpr6_vgpr7
	s_branch .LBB7_1322
.LBB7_1318:
	s_mov_b32 s7, -1
                                        ; implicit-def: $vgpr6_vgpr7
.LBB7_1319:
	s_delay_alu instid0(SALU_CYCLE_1)
	s_and_not1_b32 vcc_lo, exec_lo, s7
	s_cbranch_vccnz .LBB7_1321
; %bb.1320:
	s_wait_loadcnt 0x0
	global_load_b32 v1, v[8:9], off
	s_wait_loadcnt 0x0
	v_cvt_f64_f32_e32 v[6:7], v1
.LBB7_1321:
	s_mov_b32 s7, 0
.LBB7_1322:
	s_delay_alu instid0(SALU_CYCLE_1)
	s_and_not1_b32 vcc_lo, exec_lo, s7
	s_cbranch_vccnz .LBB7_1324
; %bb.1323:
	s_wait_loadcnt 0x0
	global_load_u16 v1, v[8:9], off
	s_wait_loadcnt 0x0
	v_cvt_f32_f16_e32 v1, v1
	s_delay_alu instid0(VALU_DEP_1)
	v_cvt_f64_f32_e32 v[6:7], v1
.LBB7_1324:
	s_cbranch_execnz .LBB7_1343
.LBB7_1325:
	s_sext_i32_i16 s7, s0
	s_delay_alu instid0(SALU_CYCLE_1)
	s_cmp_lt_i32 s7, 2
	s_cbranch_scc1 .LBB7_1329
; %bb.1326:
	s_cmp_lt_i32 s7, 3
	s_cbranch_scc1 .LBB7_1330
; %bb.1327:
	s_cmp_gt_i32 s7, 3
	s_cbranch_scc0 .LBB7_1331
; %bb.1328:
	s_wait_loadcnt 0x0
	global_load_b64 v[4:5], v[8:9], off
	s_mov_b32 s7, 0
	s_wait_loadcnt 0x0
	v_cvt_f64_i32_e32 v[6:7], v5
	v_cvt_f64_u32_e32 v[4:5], v4
	s_delay_alu instid0(VALU_DEP_2) | instskip(NEXT) | instid1(VALU_DEP_1)
	v_ldexp_f64 v[6:7], v[6:7], 32
	v_add_f64_e32 v[6:7], v[6:7], v[4:5]
	s_branch .LBB7_1332
.LBB7_1329:
                                        ; implicit-def: $vgpr6_vgpr7
	s_branch .LBB7_1338
.LBB7_1330:
	s_mov_b32 s7, -1
                                        ; implicit-def: $vgpr6_vgpr7
	s_branch .LBB7_1335
.LBB7_1331:
	s_mov_b32 s7, -1
                                        ; implicit-def: $vgpr6_vgpr7
.LBB7_1332:
	s_delay_alu instid0(SALU_CYCLE_1)
	s_and_not1_b32 vcc_lo, exec_lo, s7
	s_cbranch_vccnz .LBB7_1334
; %bb.1333:
	s_wait_loadcnt 0x0
	global_load_b32 v1, v[8:9], off
	s_wait_loadcnt 0x0
	v_cvt_f64_i32_e32 v[6:7], v1
.LBB7_1334:
	s_mov_b32 s7, 0
.LBB7_1335:
	s_delay_alu instid0(SALU_CYCLE_1)
	s_and_not1_b32 vcc_lo, exec_lo, s7
	s_cbranch_vccnz .LBB7_1337
; %bb.1336:
	s_wait_loadcnt 0x0
	global_load_i16 v1, v[8:9], off
	s_wait_loadcnt 0x0
	v_cvt_f64_i32_e32 v[6:7], v1
.LBB7_1337:
	s_cbranch_execnz .LBB7_1343
.LBB7_1338:
	s_sext_i32_i16 s0, s0
	s_delay_alu instid0(SALU_CYCLE_1)
	s_cmp_gt_i32 s0, 0
	s_mov_b32 s0, 0
	s_cbranch_scc0 .LBB7_1340
; %bb.1339:
	s_wait_loadcnt 0x0
	global_load_i8 v1, v[8:9], off
	s_wait_loadcnt 0x0
	v_cvt_f64_i32_e32 v[6:7], v1
	s_branch .LBB7_1341
.LBB7_1340:
	s_mov_b32 s0, -1
                                        ; implicit-def: $vgpr6_vgpr7
.LBB7_1341:
	s_delay_alu instid0(SALU_CYCLE_1)
	s_and_not1_b32 vcc_lo, exec_lo, s0
	s_cbranch_vccnz .LBB7_1343
; %bb.1342:
	s_wait_loadcnt 0x0
	global_load_u8 v1, v[8:9], off
	s_wait_loadcnt 0x0
	v_cvt_f64_u32_e32 v[6:7], v1
.LBB7_1343:
	s_or_b32 s24, s24, exec_lo
.LBB7_1344:
	s_wait_xcnt 0x0
	s_or_b32 exec_lo, exec_lo, s6
	s_mov_b32 s8, 0
	s_mov_b32 s7, 0
	;; [unrolled: 1-line block ×3, first 2 shown]
                                        ; implicit-def: $sgpr0
                                        ; implicit-def: $vgpr4_vgpr5
                                        ; implicit-def: $vgpr8_vgpr9
	s_and_saveexec_b32 s6, s24
	s_cbranch_execz .LBB7_1352
; %bb.1345:
	v_mov_b32_e32 v1, 0
	s_and_b32 s0, s9, 0xff
	s_delay_alu instid0(SALU_CYCLE_1) | instskip(NEXT) | instid1(VALU_DEP_1)
	s_cmp_lt_i32 s0, 11
	v_add_nc_u64_e32 v[4:5], s[16:17], v[0:1]
	s_cbranch_scc1 .LBB7_1355
; %bb.1346:
	s_and_b32 s7, 0xffff, s0
	s_mov_b32 s9, 0
	s_cmp_gt_i32 s7, 25
	s_cbranch_scc0 .LBB7_1356
; %bb.1347:
	s_cmp_gt_i32 s7, 28
	s_cbranch_scc0 .LBB7_1357
; %bb.1348:
	;; [unrolled: 3-line block ×4, first 2 shown]
	s_cmp_eq_u32 s7, 46
	s_mov_b32 s11, 0
	s_cbranch_scc0 .LBB7_1360
; %bb.1351:
	global_load_b32 v0, v[4:5], off
	s_mov_b32 s10, -1
	s_wait_loadcnt 0x0
	v_lshlrev_b32_e32 v0, 16, v0
	s_delay_alu instid0(VALU_DEP_1)
	v_cvt_f64_f32_e32 v[8:9], v0
	s_branch .LBB7_1362
.LBB7_1352:
	s_or_b32 exec_lo, exec_lo, s6
	s_and_saveexec_b32 s6, s39
	s_cbranch_execnz .LBB7_1425
.LBB7_1353:
	s_or_b32 exec_lo, exec_lo, s6
	s_and_saveexec_b32 s6, s8
	s_delay_alu instid0(SALU_CYCLE_1)
	s_xor_b32 s6, exec_lo, s6
	s_cbranch_execz .LBB7_1426
.LBB7_1354:
	global_load_u8 v0, v[4:5], off
	s_wait_loadcnt 0x1
	v_mov_b32_e32 v8, 0
	s_or_b32 s10, s10, exec_lo
	s_wait_loadcnt 0x0
	v_cmp_ne_u16_e32 vcc_lo, 0, v0
	v_cndmask_b32_e64 v9, 0, 0x3ff00000, vcc_lo
	s_wait_xcnt 0x0
	s_or_b32 exec_lo, exec_lo, s6
	s_and_saveexec_b32 s6, s7
	s_cbranch_execz .LBB7_1472
	s_branch .LBB7_1427
.LBB7_1355:
	s_mov_b32 s7, -1
	s_mov_b32 s9, 0
	s_mov_b32 s8, s39
                                        ; implicit-def: $vgpr8_vgpr9
	s_branch .LBB7_1424
.LBB7_1356:
	s_mov_b32 s8, s39
                                        ; implicit-def: $vgpr8_vgpr9
	s_cbranch_execnz .LBB7_1391
	s_branch .LBB7_1423
.LBB7_1357:
	s_mov_b32 s11, -1
	s_mov_b32 s8, s39
                                        ; implicit-def: $vgpr8_vgpr9
	s_branch .LBB7_1372
.LBB7_1358:
	s_mov_b32 s11, -1
	s_mov_b32 s8, s39
                                        ; implicit-def: $vgpr8_vgpr9
	s_branch .LBB7_1367
.LBB7_1359:
	s_mov_b32 s11, -1
	s_mov_b32 s8, s39
	s_branch .LBB7_1361
.LBB7_1360:
	s_mov_b32 s8, -1
.LBB7_1361:
                                        ; implicit-def: $vgpr8_vgpr9
.LBB7_1362:
	s_and_b32 vcc_lo, exec_lo, s11
	s_cbranch_vccz .LBB7_1366
; %bb.1363:
	s_cmp_eq_u32 s7, 44
	s_cbranch_scc0 .LBB7_1365
; %bb.1364:
	s_wait_loadcnt 0x0
	global_load_u8 v3, v[4:5], off
	s_mov_b32 s8, 0
	s_mov_b32 s10, -1
	s_wait_loadcnt 0x0
	v_cmp_ne_u32_e32 vcc_lo, 0xff, v3
	v_lshlrev_b32_e32 v0, 23, v3
	s_delay_alu instid0(VALU_DEP_1) | instskip(NEXT) | instid1(VALU_DEP_1)
	v_cvt_f64_f32_e32 v[0:1], v0
	v_cndmask_b32_e32 v0, 0x20000000, v0, vcc_lo
	s_delay_alu instid0(VALU_DEP_2) | instskip(SKIP_1) | instid1(VALU_DEP_2)
	v_cndmask_b32_e32 v1, 0x7ff80000, v1, vcc_lo
	v_cmp_ne_u32_e32 vcc_lo, 0, v3
	v_cndmask_b32_e32 v9, 0x38000000, v1, vcc_lo
	s_delay_alu instid0(VALU_DEP_4)
	v_cndmask_b32_e32 v8, 0, v0, vcc_lo
	s_branch .LBB7_1366
.LBB7_1365:
	s_mov_b32 s8, -1
                                        ; implicit-def: $vgpr8_vgpr9
.LBB7_1366:
	s_mov_b32 s11, 0
.LBB7_1367:
	s_delay_alu instid0(SALU_CYCLE_1)
	s_and_b32 vcc_lo, exec_lo, s11
	s_cbranch_vccz .LBB7_1371
; %bb.1368:
	s_cmp_eq_u32 s7, 29
	s_cbranch_scc0 .LBB7_1370
; %bb.1369:
	global_load_b64 v[0:1], v[4:5], off
	s_mov_b32 s8, 0
	s_mov_b32 s10, -1
	s_mov_b32 s11, 0
	s_wait_loadcnt 0x0
	v_cvt_f64_u32_e32 v[8:9], v1
	v_cvt_f64_u32_e32 v[0:1], v0
	s_delay_alu instid0(VALU_DEP_2) | instskip(NEXT) | instid1(VALU_DEP_1)
	v_ldexp_f64 v[8:9], v[8:9], 32
	v_add_f64_e32 v[8:9], v[8:9], v[0:1]
	s_branch .LBB7_1372
.LBB7_1370:
	s_mov_b32 s8, -1
                                        ; implicit-def: $vgpr8_vgpr9
.LBB7_1371:
	s_mov_b32 s11, 0
.LBB7_1372:
	s_delay_alu instid0(SALU_CYCLE_1)
	s_and_b32 vcc_lo, exec_lo, s11
	s_cbranch_vccz .LBB7_1390
; %bb.1373:
	s_cmp_lt_i32 s7, 27
	s_cbranch_scc1 .LBB7_1376
; %bb.1374:
	s_cmp_gt_i32 s7, 27
	s_cbranch_scc0 .LBB7_1377
; %bb.1375:
	global_load_b32 v0, v[4:5], off
	s_mov_b32 s10, 0
	s_wait_loadcnt 0x0
	v_cvt_f64_u32_e32 v[8:9], v0
	s_branch .LBB7_1378
.LBB7_1376:
	s_mov_b32 s10, -1
                                        ; implicit-def: $vgpr8_vgpr9
	s_branch .LBB7_1381
.LBB7_1377:
	s_mov_b32 s10, -1
                                        ; implicit-def: $vgpr8_vgpr9
.LBB7_1378:
	s_delay_alu instid0(SALU_CYCLE_1)
	s_and_not1_b32 vcc_lo, exec_lo, s10
	s_cbranch_vccnz .LBB7_1380
; %bb.1379:
	global_load_u16 v0, v[4:5], off
	s_wait_loadcnt 0x0
	v_cvt_f64_u32_e32 v[8:9], v0
.LBB7_1380:
	s_mov_b32 s10, 0
.LBB7_1381:
	s_delay_alu instid0(SALU_CYCLE_1)
	s_and_not1_b32 vcc_lo, exec_lo, s10
	s_cbranch_vccnz .LBB7_1389
; %bb.1382:
	global_load_u8 v0, v[4:5], off
	s_mov_b32 s10, 0
	s_mov_b32 s11, exec_lo
	s_wait_loadcnt 0x0
	v_cmpx_lt_i16_e32 0x7f, v0
	s_xor_b32 s11, exec_lo, s11
	s_cbranch_execz .LBB7_1402
; %bb.1383:
	s_mov_b32 s10, -1
	s_mov_b32 s12, exec_lo
	v_cmpx_eq_u16_e32 0x80, v0
; %bb.1384:
	s_xor_b32 s10, exec_lo, -1
; %bb.1385:
	s_or_b32 exec_lo, exec_lo, s12
	s_delay_alu instid0(SALU_CYCLE_1)
	s_and_b32 s10, s10, exec_lo
	s_or_saveexec_b32 s11, s11
	v_mov_b64_e32 v[8:9], 0x7ff8000020000000
	s_xor_b32 exec_lo, exec_lo, s11
	s_cbranch_execnz .LBB7_1403
.LBB7_1386:
	s_or_b32 exec_lo, exec_lo, s11
	s_and_saveexec_b32 s11, s10
	s_cbranch_execz .LBB7_1388
.LBB7_1387:
	v_and_b32_e32 v1, 0xffff, v0
	s_delay_alu instid0(VALU_DEP_1) | instskip(SKIP_1) | instid1(VALU_DEP_2)
	v_and_b32_e32 v3, 7, v1
	v_bfe_u32 v10, v1, 3, 4
	v_clz_i32_u32_e32 v8, v3
	s_delay_alu instid0(VALU_DEP_2) | instskip(NEXT) | instid1(VALU_DEP_2)
	v_cmp_eq_u32_e32 vcc_lo, 0, v10
	v_min_u32_e32 v8, 32, v8
	s_delay_alu instid0(VALU_DEP_1) | instskip(NEXT) | instid1(VALU_DEP_1)
	v_subrev_nc_u32_e32 v9, 28, v8
	v_dual_lshlrev_b32 v1, v9, v1 :: v_dual_sub_nc_u32 v8, 29, v8
	s_delay_alu instid0(VALU_DEP_1) | instskip(NEXT) | instid1(VALU_DEP_1)
	v_dual_lshlrev_b32 v0, 24, v0 :: v_dual_bitop2_b32 v1, 7, v1 bitop3:0x40
	v_dual_cndmask_b32 v1, v3, v1 :: v_dual_cndmask_b32 v8, v10, v8
	s_delay_alu instid0(VALU_DEP_2) | instskip(NEXT) | instid1(VALU_DEP_2)
	v_and_b32_e32 v0, 0x80000000, v0
	v_lshlrev_b32_e32 v1, 20, v1
	s_delay_alu instid0(VALU_DEP_3) | instskip(NEXT) | instid1(VALU_DEP_1)
	v_lshl_add_u32 v3, v8, 23, 0x3b800000
	v_or3_b32 v0, v0, v3, v1
	s_delay_alu instid0(VALU_DEP_1)
	v_cvt_f64_f32_e32 v[8:9], v0
.LBB7_1388:
	s_or_b32 exec_lo, exec_lo, s11
.LBB7_1389:
	s_mov_b32 s10, -1
.LBB7_1390:
	s_branch .LBB7_1423
.LBB7_1391:
	s_cmp_gt_i32 s7, 22
	s_cbranch_scc0 .LBB7_1401
; %bb.1392:
	s_cmp_lt_i32 s7, 24
	s_cbranch_scc1 .LBB7_1404
; %bb.1393:
	s_cmp_gt_i32 s7, 24
	s_cbranch_scc0 .LBB7_1405
; %bb.1394:
	global_load_u8 v0, v[4:5], off
	s_mov_b32 s10, exec_lo
	s_wait_loadcnt 0x0
	v_cmpx_lt_i16_e32 0x7f, v0
	s_xor_b32 s10, exec_lo, s10
	s_cbranch_execz .LBB7_1417
; %bb.1395:
	s_mov_b32 s9, -1
	s_mov_b32 s11, exec_lo
	v_cmpx_eq_u16_e32 0x80, v0
; %bb.1396:
	s_xor_b32 s9, exec_lo, -1
; %bb.1397:
	s_or_b32 exec_lo, exec_lo, s11
	s_delay_alu instid0(SALU_CYCLE_1)
	s_and_b32 s9, s9, exec_lo
	s_or_saveexec_b32 s10, s10
	v_mov_b64_e32 v[8:9], 0x7ff8000020000000
	s_xor_b32 exec_lo, exec_lo, s10
	s_cbranch_execnz .LBB7_1418
.LBB7_1398:
	s_or_b32 exec_lo, exec_lo, s10
	s_and_saveexec_b32 s10, s9
	s_cbranch_execz .LBB7_1400
.LBB7_1399:
	v_and_b32_e32 v1, 0xffff, v0
	s_delay_alu instid0(VALU_DEP_1) | instskip(SKIP_1) | instid1(VALU_DEP_2)
	v_and_b32_e32 v3, 3, v1
	v_bfe_u32 v10, v1, 2, 5
	v_clz_i32_u32_e32 v8, v3
	s_delay_alu instid0(VALU_DEP_2) | instskip(NEXT) | instid1(VALU_DEP_2)
	v_cmp_eq_u32_e32 vcc_lo, 0, v10
	v_min_u32_e32 v8, 32, v8
	s_delay_alu instid0(VALU_DEP_1) | instskip(NEXT) | instid1(VALU_DEP_1)
	v_subrev_nc_u32_e32 v9, 29, v8
	v_dual_lshlrev_b32 v1, v9, v1 :: v_dual_sub_nc_u32 v8, 30, v8
	s_delay_alu instid0(VALU_DEP_1) | instskip(NEXT) | instid1(VALU_DEP_1)
	v_dual_lshlrev_b32 v0, 24, v0 :: v_dual_bitop2_b32 v1, 3, v1 bitop3:0x40
	v_dual_cndmask_b32 v1, v3, v1 :: v_dual_cndmask_b32 v8, v10, v8
	s_delay_alu instid0(VALU_DEP_2) | instskip(NEXT) | instid1(VALU_DEP_2)
	v_and_b32_e32 v0, 0x80000000, v0
	v_lshlrev_b32_e32 v1, 21, v1
	s_delay_alu instid0(VALU_DEP_3) | instskip(NEXT) | instid1(VALU_DEP_1)
	v_lshl_add_u32 v3, v8, 23, 0x37800000
	v_or3_b32 v0, v0, v3, v1
	s_delay_alu instid0(VALU_DEP_1)
	v_cvt_f64_f32_e32 v[8:9], v0
.LBB7_1400:
	s_or_b32 exec_lo, exec_lo, s10
	s_mov_b32 s9, 0
	s_branch .LBB7_1406
.LBB7_1401:
	s_mov_b32 s9, -1
                                        ; implicit-def: $vgpr8_vgpr9
	s_branch .LBB7_1412
.LBB7_1402:
	s_or_saveexec_b32 s11, s11
	v_mov_b64_e32 v[8:9], 0x7ff8000020000000
	s_xor_b32 exec_lo, exec_lo, s11
	s_cbranch_execz .LBB7_1386
.LBB7_1403:
	v_cmp_ne_u16_e32 vcc_lo, 0, v0
	v_mov_b64_e32 v[8:9], 0
	s_and_not1_b32 s10, s10, exec_lo
	s_and_b32 s12, vcc_lo, exec_lo
	s_delay_alu instid0(SALU_CYCLE_1)
	s_or_b32 s10, s10, s12
	s_or_b32 exec_lo, exec_lo, s11
	s_and_saveexec_b32 s11, s10
	s_cbranch_execnz .LBB7_1387
	s_branch .LBB7_1388
.LBB7_1404:
	s_mov_b32 s9, -1
                                        ; implicit-def: $vgpr8_vgpr9
	s_branch .LBB7_1409
.LBB7_1405:
	s_mov_b32 s9, -1
                                        ; implicit-def: $vgpr8_vgpr9
.LBB7_1406:
	s_delay_alu instid0(SALU_CYCLE_1)
	s_and_b32 vcc_lo, exec_lo, s9
	s_cbranch_vccz .LBB7_1408
; %bb.1407:
	global_load_u8 v0, v[4:5], off
	s_wait_loadcnt 0x0
	v_lshlrev_b32_e32 v0, 24, v0
	s_delay_alu instid0(VALU_DEP_1) | instskip(NEXT) | instid1(VALU_DEP_1)
	v_and_b32_e32 v1, 0x7f000000, v0
	v_clz_i32_u32_e32 v3, v1
	v_add_nc_u32_e32 v9, 0x1000000, v1
	v_cmp_ne_u32_e32 vcc_lo, 0, v1
	s_delay_alu instid0(VALU_DEP_3) | instskip(NEXT) | instid1(VALU_DEP_1)
	v_min_u32_e32 v3, 32, v3
	v_sub_nc_u32_e64 v3, v3, 4 clamp
	s_delay_alu instid0(VALU_DEP_1) | instskip(NEXT) | instid1(VALU_DEP_1)
	v_dual_lshlrev_b32 v8, v3, v1 :: v_dual_lshlrev_b32 v3, 23, v3
	v_lshrrev_b32_e32 v8, 4, v8
	s_delay_alu instid0(VALU_DEP_1) | instskip(NEXT) | instid1(VALU_DEP_1)
	v_dual_sub_nc_u32 v3, v8, v3 :: v_dual_ashrrev_i32 v8, 8, v9
	v_add_nc_u32_e32 v3, 0x3c000000, v3
	s_delay_alu instid0(VALU_DEP_1) | instskip(NEXT) | instid1(VALU_DEP_1)
	v_and_or_b32 v3, 0x7f800000, v8, v3
	v_cndmask_b32_e32 v1, 0, v3, vcc_lo
	s_delay_alu instid0(VALU_DEP_1) | instskip(NEXT) | instid1(VALU_DEP_1)
	v_and_or_b32 v0, 0x80000000, v0, v1
	v_cvt_f64_f32_e32 v[8:9], v0
.LBB7_1408:
	s_mov_b32 s9, 0
.LBB7_1409:
	s_delay_alu instid0(SALU_CYCLE_1)
	s_and_not1_b32 vcc_lo, exec_lo, s9
	s_cbranch_vccnz .LBB7_1411
; %bb.1410:
	global_load_u8 v0, v[4:5], off
	s_wait_loadcnt 0x0
	v_lshlrev_b32_e32 v1, 25, v0
	v_lshlrev_b16 v0, 8, v0
	s_delay_alu instid0(VALU_DEP_2) | instskip(NEXT) | instid1(VALU_DEP_2)
	v_cmp_gt_u32_e32 vcc_lo, 0x8000000, v1
	v_and_or_b32 v8, 0x7f00, v0, 0.5
	v_lshrrev_b32_e32 v3, 4, v1
	v_bfe_i32 v0, v0, 0, 16
	s_delay_alu instid0(VALU_DEP_3) | instskip(NEXT) | instid1(VALU_DEP_3)
	v_add_f32_e32 v8, -0.5, v8
	v_or_b32_e32 v3, 0x70000000, v3
	s_delay_alu instid0(VALU_DEP_1) | instskip(NEXT) | instid1(VALU_DEP_1)
	v_mul_f32_e32 v3, 0x7800000, v3
	v_cndmask_b32_e32 v1, v3, v8, vcc_lo
	s_delay_alu instid0(VALU_DEP_1) | instskip(NEXT) | instid1(VALU_DEP_1)
	v_and_or_b32 v0, 0x80000000, v0, v1
	v_cvt_f64_f32_e32 v[8:9], v0
.LBB7_1411:
	s_mov_b32 s9, 0
	s_mov_b32 s10, -1
.LBB7_1412:
	s_and_not1_b32 vcc_lo, exec_lo, s9
	s_mov_b32 s9, 0
	s_cbranch_vccnz .LBB7_1423
; %bb.1413:
	s_cmp_gt_i32 s7, 14
	s_cbranch_scc0 .LBB7_1416
; %bb.1414:
	s_cmp_eq_u32 s7, 15
	s_cbranch_scc0 .LBB7_1419
; %bb.1415:
	global_load_u16 v0, v[4:5], off
	s_mov_b32 s8, 0
	s_mov_b32 s10, -1
	s_wait_loadcnt 0x0
	v_lshlrev_b32_e32 v0, 16, v0
	s_delay_alu instid0(VALU_DEP_1)
	v_cvt_f64_f32_e32 v[8:9], v0
	s_branch .LBB7_1421
.LBB7_1416:
	s_mov_b32 s9, -1
	s_branch .LBB7_1420
.LBB7_1417:
	s_or_saveexec_b32 s10, s10
	v_mov_b64_e32 v[8:9], 0x7ff8000020000000
	s_xor_b32 exec_lo, exec_lo, s10
	s_cbranch_execz .LBB7_1398
.LBB7_1418:
	v_cmp_ne_u16_e32 vcc_lo, 0, v0
	v_mov_b64_e32 v[8:9], 0
	s_and_not1_b32 s9, s9, exec_lo
	s_and_b32 s11, vcc_lo, exec_lo
	s_delay_alu instid0(SALU_CYCLE_1)
	s_or_b32 s9, s9, s11
	s_or_b32 exec_lo, exec_lo, s10
	s_and_saveexec_b32 s10, s9
	s_cbranch_execnz .LBB7_1399
	s_branch .LBB7_1400
.LBB7_1419:
	s_mov_b32 s8, -1
.LBB7_1420:
                                        ; implicit-def: $vgpr8_vgpr9
.LBB7_1421:
	s_and_b32 vcc_lo, exec_lo, s9
	s_mov_b32 s9, 0
	s_cbranch_vccz .LBB7_1423
; %bb.1422:
	s_cmp_lg_u32 s7, 11
	s_mov_b32 s9, -1
	s_cselect_b32 s7, -1, 0
	s_and_not1_b32 s8, s8, exec_lo
	s_and_b32 s7, s7, exec_lo
	s_delay_alu instid0(SALU_CYCLE_1)
	s_or_b32 s8, s8, s7
.LBB7_1423:
	s_mov_b32 s7, 0
.LBB7_1424:
	s_and_not1_b32 s11, s39, exec_lo
	s_and_b32 s12, s8, exec_lo
	s_and_b32 s10, s10, exec_lo
	;; [unrolled: 1-line block ×4, first 2 shown]
	s_or_b32 s39, s11, s12
	s_wait_xcnt 0x0
	s_or_b32 exec_lo, exec_lo, s6
	s_and_saveexec_b32 s6, s39
	s_cbranch_execz .LBB7_1353
.LBB7_1425:
	s_or_b32 s1, s1, exec_lo
	s_and_not1_b32 s8, s8, exec_lo
	s_trap 2
	s_or_b32 exec_lo, exec_lo, s6
	s_and_saveexec_b32 s6, s8
	s_delay_alu instid0(SALU_CYCLE_1)
	s_xor_b32 s6, exec_lo, s6
	s_cbranch_execnz .LBB7_1354
.LBB7_1426:
	s_or_b32 exec_lo, exec_lo, s6
	s_and_saveexec_b32 s6, s7
	s_cbranch_execz .LBB7_1472
.LBB7_1427:
	s_sext_i32_i16 s7, s0
	s_delay_alu instid0(SALU_CYCLE_1)
	s_cmp_lt_i32 s7, 5
	s_cbranch_scc1 .LBB7_1432
; %bb.1428:
	s_cmp_lt_i32 s7, 8
	s_cbranch_scc1 .LBB7_1433
; %bb.1429:
	;; [unrolled: 3-line block ×3, first 2 shown]
	s_cmp_gt_i32 s7, 9
	s_cbranch_scc0 .LBB7_1435
; %bb.1431:
	s_wait_loadcnt 0x0
	global_load_b64 v[8:9], v[4:5], off
	s_mov_b32 s7, 0
	s_branch .LBB7_1436
.LBB7_1432:
                                        ; implicit-def: $vgpr8_vgpr9
	s_branch .LBB7_1453
.LBB7_1433:
                                        ; implicit-def: $vgpr8_vgpr9
	s_branch .LBB7_1442
.LBB7_1434:
	s_mov_b32 s7, -1
                                        ; implicit-def: $vgpr8_vgpr9
	s_branch .LBB7_1439
.LBB7_1435:
	s_mov_b32 s7, -1
                                        ; implicit-def: $vgpr8_vgpr9
.LBB7_1436:
	s_delay_alu instid0(SALU_CYCLE_1)
	s_and_not1_b32 vcc_lo, exec_lo, s7
	s_cbranch_vccnz .LBB7_1438
; %bb.1437:
	global_load_b32 v0, v[4:5], off
	s_wait_loadcnt 0x0
	v_cvt_f64_f32_e32 v[8:9], v0
.LBB7_1438:
	s_mov_b32 s7, 0
.LBB7_1439:
	s_delay_alu instid0(SALU_CYCLE_1)
	s_and_not1_b32 vcc_lo, exec_lo, s7
	s_cbranch_vccnz .LBB7_1441
; %bb.1440:
	global_load_b32 v0, v[4:5], off
	s_wait_loadcnt 0x0
	v_cvt_f32_f16_e32 v0, v0
	s_delay_alu instid0(VALU_DEP_1)
	v_cvt_f64_f32_e32 v[8:9], v0
.LBB7_1441:
	s_cbranch_execnz .LBB7_1452
.LBB7_1442:
	s_sext_i32_i16 s7, s0
	s_delay_alu instid0(SALU_CYCLE_1)
	s_cmp_lt_i32 s7, 6
	s_cbranch_scc1 .LBB7_1445
; %bb.1443:
	s_cmp_gt_i32 s7, 6
	s_cbranch_scc0 .LBB7_1446
; %bb.1444:
	s_wait_loadcnt 0x0
	global_load_b64 v[8:9], v[4:5], off
	s_mov_b32 s7, 0
	s_branch .LBB7_1447
.LBB7_1445:
	s_mov_b32 s7, -1
                                        ; implicit-def: $vgpr8_vgpr9
	s_branch .LBB7_1450
.LBB7_1446:
	s_mov_b32 s7, -1
                                        ; implicit-def: $vgpr8_vgpr9
.LBB7_1447:
	s_delay_alu instid0(SALU_CYCLE_1)
	s_and_not1_b32 vcc_lo, exec_lo, s7
	s_cbranch_vccnz .LBB7_1449
; %bb.1448:
	global_load_b32 v0, v[4:5], off
	s_wait_loadcnt 0x0
	v_cvt_f64_f32_e32 v[8:9], v0
.LBB7_1449:
	s_mov_b32 s7, 0
.LBB7_1450:
	s_delay_alu instid0(SALU_CYCLE_1)
	s_and_not1_b32 vcc_lo, exec_lo, s7
	s_cbranch_vccnz .LBB7_1452
; %bb.1451:
	global_load_u16 v0, v[4:5], off
	s_wait_loadcnt 0x0
	v_cvt_f32_f16_e32 v0, v0
	s_delay_alu instid0(VALU_DEP_1)
	v_cvt_f64_f32_e32 v[8:9], v0
.LBB7_1452:
	s_cbranch_execnz .LBB7_1471
.LBB7_1453:
	s_sext_i32_i16 s7, s0
	s_delay_alu instid0(SALU_CYCLE_1)
	s_cmp_lt_i32 s7, 2
	s_cbranch_scc1 .LBB7_1457
; %bb.1454:
	s_cmp_lt_i32 s7, 3
	s_cbranch_scc1 .LBB7_1458
; %bb.1455:
	s_cmp_gt_i32 s7, 3
	s_cbranch_scc0 .LBB7_1459
; %bb.1456:
	global_load_b64 v[0:1], v[4:5], off
	s_mov_b32 s7, 0
	s_wait_loadcnt 0x0
	v_cvt_f64_i32_e32 v[8:9], v1
	v_cvt_f64_u32_e32 v[0:1], v0
	s_delay_alu instid0(VALU_DEP_2) | instskip(NEXT) | instid1(VALU_DEP_1)
	v_ldexp_f64 v[8:9], v[8:9], 32
	v_add_f64_e32 v[8:9], v[8:9], v[0:1]
	s_branch .LBB7_1460
.LBB7_1457:
                                        ; implicit-def: $vgpr8_vgpr9
	s_branch .LBB7_1466
.LBB7_1458:
	s_mov_b32 s7, -1
                                        ; implicit-def: $vgpr8_vgpr9
	s_branch .LBB7_1463
.LBB7_1459:
	s_mov_b32 s7, -1
                                        ; implicit-def: $vgpr8_vgpr9
.LBB7_1460:
	s_delay_alu instid0(SALU_CYCLE_1)
	s_and_not1_b32 vcc_lo, exec_lo, s7
	s_cbranch_vccnz .LBB7_1462
; %bb.1461:
	global_load_b32 v0, v[4:5], off
	s_wait_loadcnt 0x0
	v_cvt_f64_i32_e32 v[8:9], v0
.LBB7_1462:
	s_mov_b32 s7, 0
.LBB7_1463:
	s_delay_alu instid0(SALU_CYCLE_1)
	s_and_not1_b32 vcc_lo, exec_lo, s7
	s_cbranch_vccnz .LBB7_1465
; %bb.1464:
	global_load_i16 v0, v[4:5], off
	s_wait_loadcnt 0x0
	v_cvt_f64_i32_e32 v[8:9], v0
.LBB7_1465:
	s_cbranch_execnz .LBB7_1471
.LBB7_1466:
	s_sext_i32_i16 s0, s0
	s_delay_alu instid0(SALU_CYCLE_1)
	s_cmp_gt_i32 s0, 0
	s_mov_b32 s0, 0
	s_cbranch_scc0 .LBB7_1468
; %bb.1467:
	global_load_i8 v0, v[4:5], off
	s_wait_loadcnt 0x0
	v_cvt_f64_i32_e32 v[8:9], v0
	s_branch .LBB7_1469
.LBB7_1468:
	s_mov_b32 s0, -1
                                        ; implicit-def: $vgpr8_vgpr9
.LBB7_1469:
	s_delay_alu instid0(SALU_CYCLE_1)
	s_and_not1_b32 vcc_lo, exec_lo, s0
	s_cbranch_vccnz .LBB7_1471
; %bb.1470:
	global_load_u8 v0, v[4:5], off
	s_wait_loadcnt 0x0
	v_cvt_f64_u32_e32 v[8:9], v0
.LBB7_1471:
	s_or_b32 s10, s10, exec_lo
.LBB7_1472:
	s_wait_xcnt 0x0
	s_or_b32 exec_lo, exec_lo, s6
	s_mov_b32 s0, 0
	s_mov_b32 s8, 0
                                        ; implicit-def: $sgpr6
                                        ; implicit-def: $vgpr4_vgpr5
                                        ; implicit-def: $vgpr0_vgpr1
	s_and_saveexec_b32 s7, s10
	s_cbranch_execz .LBB7_1480
; %bb.1473:
	s_wait_loadcnt 0x0
	s_delay_alu instid0(VALU_DEP_1) | instskip(SKIP_2) | instid1(SALU_CYCLE_1)
	v_dual_mul_f64 v[0:1], v[6:7], v[8:9] :: v_dual_mov_b32 v3, 0
	v_cmp_lt_f64_e32 vcc_lo, 0, v[6:7]
	s_and_b32 s6, s31, 0xff
	s_cmp_lt_i32 s6, 11
	s_delay_alu instid0(VALU_DEP_2) | instskip(NEXT) | instid1(VALU_DEP_3)
	v_add_nc_u64_e32 v[4:5], s[4:5], v[2:3]
	v_dual_cndmask_b32 v1, v1, v7 :: v_dual_cndmask_b32 v0, v0, v6
	s_cbranch_scc1 .LBB7_1483
; %bb.1474:
	s_and_b32 s4, 0xffff, s6
	s_mov_b32 s5, -1
	s_cmp_gt_i32 s4, 25
	s_mov_b32 s0, s38
	s_cbranch_scc0 .LBB7_1511
; %bb.1475:
	s_cmp_gt_i32 s4, 28
	s_mov_b32 s0, s38
	s_cbranch_scc0 .LBB7_1495
; %bb.1476:
	;; [unrolled: 4-line block ×4, first 2 shown]
	s_cmp_eq_u32 s4, 46
	s_mov_b32 s0, -1
	s_cbranch_scc0 .LBB7_1484
; %bb.1479:
	v_cvt_f32_f64_e32 v2, v[0:1]
	s_mov_b32 s0, 0
	s_mov_b32 s5, 0
	s_delay_alu instid0(VALU_DEP_1) | instskip(SKIP_1) | instid1(VALU_DEP_2)
	v_bfe_u32 v3, v2, 16, 1
	v_cmp_o_f32_e32 vcc_lo, v2, v2
	v_add3_u32 v3, v2, v3, 0x7fff
	s_delay_alu instid0(VALU_DEP_1) | instskip(NEXT) | instid1(VALU_DEP_1)
	v_lshrrev_b32_e32 v3, 16, v3
	v_cndmask_b32_e32 v2, 0x7fc0, v3, vcc_lo
	global_store_b32 v[4:5], v2, off
	s_branch .LBB7_1485
.LBB7_1480:
	s_or_b32 exec_lo, exec_lo, s7
	s_and_saveexec_b32 s4, s38
	s_cbranch_execnz .LBB7_1553
.LBB7_1481:
	s_or_b32 exec_lo, exec_lo, s4
	s_and_saveexec_b32 s4, s0
	s_delay_alu instid0(SALU_CYCLE_1)
	s_xor_b32 s0, exec_lo, s4
	s_cbranch_execz .LBB7_1554
.LBB7_1482:
	v_cmp_neq_f64_e32 vcc_lo, 0, v[0:1]
	s_wait_loadcnt 0x0
	v_cndmask_b32_e64 v2, 0, 1, vcc_lo
	global_store_b8 v[4:5], v2, off
	s_wait_xcnt 0x0
	s_or_b32 exec_lo, exec_lo, s0
	s_and_saveexec_b32 s0, s8
	s_delay_alu instid0(SALU_CYCLE_1)
	s_xor_b32 s0, exec_lo, s0
	s_cbranch_execz .LBB7_1592
	s_branch .LBB7_1555
.LBB7_1483:
	s_mov_b32 s9, 0
	s_mov_b32 s5, -1
	s_mov_b32 s0, s38
	s_branch .LBB7_1552
.LBB7_1484:
	s_mov_b32 s5, 0
.LBB7_1485:
	s_delay_alu instid0(SALU_CYCLE_1)
	s_and_b32 vcc_lo, exec_lo, s5
	s_cbranch_vccz .LBB7_1490
; %bb.1486:
	s_cmp_eq_u32 s4, 44
	s_mov_b32 s0, -1
	s_cbranch_scc0 .LBB7_1490
; %bb.1487:
	s_wait_xcnt 0x0
	v_cvt_f32_f64_e32 v2, v[0:1]
	v_mov_b32_e32 v3, 0xff
	s_mov_b32 s5, exec_lo
	s_delay_alu instid0(VALU_DEP_2) | instskip(NEXT) | instid1(VALU_DEP_1)
	v_bfe_u32 v6, v2, 23, 8
	v_cmpx_ne_u32_e32 0xff, v6
	s_cbranch_execz .LBB7_1489
; %bb.1488:
	v_and_b32_e32 v3, 0x400000, v2
	v_and_or_b32 v6, 0x3fffff, v2, v6
	v_lshrrev_b32_e32 v2, 23, v2
	s_delay_alu instid0(VALU_DEP_3) | instskip(NEXT) | instid1(VALU_DEP_3)
	v_cmp_ne_u32_e32 vcc_lo, 0, v3
	v_cmp_ne_u32_e64 s0, 0, v6
	s_and_b32 s0, vcc_lo, s0
	s_delay_alu instid0(SALU_CYCLE_1) | instskip(NEXT) | instid1(VALU_DEP_1)
	v_cndmask_b32_e64 v3, 0, 1, s0
	v_add_nc_u32_e32 v3, v2, v3
.LBB7_1489:
	s_or_b32 exec_lo, exec_lo, s5
	s_mov_b32 s0, 0
	global_store_b8 v[4:5], v3, off
.LBB7_1490:
	s_mov_b32 s5, 0
.LBB7_1491:
	s_delay_alu instid0(SALU_CYCLE_1)
	s_and_b32 vcc_lo, exec_lo, s5
	s_cbranch_vccz .LBB7_1494
; %bb.1492:
	s_cmp_eq_u32 s4, 29
	s_mov_b32 s0, -1
	s_cbranch_scc0 .LBB7_1494
; %bb.1493:
	s_wait_xcnt 0x0
	v_trunc_f64_e32 v[2:3], v[0:1]
	s_mov_b32 s0, 0
	s_mov_b32 s5, 0
	s_delay_alu instid0(VALU_DEP_1) | instskip(NEXT) | instid1(VALU_DEP_1)
	v_ldexp_f64 v[6:7], v[2:3], 0xffffffe0
	v_floor_f64_e32 v[6:7], v[6:7]
	s_delay_alu instid0(VALU_DEP_1) | instskip(SKIP_1) | instid1(VALU_DEP_2)
	v_fmamk_f64 v[2:3], v[6:7], 0xc1f00000, v[2:3]
	v_cvt_u32_f64_e32 v7, v[6:7]
	v_cvt_u32_f64_e32 v6, v[2:3]
	global_store_b64 v[4:5], v[6:7], off
	s_branch .LBB7_1495
.LBB7_1494:
	s_mov_b32 s5, 0
.LBB7_1495:
	s_delay_alu instid0(SALU_CYCLE_1)
	s_and_b32 vcc_lo, exec_lo, s5
	s_cbranch_vccz .LBB7_1510
; %bb.1496:
	s_cmp_lt_i32 s4, 27
	s_mov_b32 s5, -1
	s_cbranch_scc1 .LBB7_1502
; %bb.1497:
	s_cmp_gt_i32 s4, 27
	s_cbranch_scc0 .LBB7_1499
; %bb.1498:
	s_wait_xcnt 0x0
	v_cvt_u32_f64_e32 v2, v[0:1]
	s_mov_b32 s5, 0
	global_store_b32 v[4:5], v2, off
.LBB7_1499:
	s_and_not1_b32 vcc_lo, exec_lo, s5
	s_cbranch_vccnz .LBB7_1501
; %bb.1500:
	s_wait_xcnt 0x0
	v_cvt_u32_f64_e32 v2, v[0:1]
	global_store_b16 v[4:5], v2, off
.LBB7_1501:
	s_mov_b32 s5, 0
.LBB7_1502:
	s_delay_alu instid0(SALU_CYCLE_1)
	s_and_not1_b32 vcc_lo, exec_lo, s5
	s_cbranch_vccnz .LBB7_1510
; %bb.1503:
	s_wait_xcnt 0x0
	v_cvt_f32_f64_e32 v2, v[0:1]
	v_mov_b32_e32 v6, 0x80
	s_mov_b32 s5, exec_lo
	s_delay_alu instid0(VALU_DEP_2) | instskip(NEXT) | instid1(VALU_DEP_1)
	v_and_b32_e32 v3, 0x7fffffff, v2
	v_cmpx_gt_u32_e32 0x43800000, v3
	s_cbranch_execz .LBB7_1509
; %bb.1504:
	v_cmp_lt_u32_e32 vcc_lo, 0x3bffffff, v3
                                        ; implicit-def: $vgpr3
	s_and_saveexec_b32 s9, vcc_lo
	s_delay_alu instid0(SALU_CYCLE_1)
	s_xor_b32 s9, exec_lo, s9
	s_cbranch_execz .LBB7_1651
; %bb.1505:
	v_bfe_u32 v3, v2, 20, 1
	s_mov_b32 s8, exec_lo
	s_delay_alu instid0(VALU_DEP_1) | instskip(NEXT) | instid1(VALU_DEP_1)
	v_add3_u32 v3, v2, v3, 0x487ffff
	v_lshrrev_b32_e32 v3, 20, v3
	s_and_not1_saveexec_b32 s9, s9
	s_cbranch_execnz .LBB7_1652
.LBB7_1506:
	s_or_b32 exec_lo, exec_lo, s9
	v_mov_b32_e32 v6, 0
	s_and_saveexec_b32 s9, s8
.LBB7_1507:
	v_lshrrev_b32_e32 v2, 24, v2
	s_delay_alu instid0(VALU_DEP_1)
	v_and_or_b32 v6, 0x80, v2, v3
.LBB7_1508:
	s_or_b32 exec_lo, exec_lo, s9
.LBB7_1509:
	s_delay_alu instid0(SALU_CYCLE_1)
	s_or_b32 exec_lo, exec_lo, s5
	global_store_b8 v[4:5], v6, off
.LBB7_1510:
	s_mov_b32 s5, 0
.LBB7_1511:
	s_delay_alu instid0(SALU_CYCLE_1)
	s_and_b32 vcc_lo, exec_lo, s5
	s_mov_b32 s5, 0
	s_cbranch_vccz .LBB7_1551
; %bb.1512:
	s_cmp_gt_i32 s4, 22
	s_mov_b32 s8, -1
	s_cbranch_scc0 .LBB7_1544
; %bb.1513:
	s_cmp_lt_i32 s4, 24
	s_cbranch_scc1 .LBB7_1533
; %bb.1514:
	s_cmp_gt_i32 s4, 24
	s_cbranch_scc0 .LBB7_1522
; %bb.1515:
	s_wait_xcnt 0x0
	v_cvt_f32_f64_e32 v2, v[0:1]
	v_mov_b32_e32 v6, 0x80
	s_mov_b32 s8, exec_lo
	s_delay_alu instid0(VALU_DEP_2) | instskip(NEXT) | instid1(VALU_DEP_1)
	v_and_b32_e32 v3, 0x7fffffff, v2
	v_cmpx_gt_u32_e32 0x47800000, v3
	s_cbranch_execz .LBB7_1521
; %bb.1516:
	v_cmp_lt_u32_e32 vcc_lo, 0x37ffffff, v3
	s_mov_b32 s9, 0
                                        ; implicit-def: $vgpr3
	s_and_saveexec_b32 s10, vcc_lo
	s_delay_alu instid0(SALU_CYCLE_1)
	s_xor_b32 s10, exec_lo, s10
	s_cbranch_execz .LBB7_1777
; %bb.1517:
	v_bfe_u32 v3, v2, 21, 1
	s_mov_b32 s9, exec_lo
	s_delay_alu instid0(VALU_DEP_1) | instskip(NEXT) | instid1(VALU_DEP_1)
	v_add3_u32 v3, v2, v3, 0x88fffff
	v_lshrrev_b32_e32 v3, 21, v3
	s_and_not1_saveexec_b32 s10, s10
	s_cbranch_execnz .LBB7_1778
.LBB7_1518:
	s_or_b32 exec_lo, exec_lo, s10
	v_mov_b32_e32 v6, 0
	s_and_saveexec_b32 s10, s9
.LBB7_1519:
	v_lshrrev_b32_e32 v2, 24, v2
	s_delay_alu instid0(VALU_DEP_1)
	v_and_or_b32 v6, 0x80, v2, v3
.LBB7_1520:
	s_or_b32 exec_lo, exec_lo, s10
.LBB7_1521:
	s_delay_alu instid0(SALU_CYCLE_1)
	s_or_b32 exec_lo, exec_lo, s8
	s_mov_b32 s8, 0
	global_store_b8 v[4:5], v6, off
.LBB7_1522:
	s_and_b32 vcc_lo, exec_lo, s8
	s_cbranch_vccz .LBB7_1532
; %bb.1523:
	s_wait_xcnt 0x0
	v_cvt_f32_f64_e32 v2, v[0:1]
	s_mov_b32 s8, exec_lo
                                        ; implicit-def: $vgpr3
	s_delay_alu instid0(VALU_DEP_1) | instskip(NEXT) | instid1(VALU_DEP_1)
	v_and_b32_e32 v6, 0x7fffffff, v2
	v_cmpx_gt_u32_e32 0x43f00000, v6
	s_xor_b32 s8, exec_lo, s8
	s_cbranch_execz .LBB7_1529
; %bb.1524:
	s_mov_b32 s9, exec_lo
                                        ; implicit-def: $vgpr3
	v_cmpx_lt_u32_e32 0x3c7fffff, v6
	s_xor_b32 s9, exec_lo, s9
; %bb.1525:
	v_bfe_u32 v3, v2, 20, 1
	s_delay_alu instid0(VALU_DEP_1) | instskip(NEXT) | instid1(VALU_DEP_1)
	v_add3_u32 v3, v2, v3, 0x407ffff
	v_and_b32_e32 v6, 0xff00000, v3
	v_lshrrev_b32_e32 v3, 20, v3
	s_delay_alu instid0(VALU_DEP_2) | instskip(NEXT) | instid1(VALU_DEP_2)
	v_cmp_ne_u32_e32 vcc_lo, 0x7f00000, v6
	v_cndmask_b32_e32 v3, 0x7e, v3, vcc_lo
; %bb.1526:
	s_and_not1_saveexec_b32 s9, s9
; %bb.1527:
	v_add_f32_e64 v3, 0x46800000, |v2|
; %bb.1528:
	s_or_b32 exec_lo, exec_lo, s9
                                        ; implicit-def: $vgpr6
.LBB7_1529:
	s_and_not1_saveexec_b32 s8, s8
; %bb.1530:
	v_mov_b32_e32 v3, 0x7f
	v_cmp_lt_u32_e32 vcc_lo, 0x7f800000, v6
	s_delay_alu instid0(VALU_DEP_2)
	v_cndmask_b32_e32 v3, 0x7e, v3, vcc_lo
; %bb.1531:
	s_or_b32 exec_lo, exec_lo, s8
	v_lshrrev_b32_e32 v2, 24, v2
	s_delay_alu instid0(VALU_DEP_1)
	v_and_or_b32 v2, 0x80, v2, v3
	global_store_b8 v[4:5], v2, off
.LBB7_1532:
	s_mov_b32 s8, 0
.LBB7_1533:
	s_delay_alu instid0(SALU_CYCLE_1)
	s_and_not1_b32 vcc_lo, exec_lo, s8
	s_cbranch_vccnz .LBB7_1543
; %bb.1534:
	s_wait_xcnt 0x0
	v_cvt_f32_f64_e32 v2, v[0:1]
	s_mov_b32 s8, exec_lo
                                        ; implicit-def: $vgpr3
	s_delay_alu instid0(VALU_DEP_1) | instskip(NEXT) | instid1(VALU_DEP_1)
	v_and_b32_e32 v6, 0x7fffffff, v2
	v_cmpx_gt_u32_e32 0x47800000, v6
	s_xor_b32 s8, exec_lo, s8
	s_cbranch_execz .LBB7_1540
; %bb.1535:
	s_mov_b32 s9, exec_lo
                                        ; implicit-def: $vgpr3
	v_cmpx_lt_u32_e32 0x387fffff, v6
	s_xor_b32 s9, exec_lo, s9
; %bb.1536:
	v_bfe_u32 v3, v2, 21, 1
	s_delay_alu instid0(VALU_DEP_1) | instskip(NEXT) | instid1(VALU_DEP_1)
	v_add3_u32 v3, v2, v3, 0x80fffff
	v_lshrrev_b32_e32 v3, 21, v3
; %bb.1537:
	s_and_not1_saveexec_b32 s9, s9
; %bb.1538:
	v_add_f32_e64 v3, 0x43000000, |v2|
; %bb.1539:
	s_or_b32 exec_lo, exec_lo, s9
                                        ; implicit-def: $vgpr6
.LBB7_1540:
	s_and_not1_saveexec_b32 s8, s8
; %bb.1541:
	v_mov_b32_e32 v3, 0x7f
	v_cmp_lt_u32_e32 vcc_lo, 0x7f800000, v6
	s_delay_alu instid0(VALU_DEP_2)
	v_cndmask_b32_e32 v3, 0x7c, v3, vcc_lo
; %bb.1542:
	s_or_b32 exec_lo, exec_lo, s8
	v_lshrrev_b32_e32 v2, 24, v2
	s_delay_alu instid0(VALU_DEP_1)
	v_and_or_b32 v2, 0x80, v2, v3
	global_store_b8 v[4:5], v2, off
.LBB7_1543:
	s_mov_b32 s8, 0
.LBB7_1544:
	s_delay_alu instid0(SALU_CYCLE_1)
	s_and_not1_b32 vcc_lo, exec_lo, s8
	s_mov_b32 s9, 0
	s_cbranch_vccnz .LBB7_1552
; %bb.1545:
	s_cmp_gt_i32 s4, 14
	s_mov_b32 s8, -1
	s_cbranch_scc0 .LBB7_1549
; %bb.1546:
	s_cmp_eq_u32 s4, 15
	s_mov_b32 s0, -1
	s_cbranch_scc0 .LBB7_1548
; %bb.1547:
	s_wait_xcnt 0x0
	v_cvt_f32_f64_e32 v2, v[0:1]
	s_mov_b32 s0, 0
	s_delay_alu instid0(VALU_DEP_1) | instskip(SKIP_1) | instid1(VALU_DEP_2)
	v_bfe_u32 v3, v2, 16, 1
	v_cmp_o_f32_e32 vcc_lo, v2, v2
	v_add3_u32 v3, v2, v3, 0x7fff
	s_delay_alu instid0(VALU_DEP_1) | instskip(NEXT) | instid1(VALU_DEP_1)
	v_lshrrev_b32_e32 v3, 16, v3
	v_cndmask_b32_e32 v2, 0x7fc0, v3, vcc_lo
	global_store_b16 v[4:5], v2, off
.LBB7_1548:
	s_mov_b32 s8, 0
.LBB7_1549:
	s_delay_alu instid0(SALU_CYCLE_1)
	s_and_b32 vcc_lo, exec_lo, s8
	s_cbranch_vccz .LBB7_1552
; %bb.1550:
	s_cmp_lg_u32 s4, 11
	s_mov_b32 s9, -1
	s_cselect_b32 s4, -1, 0
	s_and_not1_b32 s0, s0, exec_lo
	s_and_b32 s4, s4, exec_lo
	s_delay_alu instid0(SALU_CYCLE_1)
	s_or_b32 s0, s0, s4
	s_branch .LBB7_1552
.LBB7_1551:
	s_mov_b32 s9, 0
.LBB7_1552:
	s_and_b32 s8, s5, exec_lo
	s_and_not1_b32 s4, s38, exec_lo
	s_and_b32 s5, s0, exec_lo
	s_and_b32 s0, s9, exec_lo
	s_or_b32 s38, s4, s5
	s_wait_xcnt 0x0
	s_or_b32 exec_lo, exec_lo, s7
	s_and_saveexec_b32 s4, s38
	s_cbranch_execz .LBB7_1481
.LBB7_1553:
	s_or_b32 s1, s1, exec_lo
	s_and_not1_b32 s0, s0, exec_lo
	s_trap 2
	s_or_b32 exec_lo, exec_lo, s4
	s_and_saveexec_b32 s4, s0
	s_delay_alu instid0(SALU_CYCLE_1)
	s_xor_b32 s0, exec_lo, s4
	s_cbranch_execnz .LBB7_1482
.LBB7_1554:
	s_or_b32 exec_lo, exec_lo, s0
	s_and_saveexec_b32 s0, s8
	s_delay_alu instid0(SALU_CYCLE_1)
	s_xor_b32 s0, exec_lo, s0
	s_cbranch_execz .LBB7_1592
.LBB7_1555:
	s_sext_i32_i16 s5, s6
	s_mov_b32 s4, -1
	s_cmp_lt_i32 s5, 5
	s_cbranch_scc1 .LBB7_1576
; %bb.1556:
	s_cmp_lt_i32 s5, 8
	s_cbranch_scc1 .LBB7_1566
; %bb.1557:
	;; [unrolled: 3-line block ×3, first 2 shown]
	s_cmp_gt_i32 s5, 9
	s_cbranch_scc0 .LBB7_1560
; %bb.1559:
	s_wait_loadcnt 0x0
	v_mov_b32_e32 v2, 0
	s_mov_b32 s4, 0
	s_delay_alu instid0(VALU_DEP_1)
	v_mov_b32_e32 v3, v2
	global_store_b128 v[4:5], v[0:3], off
.LBB7_1560:
	s_and_not1_b32 vcc_lo, exec_lo, s4
	s_cbranch_vccnz .LBB7_1562
; %bb.1561:
	s_wait_loadcnt 0x0
	v_cvt_f32_f64_e32 v2, v[0:1]
	v_mov_b32_e32 v3, 0
	global_store_b64 v[4:5], v[2:3], off
.LBB7_1562:
	s_mov_b32 s4, 0
.LBB7_1563:
	s_delay_alu instid0(SALU_CYCLE_1)
	s_and_not1_b32 vcc_lo, exec_lo, s4
	s_cbranch_vccnz .LBB7_1565
; %bb.1564:
	s_wait_loadcnt 0x0
	v_and_or_b32 v2, 0x1ff, v1, v0
	v_lshrrev_b32_e32 v3, 8, v1
	v_bfe_u32 v6, v1, 20, 11
	s_delay_alu instid0(VALU_DEP_3) | instskip(NEXT) | instid1(VALU_DEP_2)
	v_cmp_ne_u32_e32 vcc_lo, 0, v2
	v_sub_nc_u32_e32 v7, 0x3f1, v6
	v_cndmask_b32_e64 v2, 0, 1, vcc_lo
	s_delay_alu instid0(VALU_DEP_1) | instskip(NEXT) | instid1(VALU_DEP_3)
	v_and_or_b32 v2, 0xffe, v3, v2
	v_med3_i32 v3, v7, 0, 13
	s_delay_alu instid0(VALU_DEP_2) | instskip(NEXT) | instid1(VALU_DEP_1)
	v_or_b32_e32 v7, 0x1000, v2
	v_lshrrev_b32_e32 v8, v3, v7
	s_delay_alu instid0(VALU_DEP_1) | instskip(NEXT) | instid1(VALU_DEP_1)
	v_lshlrev_b32_e32 v3, v3, v8
	v_cmp_ne_u32_e32 vcc_lo, v3, v7
	v_cndmask_b32_e64 v3, 0, 1, vcc_lo
	s_delay_alu instid0(VALU_DEP_1) | instskip(SKIP_1) | instid1(VALU_DEP_1)
	v_or_b32_e32 v3, v8, v3
	v_add_nc_u32_e32 v6, 0xfffffc10, v6
	v_lshl_or_b32 v7, v6, 12, v2
	v_cmp_gt_i32_e32 vcc_lo, 1, v6
	s_delay_alu instid0(VALU_DEP_2) | instskip(NEXT) | instid1(VALU_DEP_1)
	v_cndmask_b32_e32 v3, v7, v3, vcc_lo
	v_dual_lshrrev_b32 v3, 2, v3 :: v_dual_bitop2_b32 v7, 7, v3 bitop3:0x40
	s_delay_alu instid0(VALU_DEP_1) | instskip(SKIP_4) | instid1(VALU_DEP_2)
	v_cmp_lt_i32_e32 vcc_lo, 5, v7
	v_cndmask_b32_e64 v8, 0, 1, vcc_lo
	v_cmp_eq_u32_e32 vcc_lo, 3, v7
	v_cndmask_b32_e64 v7, 0, 1, vcc_lo
	v_cmp_ne_u32_e32 vcc_lo, 0, v2
	v_or_b32_e32 v7, v7, v8
	s_delay_alu instid0(VALU_DEP_1) | instskip(NEXT) | instid1(VALU_DEP_1)
	v_dual_mov_b32 v8, 0x7e00 :: v_dual_add_nc_u32 v3, v3, v7
	v_cndmask_b32_e32 v2, 0x7c00, v8, vcc_lo
	v_cmp_gt_i32_e32 vcc_lo, 31, v6
	v_lshrrev_b32_e32 v7, 16, v1
	s_delay_alu instid0(VALU_DEP_4) | instskip(SKIP_1) | instid1(VALU_DEP_2)
	v_cndmask_b32_e32 v3, 0x7c00, v3, vcc_lo
	v_cmp_eq_u32_e32 vcc_lo, 0x40f, v6
	v_cndmask_b32_e32 v2, v3, v2, vcc_lo
	s_delay_alu instid0(VALU_DEP_4) | instskip(NEXT) | instid1(VALU_DEP_1)
	v_and_b32_e32 v3, 0x8000, v7
	v_bitop3_b32 v2, v3, 0xffff, v2 bitop3:0xc8
	global_store_b32 v[4:5], v2, off
.LBB7_1565:
	s_mov_b32 s4, 0
.LBB7_1566:
	s_delay_alu instid0(SALU_CYCLE_1)
	s_and_not1_b32 vcc_lo, exec_lo, s4
	s_cbranch_vccnz .LBB7_1575
; %bb.1567:
	s_sext_i32_i16 s5, s6
	s_mov_b32 s4, -1
	s_cmp_lt_i32 s5, 6
	s_cbranch_scc1 .LBB7_1573
; %bb.1568:
	s_cmp_gt_i32 s5, 6
	s_cbranch_scc0 .LBB7_1570
; %bb.1569:
	s_mov_b32 s4, 0
	global_store_b64 v[4:5], v[0:1], off
.LBB7_1570:
	s_and_not1_b32 vcc_lo, exec_lo, s4
	s_cbranch_vccnz .LBB7_1572
; %bb.1571:
	s_wait_loadcnt 0x0
	v_cvt_f32_f64_e32 v2, v[0:1]
	global_store_b32 v[4:5], v2, off
.LBB7_1572:
	s_mov_b32 s4, 0
.LBB7_1573:
	s_delay_alu instid0(SALU_CYCLE_1)
	s_and_not1_b32 vcc_lo, exec_lo, s4
	s_cbranch_vccnz .LBB7_1575
; %bb.1574:
	s_wait_loadcnt 0x0
	v_and_or_b32 v2, 0x1ff, v1, v0
	v_lshrrev_b32_e32 v3, 8, v1
	v_bfe_u32 v6, v1, 20, 11
	s_delay_alu instid0(VALU_DEP_3) | instskip(NEXT) | instid1(VALU_DEP_2)
	v_cmp_ne_u32_e32 vcc_lo, 0, v2
	v_sub_nc_u32_e32 v7, 0x3f1, v6
	v_cndmask_b32_e64 v2, 0, 1, vcc_lo
	s_delay_alu instid0(VALU_DEP_1) | instskip(NEXT) | instid1(VALU_DEP_3)
	v_and_or_b32 v2, 0xffe, v3, v2
	v_med3_i32 v3, v7, 0, 13
	s_delay_alu instid0(VALU_DEP_2) | instskip(NEXT) | instid1(VALU_DEP_1)
	v_or_b32_e32 v7, 0x1000, v2
	v_lshrrev_b32_e32 v8, v3, v7
	s_delay_alu instid0(VALU_DEP_1) | instskip(NEXT) | instid1(VALU_DEP_1)
	v_lshlrev_b32_e32 v3, v3, v8
	v_cmp_ne_u32_e32 vcc_lo, v3, v7
	v_cndmask_b32_e64 v3, 0, 1, vcc_lo
	s_delay_alu instid0(VALU_DEP_1) | instskip(SKIP_1) | instid1(VALU_DEP_1)
	v_or_b32_e32 v3, v8, v3
	v_add_nc_u32_e32 v6, 0xfffffc10, v6
	v_lshl_or_b32 v7, v6, 12, v2
	v_cmp_gt_i32_e32 vcc_lo, 1, v6
	s_delay_alu instid0(VALU_DEP_2) | instskip(NEXT) | instid1(VALU_DEP_1)
	v_cndmask_b32_e32 v3, v7, v3, vcc_lo
	v_dual_lshrrev_b32 v3, 2, v3 :: v_dual_bitop2_b32 v7, 7, v3 bitop3:0x40
	s_delay_alu instid0(VALU_DEP_1) | instskip(SKIP_4) | instid1(VALU_DEP_2)
	v_cmp_lt_i32_e32 vcc_lo, 5, v7
	v_cndmask_b32_e64 v8, 0, 1, vcc_lo
	v_cmp_eq_u32_e32 vcc_lo, 3, v7
	v_cndmask_b32_e64 v7, 0, 1, vcc_lo
	v_cmp_ne_u32_e32 vcc_lo, 0, v2
	v_or_b32_e32 v7, v7, v8
	s_delay_alu instid0(VALU_DEP_1) | instskip(NEXT) | instid1(VALU_DEP_1)
	v_dual_mov_b32 v8, 0x7e00 :: v_dual_add_nc_u32 v3, v3, v7
	v_cndmask_b32_e32 v2, 0x7c00, v8, vcc_lo
	v_cmp_gt_i32_e32 vcc_lo, 31, v6
	s_delay_alu instid0(VALU_DEP_3) | instskip(SKIP_1) | instid1(VALU_DEP_2)
	v_cndmask_b32_e32 v3, 0x7c00, v3, vcc_lo
	v_cmp_eq_u32_e32 vcc_lo, 0x40f, v6
	v_dual_cndmask_b32 v2, v3, v2 :: v_dual_lshrrev_b32 v3, 16, v1
	s_delay_alu instid0(VALU_DEP_1)
	v_and_or_b32 v2, 0x8000, v3, v2
	global_store_b16 v[4:5], v2, off
.LBB7_1575:
	s_mov_b32 s4, 0
.LBB7_1576:
	s_delay_alu instid0(SALU_CYCLE_1)
	s_and_not1_b32 vcc_lo, exec_lo, s4
	s_cbranch_vccnz .LBB7_1592
; %bb.1577:
	s_sext_i32_i16 s5, s6
	s_mov_b32 s4, -1
	s_cmp_lt_i32 s5, 2
	s_cbranch_scc1 .LBB7_1587
; %bb.1578:
	s_cmp_lt_i32 s5, 3
	s_cbranch_scc1 .LBB7_1584
; %bb.1579:
	s_cmp_gt_i32 s5, 3
	s_cbranch_scc0 .LBB7_1581
; %bb.1580:
	s_wait_loadcnt 0x0
	v_trunc_f64_e32 v[2:3], v[0:1]
	s_mov_b32 s4, 0
	s_delay_alu instid0(VALU_DEP_1) | instskip(NEXT) | instid1(VALU_DEP_1)
	v_ldexp_f64 v[6:7], v[2:3], 0xffffffe0
	v_floor_f64_e32 v[6:7], v[6:7]
	s_delay_alu instid0(VALU_DEP_1) | instskip(SKIP_1) | instid1(VALU_DEP_2)
	v_fmamk_f64 v[2:3], v[6:7], 0xc1f00000, v[2:3]
	v_cvt_i32_f64_e32 v7, v[6:7]
	v_cvt_u32_f64_e32 v6, v[2:3]
	global_store_b64 v[4:5], v[6:7], off
.LBB7_1581:
	s_and_not1_b32 vcc_lo, exec_lo, s4
	s_cbranch_vccnz .LBB7_1583
; %bb.1582:
	s_wait_loadcnt 0x0
	v_cvt_i32_f64_e32 v2, v[0:1]
	global_store_b32 v[4:5], v2, off
.LBB7_1583:
	s_mov_b32 s4, 0
.LBB7_1584:
	s_delay_alu instid0(SALU_CYCLE_1)
	s_and_not1_b32 vcc_lo, exec_lo, s4
	s_cbranch_vccnz .LBB7_1586
; %bb.1585:
	s_wait_loadcnt 0x0
	v_cvt_i32_f64_e32 v2, v[0:1]
	global_store_b16 v[4:5], v2, off
.LBB7_1586:
	s_mov_b32 s4, 0
.LBB7_1587:
	s_delay_alu instid0(SALU_CYCLE_1)
	s_and_not1_b32 vcc_lo, exec_lo, s4
	s_cbranch_vccnz .LBB7_1592
; %bb.1588:
	s_sext_i32_i16 s4, s6
	s_delay_alu instid0(SALU_CYCLE_1)
	s_cmp_gt_i32 s4, 0
	s_mov_b32 s4, -1
	s_cbranch_scc0 .LBB7_1590
; %bb.1589:
	s_wait_loadcnt 0x0
	v_cvt_i32_f64_e32 v2, v[0:1]
	s_mov_b32 s4, 0
	global_store_b8 v[4:5], v2, off
.LBB7_1590:
	s_and_not1_b32 vcc_lo, exec_lo, s4
	s_cbranch_vccnz .LBB7_1592
; %bb.1591:
	s_wait_xcnt 0x0
	v_trunc_f64_e32 v[0:1], v[0:1]
	s_wait_loadcnt 0x0
	s_delay_alu instid0(VALU_DEP_1) | instskip(NEXT) | instid1(VALU_DEP_1)
	v_ldexp_f64 v[2:3], v[0:1], 0xffffffe0
	v_floor_f64_e32 v[2:3], v[2:3]
	s_delay_alu instid0(VALU_DEP_1) | instskip(NEXT) | instid1(VALU_DEP_1)
	v_fmamk_f64 v[0:1], v[2:3], 0xc1f00000, v[0:1]
	v_cvt_u32_f64_e32 v0, v[0:1]
	global_store_b8 v[4:5], v0, off
.LBB7_1592:
	s_wait_xcnt 0x0
	s_or_b32 exec_lo, exec_lo, s0
	s_delay_alu instid0(SALU_CYCLE_1)
	s_and_b32 s8, s1, exec_lo
                                        ; implicit-def: $vgpr3
                                        ; implicit-def: $vgpr4
.LBB7_1593:
	s_or_saveexec_b32 s9, s30
	s_mov_b32 s0, 0
                                        ; implicit-def: $vgpr6_vgpr7
                                        ; implicit-def: $sgpr1
                                        ; implicit-def: $vgpr0_vgpr1
	s_xor_b32 exec_lo, exec_lo, s9
	s_cbranch_execz .LBB7_3115
; %bb.1594:
	v_cndmask_b32_e64 v1, 0, 1, s29
	s_and_not1_b32 vcc_lo, exec_lo, s29
	s_cbranch_vccnz .LBB7_1600
; %bb.1595:
	s_cmp_lg_u32 s26, 0
	s_mov_b32 s4, 0
	s_cbranch_scc0 .LBB7_1604
; %bb.1596:
	s_min_u32 s5, s27, 15
	v_dual_mov_b32 v0, 0 :: v_dual_mov_b32 v5, v4
	s_wait_loadcnt 0x0
	v_dual_mov_b32 v2, 0 :: v_dual_mov_b32 v14, 0
	s_add_co_i32 s6, s5, 1
	s_mov_b64 s[0:1], 0xffffffffffffffe8
	s_and_b32 s6, s6, 30
	s_add_nc_u64 s[0:1], s[2:3], s[0:1]
.LBB7_1597:                             ; =>This Inner Loop Header: Depth=1
	s_clause 0x1
	s_load_b128 s[12:15], s[0:1], 0x1c
	s_load_b64 s[10:11], s[0:1], 0x2c
	s_add_co_i32 s6, s6, -2
	s_delay_alu instid0(SALU_CYCLE_1) | instskip(SKIP_2) | instid1(VALU_DEP_1)
	s_cmp_lg_u32 s6, 0
	s_wait_kmcnt 0x0
	v_mul_hi_u32 v6, s13, v5
	v_add_nc_u32_e32 v6, v5, v6
	s_delay_alu instid0(VALU_DEP_1) | instskip(NEXT) | instid1(VALU_DEP_1)
	v_lshrrev_b32_e32 v6, s14, v6
	v_mul_hi_u32 v7, s10, v6
	v_mul_lo_u32 v8, v6, s12
	s_clause 0x1
	s_load_b128 s[16:19], s[0:1], 0xdc
	s_load_b64 s[12:13], s[0:1], 0xec
	s_wait_xcnt 0x0
	s_add_nc_u64 s[0:1], s[0:1], 24
	s_delay_alu instid0(VALU_DEP_1) | instskip(NEXT) | instid1(VALU_DEP_1)
	v_dual_add_nc_u32 v7, v6, v7 :: v_dual_sub_nc_u32 v8, v5, v8
	v_lshrrev_b32_e32 v5, s11, v7
	s_wait_kmcnt 0x0
	s_delay_alu instid0(VALU_DEP_2) | instskip(NEXT) | instid1(VALU_DEP_2)
	v_mad_u32 v0, v8, s16, v0
	v_mul_lo_u32 v7, v5, s15
	v_mad_u32 v9, v8, s18, v14
	v_mad_u32 v2, v8, s17, v2
	s_delay_alu instid0(VALU_DEP_3) | instskip(NEXT) | instid1(VALU_DEP_1)
	v_sub_nc_u32_e32 v6, v6, v7
	v_mad_u32 v0, v6, s19, v0
	s_delay_alu instid0(VALU_DEP_4) | instskip(NEXT) | instid1(VALU_DEP_4)
	v_mad_u32 v14, v6, s13, v9
	v_mad_u32 v2, v6, s12, v2
	s_cbranch_scc1 .LBB7_1597
; %bb.1598:
	s_bitcmp1_b32 s5, 0
	s_cselect_b32 s5, -1, 0
	s_delay_alu instid0(SALU_CYCLE_1)
	s_and_b32 vcc_lo, exec_lo, s5
	s_cbranch_vccnz .LBB7_1601
; %bb.1599:
	s_clause 0x1
	s_load_b96 s[12:14], s[0:1], 0x1c
	s_load_b96 s[16:18], s[0:1], 0xdc
	s_wait_kmcnt 0x0
	v_mul_hi_u32 v6, s13, v5
	s_delay_alu instid0(VALU_DEP_1) | instskip(NEXT) | instid1(VALU_DEP_1)
	v_add_nc_u32_e32 v6, v5, v6
	v_lshrrev_b32_e32 v6, s14, v6
	s_delay_alu instid0(VALU_DEP_1) | instskip(NEXT) | instid1(VALU_DEP_1)
	v_mul_lo_u32 v6, v6, s12
	v_sub_nc_u32_e32 v5, v5, v6
	s_delay_alu instid0(VALU_DEP_1)
	v_mad_u32 v0, v5, s16, v0
	v_mad_u32 v2, v5, s17, v2
	;; [unrolled: 1-line block ×3, first 2 shown]
	s_and_not1_b32 vcc_lo, exec_lo, s4
	s_cbranch_vccz .LBB7_1602
	s_branch .LBB7_1605
.LBB7_1600:
	s_mov_b32 s4, -1
                                        ; implicit-def: $vgpr14
                                        ; implicit-def: $vgpr2
                                        ; implicit-def: $vgpr0
.LBB7_1601:
	s_delay_alu instid0(SALU_CYCLE_1)
	s_and_not1_b32 vcc_lo, exec_lo, s4
	s_cbranch_vccnz .LBB7_1605
.LBB7_1602:
	s_clause 0x1
	s_load_b96 s[4:6], s[2:3], 0x4
	s_load_b96 s[12:14], s[2:3], 0xc4
	s_cmp_lt_u32 s26, 2
	s_wait_kmcnt 0x0
	v_mul_hi_u32 v0, s5, v4
	s_delay_alu instid0(VALU_DEP_1) | instskip(NEXT) | instid1(VALU_DEP_1)
	v_add_nc_u32_e32 v0, v4, v0
	v_lshrrev_b32_e32 v5, s6, v0
	s_delay_alu instid0(VALU_DEP_1) | instskip(SKIP_1) | instid1(VALU_DEP_1)
	v_mul_lo_u32 v0, v5, s4
	s_wait_loadcnt 0x0
	v_sub_nc_u32_e32 v2, v4, v0
	s_delay_alu instid0(VALU_DEP_1)
	v_mul_lo_u32 v0, v2, s12
	v_mul_lo_u32 v14, v2, s14
	;; [unrolled: 1-line block ×3, first 2 shown]
	s_cbranch_scc1 .LBB7_1605
; %bb.1603:
	s_clause 0x1
	s_load_b96 s[4:6], s[2:3], 0x10
	s_load_b96 s[12:14], s[2:3], 0xd0
	s_wait_kmcnt 0x0
	v_mul_hi_u32 v6, s5, v5
	s_delay_alu instid0(VALU_DEP_1) | instskip(NEXT) | instid1(VALU_DEP_1)
	v_add_nc_u32_e32 v6, v5, v6
	v_lshrrev_b32_e32 v6, s6, v6
	s_delay_alu instid0(VALU_DEP_1) | instskip(NEXT) | instid1(VALU_DEP_1)
	v_mul_lo_u32 v6, v6, s4
	v_sub_nc_u32_e32 v5, v5, v6
	s_delay_alu instid0(VALU_DEP_1)
	v_mad_u32 v0, v5, s12, v0
	v_mad_u32 v2, v5, s13, v2
	;; [unrolled: 1-line block ×3, first 2 shown]
	s_branch .LBB7_1605
.LBB7_1604:
	s_wait_loadcnt 0x0
	v_dual_mov_b32 v14, 0 :: v_dual_mov_b32 v2, 0
	v_mov_b32_e32 v0, 0
	s_and_not1_b32 vcc_lo, exec_lo, s4
	s_cbranch_vccz .LBB7_1602
.LBB7_1605:
	v_cmp_ne_u32_e32 vcc_lo, 1, v1
	v_add_nc_u32_e32 v5, 0x80, v4
	s_cbranch_vccnz .LBB7_1611
; %bb.1606:
	s_cmp_lg_u32 s26, 0
	s_mov_b32 s4, 0
	s_cbranch_scc0 .LBB7_1615
; %bb.1607:
	s_min_u32 s5, s27, 15
	s_wait_loadcnt 0x0
	v_dual_mov_b32 v8, 0 :: v_dual_mov_b32 v6, v5
	v_dual_mov_b32 v12, 0 :: v_dual_mov_b32 v20, 0
	s_add_co_i32 s6, s5, 1
	s_mov_b64 s[0:1], 0xffffffffffffffe8
	s_and_b32 s6, s6, 30
	s_add_nc_u64 s[0:1], s[2:3], s[0:1]
.LBB7_1608:                             ; =>This Inner Loop Header: Depth=1
	s_clause 0x1
	s_load_b128 s[12:15], s[0:1], 0x1c
	s_load_b64 s[10:11], s[0:1], 0x2c
	s_add_co_i32 s6, s6, -2
	s_delay_alu instid0(SALU_CYCLE_1) | instskip(SKIP_2) | instid1(VALU_DEP_1)
	s_cmp_lg_u32 s6, 0
	s_wait_kmcnt 0x0
	v_mul_hi_u32 v7, s13, v6
	v_add_nc_u32_e32 v7, v6, v7
	s_delay_alu instid0(VALU_DEP_1) | instskip(NEXT) | instid1(VALU_DEP_1)
	v_lshrrev_b32_e32 v7, s14, v7
	v_mul_hi_u32 v9, s10, v7
	v_mul_lo_u32 v10, v7, s12
	s_clause 0x1
	s_load_b128 s[16:19], s[0:1], 0xdc
	s_load_b64 s[12:13], s[0:1], 0xec
	s_wait_xcnt 0x0
	s_add_nc_u64 s[0:1], s[0:1], 24
	s_delay_alu instid0(VALU_DEP_1) | instskip(NEXT) | instid1(VALU_DEP_1)
	v_dual_add_nc_u32 v9, v7, v9 :: v_dual_sub_nc_u32 v10, v6, v10
	v_lshrrev_b32_e32 v6, s11, v9
	s_wait_kmcnt 0x0
	s_delay_alu instid0(VALU_DEP_2) | instskip(NEXT) | instid1(VALU_DEP_2)
	v_mad_u32 v8, v10, s16, v8
	v_mul_lo_u32 v9, v6, s15
	v_mad_u32 v11, v10, s18, v20
	v_mad_u32 v10, v10, s17, v12
	s_delay_alu instid0(VALU_DEP_3) | instskip(NEXT) | instid1(VALU_DEP_1)
	v_sub_nc_u32_e32 v7, v7, v9
	v_mad_u32 v8, v7, s19, v8
	s_delay_alu instid0(VALU_DEP_4) | instskip(NEXT) | instid1(VALU_DEP_4)
	v_mad_u32 v20, v7, s13, v11
	v_mad_u32 v12, v7, s12, v10
	s_cbranch_scc1 .LBB7_1608
; %bb.1609:
	s_bitcmp1_b32 s5, 0
	s_cselect_b32 s5, -1, 0
	s_delay_alu instid0(SALU_CYCLE_1)
	s_and_b32 vcc_lo, exec_lo, s5
	s_cbranch_vccnz .LBB7_1612
; %bb.1610:
	s_clause 0x1
	s_load_b96 s[12:14], s[0:1], 0x1c
	s_load_b96 s[16:18], s[0:1], 0xdc
	s_wait_kmcnt 0x0
	v_mul_hi_u32 v7, s13, v6
	s_delay_alu instid0(VALU_DEP_1) | instskip(NEXT) | instid1(VALU_DEP_1)
	v_add_nc_u32_e32 v7, v6, v7
	v_lshrrev_b32_e32 v7, s14, v7
	s_delay_alu instid0(VALU_DEP_1) | instskip(NEXT) | instid1(VALU_DEP_1)
	v_mul_lo_u32 v7, v7, s12
	v_sub_nc_u32_e32 v6, v6, v7
	s_delay_alu instid0(VALU_DEP_1)
	v_mad_u32 v8, v6, s16, v8
	v_mad_u32 v12, v6, s17, v12
	;; [unrolled: 1-line block ×3, first 2 shown]
	s_and_not1_b32 vcc_lo, exec_lo, s4
	s_cbranch_vccz .LBB7_1613
	s_branch .LBB7_1616
.LBB7_1611:
	s_mov_b32 s4, -1
                                        ; implicit-def: $vgpr20
                                        ; implicit-def: $vgpr12
                                        ; implicit-def: $vgpr8
.LBB7_1612:
	s_delay_alu instid0(SALU_CYCLE_1)
	s_and_not1_b32 vcc_lo, exec_lo, s4
	s_cbranch_vccnz .LBB7_1616
.LBB7_1613:
	s_clause 0x1
	s_load_b96 s[4:6], s[2:3], 0x4
	s_load_b96 s[12:14], s[2:3], 0xc4
	s_cmp_lt_u32 s26, 2
	s_wait_loadcnt 0x0
	s_wait_kmcnt 0x0
	v_mul_hi_u32 v6, s5, v5
	s_delay_alu instid0(VALU_DEP_1) | instskip(NEXT) | instid1(VALU_DEP_1)
	v_add_nc_u32_e32 v6, v5, v6
	v_lshrrev_b32_e32 v6, s6, v6
	s_delay_alu instid0(VALU_DEP_1) | instskip(NEXT) | instid1(VALU_DEP_1)
	v_mul_lo_u32 v7, v6, s4
	v_sub_nc_u32_e32 v5, v5, v7
	s_delay_alu instid0(VALU_DEP_1)
	v_mul_lo_u32 v8, v5, s12
	v_mul_lo_u32 v20, v5, s14
	;; [unrolled: 1-line block ×3, first 2 shown]
	s_cbranch_scc1 .LBB7_1616
; %bb.1614:
	s_clause 0x1
	s_load_b96 s[4:6], s[2:3], 0x10
	s_load_b96 s[12:14], s[2:3], 0xd0
	s_wait_kmcnt 0x0
	v_mul_hi_u32 v5, s5, v6
	s_delay_alu instid0(VALU_DEP_1) | instskip(NEXT) | instid1(VALU_DEP_1)
	v_add_nc_u32_e32 v5, v6, v5
	v_lshrrev_b32_e32 v5, s6, v5
	s_delay_alu instid0(VALU_DEP_1) | instskip(NEXT) | instid1(VALU_DEP_1)
	v_mul_lo_u32 v5, v5, s4
	v_sub_nc_u32_e32 v5, v6, v5
	s_delay_alu instid0(VALU_DEP_1)
	v_mad_u32 v8, v5, s12, v8
	v_mad_u32 v12, v5, s13, v12
	;; [unrolled: 1-line block ×3, first 2 shown]
	s_branch .LBB7_1616
.LBB7_1615:
	v_dual_mov_b32 v20, 0 :: v_dual_mov_b32 v12, 0
	s_wait_loadcnt 0x0
	v_mov_b32_e32 v8, 0
	s_and_not1_b32 vcc_lo, exec_lo, s4
	s_cbranch_vccz .LBB7_1613
.LBB7_1616:
	v_cmp_ne_u32_e32 vcc_lo, 1, v1
	v_add_nc_u32_e32 v4, 0x100, v4
	s_cbranch_vccnz .LBB7_1622
; %bb.1617:
	s_cmp_lg_u32 s26, 0
	s_mov_b32 s4, 0
	s_cbranch_scc0 .LBB7_1626
; %bb.1618:
	s_min_u32 s5, s27, 15
	s_wait_loadcnt 0x0
	v_dual_mov_b32 v6, 0 :: v_dual_mov_b32 v5, v4
	v_dual_mov_b32 v18, 0 :: v_dual_mov_b32 v22, 0
	s_add_co_i32 s6, s5, 1
	s_mov_b64 s[0:1], 0xffffffffffffffe8
	s_and_b32 s6, s6, 30
	s_add_nc_u64 s[0:1], s[2:3], s[0:1]
.LBB7_1619:                             ; =>This Inner Loop Header: Depth=1
	s_clause 0x1
	s_load_b128 s[12:15], s[0:1], 0x1c
	s_load_b64 s[10:11], s[0:1], 0x2c
	s_add_co_i32 s6, s6, -2
	s_delay_alu instid0(SALU_CYCLE_1) | instskip(SKIP_2) | instid1(VALU_DEP_1)
	s_cmp_lg_u32 s6, 0
	s_wait_kmcnt 0x0
	v_mul_hi_u32 v7, s13, v5
	v_add_nc_u32_e32 v7, v5, v7
	s_delay_alu instid0(VALU_DEP_1) | instskip(NEXT) | instid1(VALU_DEP_1)
	v_lshrrev_b32_e32 v7, s14, v7
	v_mul_hi_u32 v9, s10, v7
	v_mul_lo_u32 v10, v7, s12
	s_clause 0x1
	s_load_b128 s[16:19], s[0:1], 0xdc
	s_load_b64 s[12:13], s[0:1], 0xec
	s_wait_xcnt 0x0
	s_add_nc_u64 s[0:1], s[0:1], 24
	s_delay_alu instid0(VALU_DEP_1) | instskip(NEXT) | instid1(VALU_DEP_1)
	v_dual_add_nc_u32 v9, v7, v9 :: v_dual_sub_nc_u32 v10, v5, v10
	v_lshrrev_b32_e32 v5, s11, v9
	s_wait_kmcnt 0x0
	s_delay_alu instid0(VALU_DEP_2) | instskip(NEXT) | instid1(VALU_DEP_2)
	v_mad_u32 v6, v10, s16, v6
	v_mul_lo_u32 v9, v5, s15
	v_mad_u32 v11, v10, s18, v22
	v_mad_u32 v10, v10, s17, v18
	s_delay_alu instid0(VALU_DEP_3) | instskip(NEXT) | instid1(VALU_DEP_1)
	v_sub_nc_u32_e32 v7, v7, v9
	v_mad_u32 v6, v7, s19, v6
	s_delay_alu instid0(VALU_DEP_4) | instskip(NEXT) | instid1(VALU_DEP_4)
	v_mad_u32 v22, v7, s13, v11
	v_mad_u32 v18, v7, s12, v10
	s_cbranch_scc1 .LBB7_1619
; %bb.1620:
	s_bitcmp1_b32 s5, 0
	s_cselect_b32 s5, -1, 0
	s_delay_alu instid0(SALU_CYCLE_1)
	s_and_b32 vcc_lo, exec_lo, s5
	s_cbranch_vccnz .LBB7_1623
; %bb.1621:
	s_clause 0x1
	s_load_b96 s[12:14], s[0:1], 0x1c
	s_load_b96 s[16:18], s[0:1], 0xdc
	s_wait_kmcnt 0x0
	v_mul_hi_u32 v7, s13, v5
	s_delay_alu instid0(VALU_DEP_1) | instskip(NEXT) | instid1(VALU_DEP_1)
	v_add_nc_u32_e32 v7, v5, v7
	v_lshrrev_b32_e32 v7, s14, v7
	s_delay_alu instid0(VALU_DEP_1) | instskip(NEXT) | instid1(VALU_DEP_1)
	v_mul_lo_u32 v7, v7, s12
	v_sub_nc_u32_e32 v5, v5, v7
	s_delay_alu instid0(VALU_DEP_1)
	v_mad_u32 v6, v5, s16, v6
	v_mad_u32 v18, v5, s17, v18
	;; [unrolled: 1-line block ×3, first 2 shown]
	s_and_not1_b32 vcc_lo, exec_lo, s4
	s_cbranch_vccz .LBB7_1624
	s_branch .LBB7_1627
.LBB7_1622:
	s_mov_b32 s4, -1
                                        ; implicit-def: $vgpr22
                                        ; implicit-def: $vgpr18
                                        ; implicit-def: $vgpr6
.LBB7_1623:
	s_delay_alu instid0(SALU_CYCLE_1)
	s_and_not1_b32 vcc_lo, exec_lo, s4
	s_cbranch_vccnz .LBB7_1627
.LBB7_1624:
	s_clause 0x1
	s_load_b96 s[4:6], s[2:3], 0x4
	s_load_b96 s[12:14], s[2:3], 0xc4
	s_cmp_lt_u32 s26, 2
	s_wait_kmcnt 0x0
	v_mul_hi_u32 v5, s5, v4
	s_delay_alu instid0(VALU_DEP_1) | instskip(NEXT) | instid1(VALU_DEP_1)
	v_add_nc_u32_e32 v5, v4, v5
	v_lshrrev_b32_e32 v5, s6, v5
	s_wait_loadcnt 0x0
	s_delay_alu instid0(VALU_DEP_1) | instskip(NEXT) | instid1(VALU_DEP_1)
	v_mul_lo_u32 v6, v5, s4
	v_sub_nc_u32_e32 v4, v4, v6
	s_delay_alu instid0(VALU_DEP_1)
	v_mul_lo_u32 v6, v4, s12
	v_mul_lo_u32 v22, v4, s14
	;; [unrolled: 1-line block ×3, first 2 shown]
	s_cbranch_scc1 .LBB7_1627
; %bb.1625:
	s_clause 0x1
	s_load_b96 s[4:6], s[2:3], 0x10
	s_load_b96 s[12:14], s[2:3], 0xd0
	s_wait_kmcnt 0x0
	v_mul_hi_u32 v4, s5, v5
	s_delay_alu instid0(VALU_DEP_1) | instskip(NEXT) | instid1(VALU_DEP_1)
	v_add_nc_u32_e32 v4, v5, v4
	v_lshrrev_b32_e32 v4, s6, v4
	s_delay_alu instid0(VALU_DEP_1) | instskip(NEXT) | instid1(VALU_DEP_1)
	v_mul_lo_u32 v4, v4, s4
	v_sub_nc_u32_e32 v4, v5, v4
	s_delay_alu instid0(VALU_DEP_1)
	v_mad_u32 v6, v4, s12, v6
	v_mad_u32 v18, v4, s13, v18
	;; [unrolled: 1-line block ×3, first 2 shown]
	s_branch .LBB7_1627
.LBB7_1626:
	v_dual_mov_b32 v22, 0 :: v_dual_mov_b32 v18, 0
	s_wait_loadcnt 0x0
	v_mov_b32_e32 v6, 0
	s_and_not1_b32 vcc_lo, exec_lo, s4
	s_cbranch_vccz .LBB7_1624
.LBB7_1627:
	v_cmp_ne_u32_e32 vcc_lo, 1, v1
	s_cbranch_vccnz .LBB7_1633
; %bb.1628:
	s_cmp_lg_u32 s26, 0
	s_mov_b32 s4, 0
	s_cbranch_scc0 .LBB7_1637
; %bb.1629:
	s_min_u32 s5, s27, 15
	s_wait_loadcnt 0x0
	v_dual_mov_b32 v4, 0 :: v_dual_mov_b32 v1, v3
	v_dual_mov_b32 v16, 0 :: v_dual_mov_b32 v10, 0
	s_add_co_i32 s6, s5, 1
	s_mov_b64 s[0:1], 0xffffffffffffffe8
	s_and_b32 s6, s6, 30
	s_add_nc_u64 s[0:1], s[2:3], s[0:1]
.LBB7_1630:                             ; =>This Inner Loop Header: Depth=1
	s_clause 0x1
	s_load_b128 s[12:15], s[0:1], 0x1c
	s_load_b64 s[10:11], s[0:1], 0x2c
	s_add_co_i32 s6, s6, -2
	s_delay_alu instid0(SALU_CYCLE_1) | instskip(SKIP_2) | instid1(VALU_DEP_1)
	s_cmp_lg_u32 s6, 0
	s_wait_kmcnt 0x0
	v_mul_hi_u32 v5, s13, v1
	v_add_nc_u32_e32 v5, v1, v5
	s_delay_alu instid0(VALU_DEP_1) | instskip(NEXT) | instid1(VALU_DEP_1)
	v_lshrrev_b32_e32 v5, s14, v5
	v_mul_hi_u32 v7, s10, v5
	v_mul_lo_u32 v9, v5, s12
	s_clause 0x1
	s_load_b128 s[16:19], s[0:1], 0xdc
	s_load_b64 s[12:13], s[0:1], 0xec
	s_wait_xcnt 0x0
	s_add_nc_u64 s[0:1], s[0:1], 24
	s_delay_alu instid0(VALU_DEP_2) | instskip(NEXT) | instid1(VALU_DEP_1)
	v_add_nc_u32_e32 v7, v5, v7
	v_dual_sub_nc_u32 v9, v1, v9 :: v_dual_lshrrev_b32 v1, s11, v7
	s_wait_kmcnt 0x0
	s_delay_alu instid0(VALU_DEP_1) | instskip(NEXT) | instid1(VALU_DEP_2)
	v_mad_u32 v4, v9, s16, v4
	v_mul_lo_u32 v7, v1, s15
	v_mad_u32 v10, v9, s18, v10
	v_mad_u32 v9, v9, s17, v16
	s_delay_alu instid0(VALU_DEP_3) | instskip(NEXT) | instid1(VALU_DEP_1)
	v_sub_nc_u32_e32 v5, v5, v7
	v_mad_u32 v4, v5, s19, v4
	s_delay_alu instid0(VALU_DEP_4) | instskip(NEXT) | instid1(VALU_DEP_4)
	v_mad_u32 v10, v5, s13, v10
	v_mad_u32 v16, v5, s12, v9
	s_cbranch_scc1 .LBB7_1630
; %bb.1631:
	s_bitcmp1_b32 s5, 0
	s_cselect_b32 s5, -1, 0
	s_delay_alu instid0(SALU_CYCLE_1)
	s_and_b32 vcc_lo, exec_lo, s5
	s_cbranch_vccnz .LBB7_1634
; %bb.1632:
	s_clause 0x1
	s_load_b96 s[12:14], s[0:1], 0x1c
	s_load_b96 s[16:18], s[0:1], 0xdc
	s_wait_kmcnt 0x0
	v_mul_hi_u32 v5, s13, v1
	s_delay_alu instid0(VALU_DEP_1) | instskip(NEXT) | instid1(VALU_DEP_1)
	v_add_nc_u32_e32 v5, v1, v5
	v_lshrrev_b32_e32 v5, s14, v5
	s_delay_alu instid0(VALU_DEP_1) | instskip(NEXT) | instid1(VALU_DEP_1)
	v_mul_lo_u32 v5, v5, s12
	v_sub_nc_u32_e32 v1, v1, v5
	s_delay_alu instid0(VALU_DEP_1)
	v_mad_u32 v4, v1, s16, v4
	v_mad_u32 v16, v1, s17, v16
	;; [unrolled: 1-line block ×3, first 2 shown]
	s_and_not1_b32 vcc_lo, exec_lo, s4
	s_cbranch_vccz .LBB7_1635
	s_branch .LBB7_1638
.LBB7_1633:
	s_mov_b32 s4, -1
                                        ; implicit-def: $vgpr10
                                        ; implicit-def: $vgpr16
                                        ; implicit-def: $vgpr4
.LBB7_1634:
	s_delay_alu instid0(SALU_CYCLE_1)
	s_and_not1_b32 vcc_lo, exec_lo, s4
	s_cbranch_vccnz .LBB7_1638
.LBB7_1635:
	s_clause 0x1
	s_load_b96 s[4:6], s[2:3], 0x4
	s_load_b96 s[12:14], s[2:3], 0xc4
	s_cmp_lt_u32 s26, 2
	s_wait_loadcnt 0x0
	s_wait_kmcnt 0x0
	v_mul_hi_u32 v1, s5, v3
	s_delay_alu instid0(VALU_DEP_1) | instskip(NEXT) | instid1(VALU_DEP_1)
	v_add_nc_u32_e32 v1, v3, v1
	v_lshrrev_b32_e32 v1, s6, v1
	s_delay_alu instid0(VALU_DEP_1) | instskip(NEXT) | instid1(VALU_DEP_1)
	v_mul_lo_u32 v4, v1, s4
	v_sub_nc_u32_e32 v3, v3, v4
	s_delay_alu instid0(VALU_DEP_1)
	v_mul_lo_u32 v4, v3, s12
	v_mul_lo_u32 v10, v3, s14
	;; [unrolled: 1-line block ×3, first 2 shown]
	s_cbranch_scc1 .LBB7_1638
; %bb.1636:
	s_clause 0x1
	s_load_b96 s[4:6], s[2:3], 0x10
	s_load_b96 s[12:14], s[2:3], 0xd0
	s_wait_kmcnt 0x0
	v_mul_hi_u32 v3, s5, v1
	s_delay_alu instid0(VALU_DEP_1) | instskip(NEXT) | instid1(VALU_DEP_1)
	v_add_nc_u32_e32 v3, v1, v3
	v_lshrrev_b32_e32 v3, s6, v3
	s_delay_alu instid0(VALU_DEP_1) | instskip(NEXT) | instid1(VALU_DEP_1)
	v_mul_lo_u32 v3, v3, s4
	v_sub_nc_u32_e32 v1, v1, v3
	s_delay_alu instid0(VALU_DEP_1)
	v_mad_u32 v4, v1, s12, v4
	v_mad_u32 v16, v1, s13, v16
	;; [unrolled: 1-line block ×3, first 2 shown]
	s_branch .LBB7_1638
.LBB7_1637:
	v_dual_mov_b32 v10, 0 :: v_dual_mov_b32 v16, 0
	v_mov_b32_e32 v4, 0
	s_and_not1_b32 vcc_lo, exec_lo, s4
	s_cbranch_vccz .LBB7_1635
.LBB7_1638:
	s_wait_loadcnt 0x0
	v_mov_b32_e32 v3, 0
	s_load_b128 s[4:7], s[2:3], 0x188
	global_load_u8 v1, v3, s[2:3] offset:418
	s_wait_kmcnt 0x0
	v_add_nc_u64_e32 v[24:25], s[6:7], v[2:3]
	s_wait_loadcnt 0x0
	v_and_b32_e32 v5, 0xffff, v1
	v_readfirstlane_b32 s11, v1
	s_delay_alu instid0(VALU_DEP_2)
	v_cmp_gt_i32_e32 vcc_lo, 11, v5
	s_cbranch_vccnz .LBB7_1645
; %bb.1639:
	s_and_b32 s0, 0xffff, s11
	s_mov_b32 s12, 0
	s_cmp_gt_i32 s0, 25
	s_cbranch_scc0 .LBB7_1647
; %bb.1640:
	s_cmp_gt_i32 s0, 28
	s_cbranch_scc0 .LBB7_1648
; %bb.1641:
	;; [unrolled: 3-line block ×4, first 2 shown]
	s_cmp_eq_u32 s0, 46
	s_mov_b32 s10, 0
	s_cbranch_scc0 .LBB7_1653
; %bb.1644:
	global_load_b32 v1, v[24:25], off
	s_mov_b32 s1, 0
	s_mov_b32 s13, -1
	s_wait_loadcnt 0x0
	v_lshlrev_b32_e32 v1, 16, v1
	s_wait_xcnt 0x1
	s_delay_alu instid0(VALU_DEP_1)
	v_cvt_f64_f32_e32 v[2:3], v1
	s_branch .LBB7_1655
.LBB7_1645:
	s_mov_b32 s13, 0
	s_mov_b32 s10, s8
                                        ; implicit-def: $vgpr2_vgpr3
	s_cbranch_execnz .LBB7_1718
.LBB7_1646:
	s_and_not1_b32 vcc_lo, exec_lo, s13
	s_cbranch_vccz .LBB7_1763
	s_branch .LBB7_3113
.LBB7_1647:
	s_mov_b32 s13, 0
	s_mov_b32 s1, 0
                                        ; implicit-def: $vgpr2_vgpr3
	s_cbranch_execnz .LBB7_1683
	s_branch .LBB7_1714
.LBB7_1648:
	s_mov_b32 s10, -1
	s_mov_b32 s13, 0
	s_mov_b32 s1, 0
                                        ; implicit-def: $vgpr2_vgpr3
	s_branch .LBB7_1664
.LBB7_1649:
	s_mov_b32 s13, 0
	s_mov_b32 s1, 0
                                        ; implicit-def: $vgpr2_vgpr3
	s_cbranch_execnz .LBB7_1660
	s_branch .LBB7_1663
.LBB7_1650:
	s_mov_b32 s10, -1
	s_mov_b32 s13, 0
	s_mov_b32 s1, 0
	s_branch .LBB7_1654
.LBB7_1651:
	s_and_not1_saveexec_b32 s9, s9
	s_cbranch_execz .LBB7_1506
.LBB7_1652:
	v_add_f32_e64 v3, 0x46000000, |v2|
	s_and_not1_b32 s8, s8, exec_lo
	s_delay_alu instid0(VALU_DEP_1) | instskip(NEXT) | instid1(VALU_DEP_1)
	v_and_b32_e32 v3, 0xff, v3
	v_cmp_ne_u32_e32 vcc_lo, 0, v3
	s_and_b32 s10, vcc_lo, exec_lo
	s_delay_alu instid0(SALU_CYCLE_1)
	s_or_b32 s8, s8, s10
	s_or_b32 exec_lo, exec_lo, s9
	v_mov_b32_e32 v6, 0
	s_and_saveexec_b32 s9, s8
	s_cbranch_execnz .LBB7_1507
	s_branch .LBB7_1508
.LBB7_1653:
	s_mov_b32 s1, -1
	s_mov_b32 s13, 0
.LBB7_1654:
                                        ; implicit-def: $vgpr2_vgpr3
.LBB7_1655:
	s_and_b32 vcc_lo, exec_lo, s10
	s_cbranch_vccz .LBB7_1658
; %bb.1656:
	s_cmp_eq_u32 s0, 44
	s_cbranch_scc0 .LBB7_1659
; %bb.1657:
	global_load_u8 v1, v[24:25], off
	s_mov_b32 s1, 0
	s_mov_b32 s13, -1
	s_wait_loadcnt 0x0
	v_cmp_ne_u32_e32 vcc_lo, 0xff, v1
	v_lshlrev_b32_e32 v2, 23, v1
	s_wait_xcnt 0x1
	s_delay_alu instid0(VALU_DEP_1) | instskip(NEXT) | instid1(VALU_DEP_1)
	v_cvt_f64_f32_e32 v[2:3], v2
	v_cndmask_b32_e32 v2, 0x20000000, v2, vcc_lo
	s_delay_alu instid0(VALU_DEP_2) | instskip(SKIP_1) | instid1(VALU_DEP_2)
	v_cndmask_b32_e32 v3, 0x7ff80000, v3, vcc_lo
	v_cmp_ne_u32_e32 vcc_lo, 0, v1
	v_cndmask_b32_e32 v3, 0x38000000, v3, vcc_lo
	s_delay_alu instid0(VALU_DEP_4)
	v_cndmask_b32_e32 v2, 0, v2, vcc_lo
.LBB7_1658:
	s_branch .LBB7_1663
.LBB7_1659:
	s_mov_b32 s1, -1
                                        ; implicit-def: $vgpr2_vgpr3
	s_branch .LBB7_1663
.LBB7_1660:
	s_cmp_eq_u32 s0, 29
	s_cbranch_scc0 .LBB7_1662
; %bb.1661:
	global_load_b64 v[2:3], v[24:25], off
	s_mov_b32 s1, 0
	s_mov_b32 s13, -1
	s_mov_b32 s10, 0
	s_wait_loadcnt 0x0
	v_cvt_f64_u32_e32 v[26:27], v3
	v_cvt_f64_u32_e32 v[2:3], v2
	s_delay_alu instid0(VALU_DEP_2) | instskip(NEXT) | instid1(VALU_DEP_1)
	v_ldexp_f64 v[26:27], v[26:27], 32
	v_add_f64_e32 v[2:3], v[26:27], v[2:3]
	s_branch .LBB7_1664
.LBB7_1662:
	s_mov_b32 s1, -1
                                        ; implicit-def: $vgpr2_vgpr3
.LBB7_1663:
	s_mov_b32 s10, 0
.LBB7_1664:
	s_delay_alu instid0(SALU_CYCLE_1)
	s_and_b32 vcc_lo, exec_lo, s10
	s_cbranch_vccz .LBB7_1682
; %bb.1665:
	s_cmp_lt_i32 s0, 27
	s_cbranch_scc1 .LBB7_1668
; %bb.1666:
	s_cmp_gt_i32 s0, 27
	s_cbranch_scc0 .LBB7_1669
; %bb.1667:
	global_load_b32 v1, v[24:25], off
	s_mov_b32 s10, 0
	s_wait_loadcnt 0x0
	s_wait_xcnt 0x1
	v_cvt_f64_u32_e32 v[2:3], v1
	s_branch .LBB7_1670
.LBB7_1668:
	s_mov_b32 s10, -1
                                        ; implicit-def: $vgpr2_vgpr3
	s_branch .LBB7_1673
.LBB7_1669:
	s_mov_b32 s10, -1
                                        ; implicit-def: $vgpr2_vgpr3
.LBB7_1670:
	s_delay_alu instid0(SALU_CYCLE_1)
	s_and_not1_b32 vcc_lo, exec_lo, s10
	s_cbranch_vccnz .LBB7_1672
; %bb.1671:
	global_load_u16 v1, v[24:25], off
	s_wait_loadcnt 0x0
	s_wait_xcnt 0x1
	v_cvt_f64_u32_e32 v[2:3], v1
.LBB7_1672:
	s_mov_b32 s10, 0
.LBB7_1673:
	s_delay_alu instid0(SALU_CYCLE_1)
	s_and_not1_b32 vcc_lo, exec_lo, s10
	s_cbranch_vccnz .LBB7_1681
; %bb.1674:
	global_load_u8 v1, v[24:25], off
	s_mov_b32 s10, 0
	s_mov_b32 s13, exec_lo
	s_wait_loadcnt 0x0
	v_cmpx_lt_i16_e32 0x7f, v1
	s_xor_b32 s13, exec_lo, s13
	s_cbranch_execz .LBB7_1694
; %bb.1675:
	s_mov_b32 s10, -1
	s_mov_b32 s14, exec_lo
	v_cmpx_eq_u16_e32 0x80, v1
; %bb.1676:
	s_xor_b32 s10, exec_lo, -1
; %bb.1677:
	s_or_b32 exec_lo, exec_lo, s14
	s_delay_alu instid0(SALU_CYCLE_1)
	s_and_b32 s10, s10, exec_lo
	s_or_saveexec_b32 s13, s13
	v_mov_b64_e32 v[2:3], 0x7ff8000020000000
	s_xor_b32 exec_lo, exec_lo, s13
	s_cbranch_execnz .LBB7_1695
.LBB7_1678:
	s_or_b32 exec_lo, exec_lo, s13
	s_and_saveexec_b32 s13, s10
	s_cbranch_execz .LBB7_1680
.LBB7_1679:
	v_and_b32_e32 v2, 0xffff, v1
	s_delay_alu instid0(VALU_DEP_1) | instskip(SKIP_1) | instid1(VALU_DEP_2)
	v_and_b32_e32 v3, 7, v2
	v_bfe_u32 v9, v2, 3, 4
	v_clz_i32_u32_e32 v5, v3
	s_delay_alu instid0(VALU_DEP_2) | instskip(NEXT) | instid1(VALU_DEP_2)
	v_cmp_eq_u32_e32 vcc_lo, 0, v9
	v_min_u32_e32 v5, 32, v5
	s_delay_alu instid0(VALU_DEP_1) | instskip(NEXT) | instid1(VALU_DEP_1)
	v_subrev_nc_u32_e32 v7, 28, v5
	v_dual_lshlrev_b32 v2, v7, v2 :: v_dual_sub_nc_u32 v5, 29, v5
	s_delay_alu instid0(VALU_DEP_1) | instskip(NEXT) | instid1(VALU_DEP_1)
	v_dual_lshlrev_b32 v1, 24, v1 :: v_dual_bitop2_b32 v2, 7, v2 bitop3:0x40
	v_dual_cndmask_b32 v2, v3, v2 :: v_dual_cndmask_b32 v5, v9, v5
	s_delay_alu instid0(VALU_DEP_2) | instskip(NEXT) | instid1(VALU_DEP_2)
	v_and_b32_e32 v1, 0x80000000, v1
	v_lshlrev_b32_e32 v2, 20, v2
	s_delay_alu instid0(VALU_DEP_3) | instskip(NEXT) | instid1(VALU_DEP_1)
	v_lshl_add_u32 v3, v5, 23, 0x3b800000
	v_or3_b32 v1, v1, v3, v2
	s_delay_alu instid0(VALU_DEP_1)
	v_cvt_f64_f32_e32 v[2:3], v1
.LBB7_1680:
	s_or_b32 exec_lo, exec_lo, s13
.LBB7_1681:
	s_mov_b32 s13, -1
.LBB7_1682:
	s_branch .LBB7_1714
.LBB7_1683:
	s_cmp_gt_i32 s0, 22
	s_cbranch_scc0 .LBB7_1693
; %bb.1684:
	s_cmp_lt_i32 s0, 24
	s_cbranch_scc1 .LBB7_1696
; %bb.1685:
	s_cmp_gt_i32 s0, 24
	s_cbranch_scc0 .LBB7_1697
; %bb.1686:
	global_load_u8 v1, v[24:25], off
	s_mov_b32 s10, 0
	s_mov_b32 s12, exec_lo
	s_wait_loadcnt 0x0
	v_cmpx_lt_i16_e32 0x7f, v1
	s_xor_b32 s12, exec_lo, s12
	s_cbranch_execz .LBB7_1708
; %bb.1687:
	s_mov_b32 s10, -1
	s_mov_b32 s13, exec_lo
	v_cmpx_eq_u16_e32 0x80, v1
; %bb.1688:
	s_xor_b32 s10, exec_lo, -1
; %bb.1689:
	s_or_b32 exec_lo, exec_lo, s13
	s_delay_alu instid0(SALU_CYCLE_1)
	s_and_b32 s10, s10, exec_lo
	s_or_saveexec_b32 s12, s12
	v_mov_b64_e32 v[2:3], 0x7ff8000020000000
	s_xor_b32 exec_lo, exec_lo, s12
	s_cbranch_execnz .LBB7_1709
.LBB7_1690:
	s_or_b32 exec_lo, exec_lo, s12
	s_and_saveexec_b32 s12, s10
	s_cbranch_execz .LBB7_1692
.LBB7_1691:
	v_and_b32_e32 v2, 0xffff, v1
	s_delay_alu instid0(VALU_DEP_1) | instskip(SKIP_1) | instid1(VALU_DEP_2)
	v_and_b32_e32 v3, 3, v2
	v_bfe_u32 v9, v2, 2, 5
	v_clz_i32_u32_e32 v5, v3
	s_delay_alu instid0(VALU_DEP_2) | instskip(NEXT) | instid1(VALU_DEP_2)
	v_cmp_eq_u32_e32 vcc_lo, 0, v9
	v_min_u32_e32 v5, 32, v5
	s_delay_alu instid0(VALU_DEP_1) | instskip(NEXT) | instid1(VALU_DEP_1)
	v_subrev_nc_u32_e32 v7, 29, v5
	v_dual_lshlrev_b32 v2, v7, v2 :: v_dual_sub_nc_u32 v5, 30, v5
	s_delay_alu instid0(VALU_DEP_1) | instskip(NEXT) | instid1(VALU_DEP_1)
	v_dual_lshlrev_b32 v1, 24, v1 :: v_dual_bitop2_b32 v2, 3, v2 bitop3:0x40
	v_dual_cndmask_b32 v2, v3, v2 :: v_dual_cndmask_b32 v5, v9, v5
	s_delay_alu instid0(VALU_DEP_2) | instskip(NEXT) | instid1(VALU_DEP_2)
	v_and_b32_e32 v1, 0x80000000, v1
	v_lshlrev_b32_e32 v2, 21, v2
	s_delay_alu instid0(VALU_DEP_3) | instskip(NEXT) | instid1(VALU_DEP_1)
	v_lshl_add_u32 v3, v5, 23, 0x37800000
	v_or3_b32 v1, v1, v3, v2
	s_delay_alu instid0(VALU_DEP_1)
	v_cvt_f64_f32_e32 v[2:3], v1
.LBB7_1692:
	s_or_b32 exec_lo, exec_lo, s12
	s_mov_b32 s10, 0
	s_branch .LBB7_1698
.LBB7_1693:
                                        ; implicit-def: $vgpr2_vgpr3
	s_mov_b32 s12, 0
	s_branch .LBB7_1704
.LBB7_1694:
	s_or_saveexec_b32 s13, s13
	v_mov_b64_e32 v[2:3], 0x7ff8000020000000
	s_xor_b32 exec_lo, exec_lo, s13
	s_cbranch_execz .LBB7_1678
.LBB7_1695:
	v_cmp_ne_u16_e32 vcc_lo, 0, v1
	v_mov_b64_e32 v[2:3], 0
	s_and_not1_b32 s10, s10, exec_lo
	s_and_b32 s14, vcc_lo, exec_lo
	s_delay_alu instid0(SALU_CYCLE_1)
	s_or_b32 s10, s10, s14
	s_or_b32 exec_lo, exec_lo, s13
	s_and_saveexec_b32 s13, s10
	s_cbranch_execnz .LBB7_1679
	s_branch .LBB7_1680
.LBB7_1696:
	s_mov_b32 s10, -1
                                        ; implicit-def: $vgpr2_vgpr3
	s_branch .LBB7_1701
.LBB7_1697:
	s_mov_b32 s10, -1
                                        ; implicit-def: $vgpr2_vgpr3
.LBB7_1698:
	s_delay_alu instid0(SALU_CYCLE_1)
	s_and_b32 vcc_lo, exec_lo, s10
	s_cbranch_vccz .LBB7_1700
; %bb.1699:
	global_load_u8 v1, v[24:25], off
	s_wait_loadcnt 0x0
	v_lshlrev_b32_e32 v1, 24, v1
	s_delay_alu instid0(VALU_DEP_1) | instskip(SKIP_1) | instid1(VALU_DEP_1)
	v_and_b32_e32 v2, 0x7f000000, v1
	s_wait_xcnt 0x1
	v_clz_i32_u32_e32 v3, v2
	v_cmp_ne_u32_e32 vcc_lo, 0, v2
	v_add_nc_u32_e32 v7, 0x1000000, v2
	s_delay_alu instid0(VALU_DEP_3) | instskip(NEXT) | instid1(VALU_DEP_1)
	v_min_u32_e32 v3, 32, v3
	v_sub_nc_u32_e64 v3, v3, 4 clamp
	s_delay_alu instid0(VALU_DEP_1) | instskip(NEXT) | instid1(VALU_DEP_1)
	v_dual_lshlrev_b32 v5, v3, v2 :: v_dual_lshlrev_b32 v3, 23, v3
	v_lshrrev_b32_e32 v5, 4, v5
	s_delay_alu instid0(VALU_DEP_1) | instskip(SKIP_1) | instid1(VALU_DEP_2)
	v_sub_nc_u32_e32 v3, v5, v3
	v_ashrrev_i32_e32 v5, 8, v7
	v_add_nc_u32_e32 v3, 0x3c000000, v3
	s_delay_alu instid0(VALU_DEP_1) | instskip(NEXT) | instid1(VALU_DEP_1)
	v_and_or_b32 v3, 0x7f800000, v5, v3
	v_cndmask_b32_e32 v2, 0, v3, vcc_lo
	s_delay_alu instid0(VALU_DEP_1) | instskip(NEXT) | instid1(VALU_DEP_1)
	v_and_or_b32 v1, 0x80000000, v1, v2
	v_cvt_f64_f32_e32 v[2:3], v1
.LBB7_1700:
	s_mov_b32 s10, 0
.LBB7_1701:
	s_delay_alu instid0(SALU_CYCLE_1)
	s_and_not1_b32 vcc_lo, exec_lo, s10
	s_cbranch_vccnz .LBB7_1703
; %bb.1702:
	global_load_u8 v1, v[24:25], off
	s_wait_loadcnt 0x0
	v_lshlrev_b32_e32 v2, 25, v1
	v_lshlrev_b16 v1, 8, v1
	s_delay_alu instid0(VALU_DEP_1) | instskip(SKIP_1) | instid1(VALU_DEP_3)
	v_and_or_b32 v5, 0x7f00, v1, 0.5
	s_wait_xcnt 0x1
	v_lshrrev_b32_e32 v3, 4, v2
	v_bfe_i32 v1, v1, 0, 16
	s_delay_alu instid0(VALU_DEP_3) | instskip(NEXT) | instid1(VALU_DEP_3)
	v_add_f32_e32 v5, -0.5, v5
	v_or_b32_e32 v3, 0x70000000, v3
	s_delay_alu instid0(VALU_DEP_1) | instskip(SKIP_1) | instid1(VALU_DEP_2)
	v_mul_f32_e32 v3, 0x7800000, v3
	v_cmp_gt_u32_e32 vcc_lo, 0x8000000, v2
	v_cndmask_b32_e32 v2, v3, v5, vcc_lo
	s_delay_alu instid0(VALU_DEP_1) | instskip(NEXT) | instid1(VALU_DEP_1)
	v_and_or_b32 v1, 0x80000000, v1, v2
	v_cvt_f64_f32_e32 v[2:3], v1
.LBB7_1703:
	s_mov_b32 s13, -1
	s_mov_b32 s12, 0
	s_cbranch_execnz .LBB7_1714
.LBB7_1704:
	s_cmp_gt_i32 s0, 14
	s_cbranch_scc0 .LBB7_1707
; %bb.1705:
	s_cmp_eq_u32 s0, 15
	s_cbranch_scc0 .LBB7_1710
; %bb.1706:
	global_load_u16 v1, v[24:25], off
	s_mov_b32 s1, 0
	s_mov_b32 s13, -1
	s_wait_loadcnt 0x0
	v_lshlrev_b32_e32 v1, 16, v1
	s_wait_xcnt 0x1
	s_delay_alu instid0(VALU_DEP_1)
	v_cvt_f64_f32_e32 v[2:3], v1
	s_branch .LBB7_1711
.LBB7_1707:
	s_mov_b32 s10, -1
                                        ; implicit-def: $vgpr2_vgpr3
	s_branch .LBB7_1712
.LBB7_1708:
	s_or_saveexec_b32 s12, s12
	v_mov_b64_e32 v[2:3], 0x7ff8000020000000
	s_xor_b32 exec_lo, exec_lo, s12
	s_cbranch_execz .LBB7_1690
.LBB7_1709:
	v_cmp_ne_u16_e32 vcc_lo, 0, v1
	v_mov_b64_e32 v[2:3], 0
	s_and_not1_b32 s10, s10, exec_lo
	s_and_b32 s13, vcc_lo, exec_lo
	s_delay_alu instid0(SALU_CYCLE_1)
	s_or_b32 s10, s10, s13
	s_or_b32 exec_lo, exec_lo, s12
	s_and_saveexec_b32 s12, s10
	s_cbranch_execnz .LBB7_1691
	s_branch .LBB7_1692
.LBB7_1710:
	s_mov_b32 s1, -1
                                        ; implicit-def: $vgpr2_vgpr3
.LBB7_1711:
	s_mov_b32 s10, 0
.LBB7_1712:
	s_delay_alu instid0(SALU_CYCLE_1)
	s_and_b32 vcc_lo, exec_lo, s10
	s_cbranch_vccz .LBB7_1714
; %bb.1713:
	s_cmp_lg_u32 s0, 11
	s_mov_b32 s12, -1
	s_cselect_b32 s1, -1, 0
.LBB7_1714:
	s_delay_alu instid0(SALU_CYCLE_1)
	s_and_b32 vcc_lo, exec_lo, s1
	s_mov_b32 s10, s8
	s_cbranch_vccnz .LBB7_1775
; %bb.1715:
	s_and_not1_b32 vcc_lo, exec_lo, s12
	s_cbranch_vccnz .LBB7_1717
.LBB7_1716:
	global_load_u8 v1, v[24:25], off
	v_mov_b32_e32 v2, 0
	s_mov_b32 s13, -1
	s_wait_loadcnt 0x0
	v_cmp_ne_u16_e32 vcc_lo, 0, v1
	s_wait_xcnt 0x1
	v_cndmask_b32_e64 v3, 0, 0x3ff00000, vcc_lo
.LBB7_1717:
	s_branch .LBB7_1646
.LBB7_1718:
	s_and_b32 s0, 0xffff, s11
	s_delay_alu instid0(SALU_CYCLE_1)
	s_cmp_lt_i32 s0, 5
	s_cbranch_scc1 .LBB7_1723
; %bb.1719:
	s_cmp_lt_i32 s0, 8
	s_cbranch_scc1 .LBB7_1724
; %bb.1720:
	;; [unrolled: 3-line block ×3, first 2 shown]
	s_cmp_gt_i32 s0, 9
	s_cbranch_scc0 .LBB7_1726
; %bb.1722:
	global_load_b64 v[2:3], v[24:25], off
	s_mov_b32 s1, 0
	s_branch .LBB7_1727
.LBB7_1723:
                                        ; implicit-def: $vgpr2_vgpr3
	s_branch .LBB7_1744
.LBB7_1724:
                                        ; implicit-def: $vgpr2_vgpr3
	s_branch .LBB7_1733
.LBB7_1725:
	s_mov_b32 s1, -1
                                        ; implicit-def: $vgpr2_vgpr3
	s_branch .LBB7_1730
.LBB7_1726:
	s_mov_b32 s1, -1
                                        ; implicit-def: $vgpr2_vgpr3
.LBB7_1727:
	s_delay_alu instid0(SALU_CYCLE_1)
	s_and_not1_b32 vcc_lo, exec_lo, s1
	s_cbranch_vccnz .LBB7_1729
; %bb.1728:
	global_load_b32 v1, v[24:25], off
	s_wait_loadcnt 0x0
	s_wait_xcnt 0x1
	v_cvt_f64_f32_e32 v[2:3], v1
.LBB7_1729:
	s_mov_b32 s1, 0
.LBB7_1730:
	s_delay_alu instid0(SALU_CYCLE_1)
	s_and_not1_b32 vcc_lo, exec_lo, s1
	s_cbranch_vccnz .LBB7_1732
; %bb.1731:
	global_load_b32 v1, v[24:25], off
	s_wait_loadcnt 0x0
	v_cvt_f32_f16_e32 v1, v1
	s_wait_xcnt 0x1
	s_delay_alu instid0(VALU_DEP_1)
	v_cvt_f64_f32_e32 v[2:3], v1
.LBB7_1732:
	s_cbranch_execnz .LBB7_1743
.LBB7_1733:
	s_cmp_lt_i32 s0, 6
	s_cbranch_scc1 .LBB7_1736
; %bb.1734:
	s_cmp_gt_i32 s0, 6
	s_cbranch_scc0 .LBB7_1737
; %bb.1735:
	s_wait_loadcnt 0x0
	global_load_b64 v[2:3], v[24:25], off
	s_mov_b32 s1, 0
	s_branch .LBB7_1738
.LBB7_1736:
	s_mov_b32 s1, -1
                                        ; implicit-def: $vgpr2_vgpr3
	s_branch .LBB7_1741
.LBB7_1737:
	s_mov_b32 s1, -1
                                        ; implicit-def: $vgpr2_vgpr3
.LBB7_1738:
	s_delay_alu instid0(SALU_CYCLE_1)
	s_and_not1_b32 vcc_lo, exec_lo, s1
	s_cbranch_vccnz .LBB7_1740
; %bb.1739:
	global_load_b32 v1, v[24:25], off
	s_wait_loadcnt 0x0
	s_wait_xcnt 0x1
	v_cvt_f64_f32_e32 v[2:3], v1
.LBB7_1740:
	s_mov_b32 s1, 0
.LBB7_1741:
	s_delay_alu instid0(SALU_CYCLE_1)
	s_and_not1_b32 vcc_lo, exec_lo, s1
	s_cbranch_vccnz .LBB7_1743
; %bb.1742:
	global_load_u16 v1, v[24:25], off
	s_wait_loadcnt 0x0
	v_cvt_f32_f16_e32 v1, v1
	s_wait_xcnt 0x1
	s_delay_alu instid0(VALU_DEP_1)
	v_cvt_f64_f32_e32 v[2:3], v1
.LBB7_1743:
	s_cbranch_execnz .LBB7_1762
.LBB7_1744:
	s_cmp_lt_i32 s0, 2
	s_cbranch_scc1 .LBB7_1748
; %bb.1745:
	s_cmp_lt_i32 s0, 3
	s_cbranch_scc1 .LBB7_1749
; %bb.1746:
	s_cmp_gt_i32 s0, 3
	s_cbranch_scc0 .LBB7_1750
; %bb.1747:
	s_wait_loadcnt 0x0
	global_load_b64 v[2:3], v[24:25], off
	s_mov_b32 s1, 0
	s_wait_loadcnt 0x0
	v_cvt_f64_i32_e32 v[26:27], v3
	v_cvt_f64_u32_e32 v[2:3], v2
	s_delay_alu instid0(VALU_DEP_2) | instskip(NEXT) | instid1(VALU_DEP_1)
	v_ldexp_f64 v[26:27], v[26:27], 32
	v_add_f64_e32 v[2:3], v[26:27], v[2:3]
	s_branch .LBB7_1751
.LBB7_1748:
                                        ; implicit-def: $vgpr2_vgpr3
	s_branch .LBB7_1757
.LBB7_1749:
	s_mov_b32 s1, -1
                                        ; implicit-def: $vgpr2_vgpr3
	s_branch .LBB7_1754
.LBB7_1750:
	s_mov_b32 s1, -1
                                        ; implicit-def: $vgpr2_vgpr3
.LBB7_1751:
	s_delay_alu instid0(SALU_CYCLE_1)
	s_and_not1_b32 vcc_lo, exec_lo, s1
	s_cbranch_vccnz .LBB7_1753
; %bb.1752:
	global_load_b32 v1, v[24:25], off
	s_wait_loadcnt 0x0
	s_wait_xcnt 0x1
	v_cvt_f64_i32_e32 v[2:3], v1
.LBB7_1753:
	s_mov_b32 s1, 0
.LBB7_1754:
	s_delay_alu instid0(SALU_CYCLE_1)
	s_and_not1_b32 vcc_lo, exec_lo, s1
	s_cbranch_vccnz .LBB7_1756
; %bb.1755:
	global_load_i16 v1, v[24:25], off
	s_wait_loadcnt 0x0
	s_wait_xcnt 0x1
	v_cvt_f64_i32_e32 v[2:3], v1
.LBB7_1756:
	s_cbranch_execnz .LBB7_1762
.LBB7_1757:
	s_cmp_gt_i32 s0, 0
	s_mov_b32 s0, 0
	s_cbranch_scc0 .LBB7_1759
; %bb.1758:
	global_load_i8 v1, v[24:25], off
	s_wait_loadcnt 0x0
	s_wait_xcnt 0x1
	v_cvt_f64_i32_e32 v[2:3], v1
	s_branch .LBB7_1760
.LBB7_1759:
	s_mov_b32 s0, -1
                                        ; implicit-def: $vgpr2_vgpr3
.LBB7_1760:
	s_delay_alu instid0(SALU_CYCLE_1)
	s_and_not1_b32 vcc_lo, exec_lo, s0
	s_cbranch_vccnz .LBB7_1762
; %bb.1761:
	global_load_u8 v1, v[24:25], off
	s_wait_loadcnt 0x0
	s_wait_xcnt 0x1
	v_cvt_f64_u32_e32 v[2:3], v1
.LBB7_1762:
.LBB7_1763:
	v_mov_b32_e32 v15, 0
	s_load_b64 s[0:1], s[2:3], 0x198
	global_load_u8 v1, v15, s[2:3] offset:419
	s_wait_kmcnt 0x0
	v_add_nc_u64_e32 v[24:25], s[0:1], v[14:15]
	s_wait_loadcnt 0x0
	v_and_b32_e32 v5, 0xffff, v1
	v_readfirstlane_b32 s12, v1
	s_delay_alu instid0(VALU_DEP_2)
	v_cmp_gt_i32_e32 vcc_lo, 11, v5
	s_cbranch_vccnz .LBB7_1770
; %bb.1764:
	s_and_b32 s13, 0xffff, s12
	s_mov_b32 s15, 0
	s_cmp_gt_i32 s13, 25
	s_cbranch_scc0 .LBB7_1772
; %bb.1765:
	s_cmp_gt_i32 s13, 28
	s_cbranch_scc0 .LBB7_1773
; %bb.1766:
	;; [unrolled: 3-line block ×4, first 2 shown]
	s_cmp_eq_u32 s13, 46
	s_mov_b32 s17, 0
	s_cbranch_scc0 .LBB7_1779
; %bb.1769:
	global_load_b32 v1, v[24:25], off
	s_mov_b32 s14, 0
	s_mov_b32 s16, -1
	s_wait_loadcnt 0x0
	v_lshlrev_b32_e32 v1, 16, v1
	s_wait_xcnt 0x1
	s_delay_alu instid0(VALU_DEP_1)
	v_cvt_f64_f32_e32 v[14:15], v1
	s_branch .LBB7_1781
.LBB7_1770:
	s_mov_b32 s16, 0
                                        ; implicit-def: $vgpr14_vgpr15
	s_cbranch_execnz .LBB7_1846
.LBB7_1771:
	s_and_not1_b32 vcc_lo, exec_lo, s16
	s_cbranch_vccnz .LBB7_3113
	s_branch .LBB7_1893
.LBB7_1772:
	s_mov_b32 s16, 0
	s_mov_b32 s14, 0
                                        ; implicit-def: $vgpr14_vgpr15
	s_cbranch_execnz .LBB7_1810
	s_branch .LBB7_1842
.LBB7_1773:
	s_mov_b32 s17, -1
	s_mov_b32 s16, 0
	s_mov_b32 s14, 0
                                        ; implicit-def: $vgpr14_vgpr15
	s_branch .LBB7_1791
.LBB7_1774:
	s_mov_b32 s17, -1
	s_mov_b32 s16, 0
	s_mov_b32 s14, 0
                                        ; implicit-def: $vgpr14_vgpr15
	s_branch .LBB7_1786
.LBB7_1775:
	s_or_b32 s10, s8, exec_lo
	s_trap 2
	s_cbranch_execz .LBB7_1716
	s_branch .LBB7_1717
.LBB7_1776:
	s_mov_b32 s17, -1
	s_mov_b32 s16, 0
	s_mov_b32 s14, 0
	s_branch .LBB7_1780
.LBB7_1777:
	s_and_not1_saveexec_b32 s10, s10
	s_cbranch_execz .LBB7_1518
.LBB7_1778:
	v_add_f32_e64 v3, 0x42800000, |v2|
	s_and_not1_b32 s9, s9, exec_lo
	s_delay_alu instid0(VALU_DEP_1) | instskip(NEXT) | instid1(VALU_DEP_1)
	v_and_b32_e32 v3, 0xff, v3
	v_cmp_ne_u32_e32 vcc_lo, 0, v3
	s_and_b32 s11, vcc_lo, exec_lo
	s_delay_alu instid0(SALU_CYCLE_1)
	s_or_b32 s9, s9, s11
	s_or_b32 exec_lo, exec_lo, s10
	v_mov_b32_e32 v6, 0
	s_and_saveexec_b32 s10, s9
	s_cbranch_execnz .LBB7_1519
	s_branch .LBB7_1520
.LBB7_1779:
	s_mov_b32 s14, -1
	s_mov_b32 s16, 0
.LBB7_1780:
                                        ; implicit-def: $vgpr14_vgpr15
.LBB7_1781:
	s_and_b32 vcc_lo, exec_lo, s17
	s_cbranch_vccz .LBB7_1785
; %bb.1782:
	s_cmp_eq_u32 s13, 44
	s_cbranch_scc0 .LBB7_1784
; %bb.1783:
	global_load_u8 v1, v[24:25], off
	s_mov_b32 s14, 0
	s_mov_b32 s16, -1
	s_wait_loadcnt 0x0
	v_lshlrev_b32_e32 v5, 23, v1
	v_cmp_ne_u32_e32 vcc_lo, 0xff, v1
	s_wait_xcnt 0x1
	s_delay_alu instid0(VALU_DEP_2) | instskip(NEXT) | instid1(VALU_DEP_1)
	v_cvt_f64_f32_e32 v[14:15], v5
	v_cndmask_b32_e32 v5, 0x20000000, v14, vcc_lo
	s_delay_alu instid0(VALU_DEP_2) | instskip(SKIP_1) | instid1(VALU_DEP_2)
	v_cndmask_b32_e32 v7, 0x7ff80000, v15, vcc_lo
	v_cmp_ne_u32_e32 vcc_lo, 0, v1
	v_cndmask_b32_e32 v15, 0x38000000, v7, vcc_lo
	s_delay_alu instid0(VALU_DEP_4)
	v_cndmask_b32_e32 v14, 0, v5, vcc_lo
	s_branch .LBB7_1785
.LBB7_1784:
	s_mov_b32 s14, -1
                                        ; implicit-def: $vgpr14_vgpr15
.LBB7_1785:
	s_mov_b32 s17, 0
.LBB7_1786:
	s_delay_alu instid0(SALU_CYCLE_1)
	s_and_b32 vcc_lo, exec_lo, s17
	s_cbranch_vccz .LBB7_1790
; %bb.1787:
	s_cmp_eq_u32 s13, 29
	s_cbranch_scc0 .LBB7_1789
; %bb.1788:
	global_load_b64 v[14:15], v[24:25], off
	s_mov_b32 s14, 0
	s_mov_b32 s16, -1
	s_mov_b32 s17, 0
	s_wait_loadcnt 0x0
	v_cvt_f64_u32_e32 v[26:27], v15
	v_cvt_f64_u32_e32 v[14:15], v14
	s_delay_alu instid0(VALU_DEP_2) | instskip(NEXT) | instid1(VALU_DEP_1)
	v_ldexp_f64 v[26:27], v[26:27], 32
	v_add_f64_e32 v[14:15], v[26:27], v[14:15]
	s_branch .LBB7_1791
.LBB7_1789:
	s_mov_b32 s14, -1
                                        ; implicit-def: $vgpr14_vgpr15
.LBB7_1790:
	s_mov_b32 s17, 0
.LBB7_1791:
	s_delay_alu instid0(SALU_CYCLE_1)
	s_and_b32 vcc_lo, exec_lo, s17
	s_cbranch_vccz .LBB7_1809
; %bb.1792:
	s_cmp_lt_i32 s13, 27
	s_cbranch_scc1 .LBB7_1795
; %bb.1793:
	s_cmp_gt_i32 s13, 27
	s_cbranch_scc0 .LBB7_1796
; %bb.1794:
	global_load_b32 v1, v[24:25], off
	s_mov_b32 s16, 0
	s_wait_loadcnt 0x0
	s_wait_xcnt 0x1
	v_cvt_f64_u32_e32 v[14:15], v1
	s_branch .LBB7_1797
.LBB7_1795:
	s_mov_b32 s16, -1
                                        ; implicit-def: $vgpr14_vgpr15
	s_branch .LBB7_1800
.LBB7_1796:
	s_mov_b32 s16, -1
                                        ; implicit-def: $vgpr14_vgpr15
.LBB7_1797:
	s_delay_alu instid0(SALU_CYCLE_1)
	s_and_not1_b32 vcc_lo, exec_lo, s16
	s_cbranch_vccnz .LBB7_1799
; %bb.1798:
	global_load_u16 v1, v[24:25], off
	s_wait_loadcnt 0x0
	s_wait_xcnt 0x1
	v_cvt_f64_u32_e32 v[14:15], v1
.LBB7_1799:
	s_mov_b32 s16, 0
.LBB7_1800:
	s_delay_alu instid0(SALU_CYCLE_1)
	s_and_not1_b32 vcc_lo, exec_lo, s16
	s_cbranch_vccnz .LBB7_1808
; %bb.1801:
	global_load_u8 v1, v[24:25], off
	s_mov_b32 s16, 0
	s_mov_b32 s17, exec_lo
	s_wait_loadcnt 0x0
	v_cmpx_lt_i16_e32 0x7f, v1
	s_xor_b32 s17, exec_lo, s17
	s_cbranch_execz .LBB7_1821
; %bb.1802:
	s_mov_b32 s16, -1
	s_mov_b32 s18, exec_lo
	v_cmpx_eq_u16_e32 0x80, v1
; %bb.1803:
	s_xor_b32 s16, exec_lo, -1
; %bb.1804:
	s_or_b32 exec_lo, exec_lo, s18
	s_delay_alu instid0(SALU_CYCLE_1)
	s_and_b32 s16, s16, exec_lo
	s_or_saveexec_b32 s17, s17
	v_mov_b64_e32 v[14:15], 0x7ff8000020000000
	s_xor_b32 exec_lo, exec_lo, s17
	s_cbranch_execnz .LBB7_1822
.LBB7_1805:
	s_or_b32 exec_lo, exec_lo, s17
	s_and_saveexec_b32 s17, s16
	s_cbranch_execz .LBB7_1807
.LBB7_1806:
	v_and_b32_e32 v5, 0xffff, v1
	v_lshlrev_b32_e32 v1, 24, v1
	s_delay_alu instid0(VALU_DEP_2) | instskip(SKIP_1) | instid1(VALU_DEP_3)
	v_and_b32_e32 v7, 7, v5
	v_bfe_u32 v13, v5, 3, 4
	v_and_b32_e32 v1, 0x80000000, v1
	s_delay_alu instid0(VALU_DEP_3) | instskip(NEXT) | instid1(VALU_DEP_3)
	v_clz_i32_u32_e32 v9, v7
	v_cmp_eq_u32_e32 vcc_lo, 0, v13
	s_delay_alu instid0(VALU_DEP_2) | instskip(NEXT) | instid1(VALU_DEP_1)
	v_min_u32_e32 v9, 32, v9
	v_subrev_nc_u32_e32 v11, 28, v9
	v_sub_nc_u32_e32 v9, 29, v9
	s_delay_alu instid0(VALU_DEP_2) | instskip(NEXT) | instid1(VALU_DEP_2)
	v_lshlrev_b32_e32 v5, v11, v5
	v_cndmask_b32_e32 v9, v13, v9, vcc_lo
	s_delay_alu instid0(VALU_DEP_2) | instskip(NEXT) | instid1(VALU_DEP_1)
	v_and_b32_e32 v5, 7, v5
	v_cndmask_b32_e32 v5, v7, v5, vcc_lo
	s_delay_alu instid0(VALU_DEP_3) | instskip(NEXT) | instid1(VALU_DEP_2)
	v_lshl_add_u32 v7, v9, 23, 0x3b800000
	v_lshlrev_b32_e32 v5, 20, v5
	s_delay_alu instid0(VALU_DEP_1) | instskip(NEXT) | instid1(VALU_DEP_1)
	v_or3_b32 v1, v1, v7, v5
	v_cvt_f64_f32_e32 v[14:15], v1
.LBB7_1807:
	s_or_b32 exec_lo, exec_lo, s17
.LBB7_1808:
	s_mov_b32 s16, -1
.LBB7_1809:
	s_branch .LBB7_1842
.LBB7_1810:
	s_cmp_gt_i32 s13, 22
	s_cbranch_scc0 .LBB7_1820
; %bb.1811:
	s_cmp_lt_i32 s13, 24
	s_cbranch_scc1 .LBB7_1823
; %bb.1812:
	s_cmp_gt_i32 s13, 24
	s_cbranch_scc0 .LBB7_1824
; %bb.1813:
	global_load_u8 v1, v[24:25], off
	s_mov_b32 s16, exec_lo
	s_wait_loadcnt 0x0
	v_cmpx_lt_i16_e32 0x7f, v1
	s_xor_b32 s16, exec_lo, s16
	s_cbranch_execz .LBB7_1836
; %bb.1814:
	s_mov_b32 s15, -1
	s_mov_b32 s17, exec_lo
	v_cmpx_eq_u16_e32 0x80, v1
; %bb.1815:
	s_xor_b32 s15, exec_lo, -1
; %bb.1816:
	s_or_b32 exec_lo, exec_lo, s17
	s_delay_alu instid0(SALU_CYCLE_1)
	s_and_b32 s15, s15, exec_lo
	s_or_saveexec_b32 s16, s16
	v_mov_b64_e32 v[14:15], 0x7ff8000020000000
	s_xor_b32 exec_lo, exec_lo, s16
	s_cbranch_execnz .LBB7_1837
.LBB7_1817:
	s_or_b32 exec_lo, exec_lo, s16
	s_and_saveexec_b32 s16, s15
	s_cbranch_execz .LBB7_1819
.LBB7_1818:
	v_and_b32_e32 v5, 0xffff, v1
	v_lshlrev_b32_e32 v1, 24, v1
	s_delay_alu instid0(VALU_DEP_2) | instskip(SKIP_1) | instid1(VALU_DEP_3)
	v_and_b32_e32 v7, 3, v5
	v_bfe_u32 v13, v5, 2, 5
	v_and_b32_e32 v1, 0x80000000, v1
	s_delay_alu instid0(VALU_DEP_3) | instskip(NEXT) | instid1(VALU_DEP_3)
	v_clz_i32_u32_e32 v9, v7
	v_cmp_eq_u32_e32 vcc_lo, 0, v13
	s_delay_alu instid0(VALU_DEP_2) | instskip(NEXT) | instid1(VALU_DEP_1)
	v_min_u32_e32 v9, 32, v9
	v_subrev_nc_u32_e32 v11, 29, v9
	v_sub_nc_u32_e32 v9, 30, v9
	s_delay_alu instid0(VALU_DEP_2) | instskip(NEXT) | instid1(VALU_DEP_2)
	v_lshlrev_b32_e32 v5, v11, v5
	v_cndmask_b32_e32 v9, v13, v9, vcc_lo
	s_delay_alu instid0(VALU_DEP_2) | instskip(NEXT) | instid1(VALU_DEP_1)
	v_and_b32_e32 v5, 3, v5
	v_cndmask_b32_e32 v5, v7, v5, vcc_lo
	s_delay_alu instid0(VALU_DEP_3) | instskip(NEXT) | instid1(VALU_DEP_2)
	v_lshl_add_u32 v7, v9, 23, 0x37800000
	v_lshlrev_b32_e32 v5, 21, v5
	s_delay_alu instid0(VALU_DEP_1) | instskip(NEXT) | instid1(VALU_DEP_1)
	v_or3_b32 v1, v1, v7, v5
	v_cvt_f64_f32_e32 v[14:15], v1
.LBB7_1819:
	s_or_b32 exec_lo, exec_lo, s16
	s_mov_b32 s15, 0
	s_branch .LBB7_1825
.LBB7_1820:
	s_mov_b32 s15, -1
                                        ; implicit-def: $vgpr14_vgpr15
	s_branch .LBB7_1831
.LBB7_1821:
	s_or_saveexec_b32 s17, s17
	v_mov_b64_e32 v[14:15], 0x7ff8000020000000
	s_xor_b32 exec_lo, exec_lo, s17
	s_cbranch_execz .LBB7_1805
.LBB7_1822:
	v_cmp_ne_u16_e32 vcc_lo, 0, v1
	v_mov_b64_e32 v[14:15], 0
	s_and_not1_b32 s16, s16, exec_lo
	s_and_b32 s18, vcc_lo, exec_lo
	s_delay_alu instid0(SALU_CYCLE_1)
	s_or_b32 s16, s16, s18
	s_or_b32 exec_lo, exec_lo, s17
	s_and_saveexec_b32 s17, s16
	s_cbranch_execnz .LBB7_1806
	s_branch .LBB7_1807
.LBB7_1823:
	s_mov_b32 s15, -1
                                        ; implicit-def: $vgpr14_vgpr15
	s_branch .LBB7_1828
.LBB7_1824:
	s_mov_b32 s15, -1
                                        ; implicit-def: $vgpr14_vgpr15
.LBB7_1825:
	s_delay_alu instid0(SALU_CYCLE_1)
	s_and_b32 vcc_lo, exec_lo, s15
	s_cbranch_vccz .LBB7_1827
; %bb.1826:
	global_load_u8 v1, v[24:25], off
	s_wait_loadcnt 0x0
	v_lshlrev_b32_e32 v1, 24, v1
	s_delay_alu instid0(VALU_DEP_1) | instskip(NEXT) | instid1(VALU_DEP_1)
	v_and_b32_e32 v5, 0x7f000000, v1
	v_clz_i32_u32_e32 v7, v5
	v_cmp_ne_u32_e32 vcc_lo, 0, v5
	v_add_nc_u32_e32 v11, 0x1000000, v5
	s_delay_alu instid0(VALU_DEP_3) | instskip(NEXT) | instid1(VALU_DEP_1)
	v_min_u32_e32 v7, 32, v7
	v_sub_nc_u32_e64 v7, v7, 4 clamp
	s_delay_alu instid0(VALU_DEP_1) | instskip(NEXT) | instid1(VALU_DEP_1)
	v_dual_lshlrev_b32 v9, v7, v5 :: v_dual_lshlrev_b32 v7, 23, v7
	v_lshrrev_b32_e32 v9, 4, v9
	s_delay_alu instid0(VALU_DEP_1) | instskip(SKIP_1) | instid1(VALU_DEP_2)
	v_sub_nc_u32_e32 v7, v9, v7
	v_ashrrev_i32_e32 v9, 8, v11
	v_add_nc_u32_e32 v7, 0x3c000000, v7
	s_delay_alu instid0(VALU_DEP_1) | instskip(NEXT) | instid1(VALU_DEP_1)
	v_and_or_b32 v7, 0x7f800000, v9, v7
	v_cndmask_b32_e32 v5, 0, v7, vcc_lo
	s_delay_alu instid0(VALU_DEP_1) | instskip(SKIP_1) | instid1(VALU_DEP_1)
	v_and_or_b32 v1, 0x80000000, v1, v5
	s_wait_xcnt 0x1
	v_cvt_f64_f32_e32 v[14:15], v1
.LBB7_1827:
	s_mov_b32 s15, 0
.LBB7_1828:
	s_delay_alu instid0(SALU_CYCLE_1)
	s_and_not1_b32 vcc_lo, exec_lo, s15
	s_cbranch_vccnz .LBB7_1830
; %bb.1829:
	global_load_u8 v1, v[24:25], off
	s_wait_loadcnt 0x0
	v_lshlrev_b32_e32 v5, 25, v1
	v_lshlrev_b16 v1, 8, v1
	s_delay_alu instid0(VALU_DEP_2) | instskip(NEXT) | instid1(VALU_DEP_2)
	v_lshrrev_b32_e32 v7, 4, v5
	v_and_or_b32 v9, 0x7f00, v1, 0.5
	v_cmp_gt_u32_e32 vcc_lo, 0x8000000, v5
	v_bfe_i32 v1, v1, 0, 16
	s_delay_alu instid0(VALU_DEP_4) | instskip(NEXT) | instid1(VALU_DEP_4)
	v_or_b32_e32 v7, 0x70000000, v7
	v_add_f32_e32 v9, -0.5, v9
	s_delay_alu instid0(VALU_DEP_2) | instskip(NEXT) | instid1(VALU_DEP_1)
	v_mul_f32_e32 v7, 0x7800000, v7
	v_cndmask_b32_e32 v5, v7, v9, vcc_lo
	s_delay_alu instid0(VALU_DEP_1) | instskip(SKIP_1) | instid1(VALU_DEP_1)
	v_and_or_b32 v1, 0x80000000, v1, v5
	s_wait_xcnt 0x1
	v_cvt_f64_f32_e32 v[14:15], v1
.LBB7_1830:
	s_mov_b32 s15, 0
	s_mov_b32 s16, -1
.LBB7_1831:
	s_and_not1_b32 vcc_lo, exec_lo, s15
	s_mov_b32 s15, 0
	s_cbranch_vccnz .LBB7_1842
; %bb.1832:
	s_cmp_gt_i32 s13, 14
	s_cbranch_scc0 .LBB7_1835
; %bb.1833:
	s_cmp_eq_u32 s13, 15
	s_cbranch_scc0 .LBB7_1838
; %bb.1834:
	global_load_u16 v1, v[24:25], off
	s_mov_b32 s14, 0
	s_mov_b32 s16, -1
	s_wait_loadcnt 0x0
	v_lshlrev_b32_e32 v1, 16, v1
	s_wait_xcnt 0x1
	s_delay_alu instid0(VALU_DEP_1)
	v_cvt_f64_f32_e32 v[14:15], v1
	s_branch .LBB7_1840
.LBB7_1835:
	s_mov_b32 s15, -1
	s_branch .LBB7_1839
.LBB7_1836:
	s_or_saveexec_b32 s16, s16
	v_mov_b64_e32 v[14:15], 0x7ff8000020000000
	s_xor_b32 exec_lo, exec_lo, s16
	s_cbranch_execz .LBB7_1817
.LBB7_1837:
	v_cmp_ne_u16_e32 vcc_lo, 0, v1
	v_mov_b64_e32 v[14:15], 0
	s_and_not1_b32 s15, s15, exec_lo
	s_and_b32 s17, vcc_lo, exec_lo
	s_delay_alu instid0(SALU_CYCLE_1)
	s_or_b32 s15, s15, s17
	s_or_b32 exec_lo, exec_lo, s16
	s_and_saveexec_b32 s16, s15
	s_cbranch_execnz .LBB7_1818
	s_branch .LBB7_1819
.LBB7_1838:
	s_mov_b32 s14, -1
.LBB7_1839:
                                        ; implicit-def: $vgpr14_vgpr15
.LBB7_1840:
	s_and_b32 vcc_lo, exec_lo, s15
	s_mov_b32 s15, 0
	s_cbranch_vccz .LBB7_1842
; %bb.1841:
	s_cmp_lg_u32 s13, 11
	s_mov_b32 s15, -1
	s_cselect_b32 s14, -1, 0
.LBB7_1842:
	s_delay_alu instid0(SALU_CYCLE_1)
	s_and_b32 vcc_lo, exec_lo, s14
	s_cbranch_vccnz .LBB7_1905
; %bb.1843:
	s_and_not1_b32 vcc_lo, exec_lo, s15
	s_cbranch_vccnz .LBB7_1845
.LBB7_1844:
	global_load_u8 v1, v[24:25], off
	v_mov_b32_e32 v14, 0
	s_mov_b32 s16, -1
	s_wait_loadcnt 0x0
	v_cmp_ne_u16_e32 vcc_lo, 0, v1
	s_wait_xcnt 0x1
	v_cndmask_b32_e64 v15, 0, 0x3ff00000, vcc_lo
.LBB7_1845:
	s_branch .LBB7_1771
.LBB7_1846:
	s_and_b32 s13, 0xffff, s12
	s_delay_alu instid0(SALU_CYCLE_1)
	s_cmp_lt_i32 s13, 5
	s_cbranch_scc1 .LBB7_1851
; %bb.1847:
	s_cmp_lt_i32 s13, 8
	s_cbranch_scc1 .LBB7_1852
; %bb.1848:
	;; [unrolled: 3-line block ×3, first 2 shown]
	s_cmp_gt_i32 s13, 9
	s_cbranch_scc0 .LBB7_1854
; %bb.1850:
	global_load_b64 v[14:15], v[24:25], off
	s_mov_b32 s14, 0
	s_branch .LBB7_1855
.LBB7_1851:
                                        ; implicit-def: $vgpr14_vgpr15
	s_branch .LBB7_1873
.LBB7_1852:
	s_mov_b32 s14, -1
                                        ; implicit-def: $vgpr14_vgpr15
	s_branch .LBB7_1861
.LBB7_1853:
	s_mov_b32 s14, -1
                                        ; implicit-def: $vgpr14_vgpr15
	s_branch .LBB7_1858
.LBB7_1854:
	s_mov_b32 s14, -1
                                        ; implicit-def: $vgpr14_vgpr15
.LBB7_1855:
	s_delay_alu instid0(SALU_CYCLE_1)
	s_and_not1_b32 vcc_lo, exec_lo, s14
	s_cbranch_vccnz .LBB7_1857
; %bb.1856:
	global_load_b32 v1, v[24:25], off
	s_wait_loadcnt 0x0
	s_wait_xcnt 0x1
	v_cvt_f64_f32_e32 v[14:15], v1
.LBB7_1857:
	s_mov_b32 s14, 0
.LBB7_1858:
	s_delay_alu instid0(SALU_CYCLE_1)
	s_and_not1_b32 vcc_lo, exec_lo, s14
	s_cbranch_vccnz .LBB7_1860
; %bb.1859:
	global_load_b32 v1, v[24:25], off
	s_wait_loadcnt 0x0
	v_cvt_f32_f16_e32 v1, v1
	s_wait_xcnt 0x1
	s_delay_alu instid0(VALU_DEP_1)
	v_cvt_f64_f32_e32 v[14:15], v1
.LBB7_1860:
	s_mov_b32 s14, 0
.LBB7_1861:
	s_delay_alu instid0(SALU_CYCLE_1)
	s_and_not1_b32 vcc_lo, exec_lo, s14
	s_cbranch_vccnz .LBB7_1872
; %bb.1862:
	s_cmp_lt_i32 s13, 6
	s_cbranch_scc1 .LBB7_1865
; %bb.1863:
	s_cmp_gt_i32 s13, 6
	s_cbranch_scc0 .LBB7_1866
; %bb.1864:
	s_wait_loadcnt 0x0
	global_load_b64 v[14:15], v[24:25], off
	s_mov_b32 s14, 0
	s_branch .LBB7_1867
.LBB7_1865:
	s_mov_b32 s14, -1
                                        ; implicit-def: $vgpr14_vgpr15
	s_branch .LBB7_1870
.LBB7_1866:
	s_mov_b32 s14, -1
                                        ; implicit-def: $vgpr14_vgpr15
.LBB7_1867:
	s_delay_alu instid0(SALU_CYCLE_1)
	s_and_not1_b32 vcc_lo, exec_lo, s14
	s_cbranch_vccnz .LBB7_1869
; %bb.1868:
	global_load_b32 v1, v[24:25], off
	s_wait_loadcnt 0x0
	s_wait_xcnt 0x1
	v_cvt_f64_f32_e32 v[14:15], v1
.LBB7_1869:
	s_mov_b32 s14, 0
.LBB7_1870:
	s_delay_alu instid0(SALU_CYCLE_1)
	s_and_not1_b32 vcc_lo, exec_lo, s14
	s_cbranch_vccnz .LBB7_1872
; %bb.1871:
	global_load_u16 v1, v[24:25], off
	s_wait_loadcnt 0x0
	v_cvt_f32_f16_e32 v1, v1
	s_wait_xcnt 0x1
	s_delay_alu instid0(VALU_DEP_1)
	v_cvt_f64_f32_e32 v[14:15], v1
.LBB7_1872:
	s_cbranch_execnz .LBB7_1892
.LBB7_1873:
	s_cmp_lt_i32 s13, 2
	s_cbranch_scc1 .LBB7_1877
; %bb.1874:
	s_cmp_lt_i32 s13, 3
	s_cbranch_scc1 .LBB7_1878
; %bb.1875:
	s_cmp_gt_i32 s13, 3
	s_cbranch_scc0 .LBB7_1879
; %bb.1876:
	s_wait_loadcnt 0x0
	global_load_b64 v[14:15], v[24:25], off
	s_mov_b32 s14, 0
	s_wait_loadcnt 0x0
	v_cvt_f64_i32_e32 v[26:27], v15
	v_cvt_f64_u32_e32 v[14:15], v14
	s_delay_alu instid0(VALU_DEP_2) | instskip(NEXT) | instid1(VALU_DEP_1)
	v_ldexp_f64 v[26:27], v[26:27], 32
	v_add_f64_e32 v[14:15], v[26:27], v[14:15]
	s_branch .LBB7_1880
.LBB7_1877:
	s_mov_b32 s14, -1
                                        ; implicit-def: $vgpr14_vgpr15
	s_branch .LBB7_1886
.LBB7_1878:
	s_mov_b32 s14, -1
                                        ; implicit-def: $vgpr14_vgpr15
	s_branch .LBB7_1883
.LBB7_1879:
	s_mov_b32 s14, -1
                                        ; implicit-def: $vgpr14_vgpr15
.LBB7_1880:
	s_delay_alu instid0(SALU_CYCLE_1)
	s_and_not1_b32 vcc_lo, exec_lo, s14
	s_cbranch_vccnz .LBB7_1882
; %bb.1881:
	global_load_b32 v1, v[24:25], off
	s_wait_loadcnt 0x0
	s_wait_xcnt 0x1
	v_cvt_f64_i32_e32 v[14:15], v1
.LBB7_1882:
	s_mov_b32 s14, 0
.LBB7_1883:
	s_delay_alu instid0(SALU_CYCLE_1)
	s_and_not1_b32 vcc_lo, exec_lo, s14
	s_cbranch_vccnz .LBB7_1885
; %bb.1884:
	global_load_i16 v1, v[24:25], off
	s_wait_loadcnt 0x0
	s_wait_xcnt 0x1
	v_cvt_f64_i32_e32 v[14:15], v1
.LBB7_1885:
	s_mov_b32 s14, 0
.LBB7_1886:
	s_delay_alu instid0(SALU_CYCLE_1)
	s_and_not1_b32 vcc_lo, exec_lo, s14
	s_cbranch_vccnz .LBB7_1892
; %bb.1887:
	s_cmp_gt_i32 s13, 0
	s_mov_b32 s13, 0
	s_cbranch_scc0 .LBB7_1889
; %bb.1888:
	global_load_i8 v1, v[24:25], off
	s_wait_loadcnt 0x0
	s_wait_xcnt 0x1
	v_cvt_f64_i32_e32 v[14:15], v1
	s_branch .LBB7_1890
.LBB7_1889:
	s_mov_b32 s13, -1
                                        ; implicit-def: $vgpr14_vgpr15
.LBB7_1890:
	s_delay_alu instid0(SALU_CYCLE_1)
	s_and_not1_b32 vcc_lo, exec_lo, s13
	s_cbranch_vccnz .LBB7_1892
; %bb.1891:
	global_load_u8 v1, v[24:25], off
	s_wait_loadcnt 0x0
	s_wait_xcnt 0x1
	v_cvt_f64_u32_e32 v[14:15], v1
.LBB7_1892:
.LBB7_1893:
	v_mov_b32_e32 v13, 0
	s_and_b32 s11, 0xffff, s11
	s_delay_alu instid0(SALU_CYCLE_1) | instskip(SKIP_1) | instid1(VALU_DEP_1)
	s_cmp_lt_i32 s11, 11
	s_wait_xcnt 0x0
	v_add_nc_u64_e32 v[24:25], s[6:7], v[12:13]
	s_cbranch_scc1 .LBB7_1900
; %bb.1894:
	s_cmp_gt_i32 s11, 25
	s_mov_b32 s14, 0
	s_cbranch_scc0 .LBB7_1902
; %bb.1895:
	s_cmp_gt_i32 s11, 28
	s_cbranch_scc0 .LBB7_1903
; %bb.1896:
	s_cmp_gt_i32 s11, 43
	;; [unrolled: 3-line block ×3, first 2 shown]
	s_cbranch_scc0 .LBB7_1906
; %bb.1898:
	s_cmp_eq_u32 s11, 46
	s_mov_b32 s16, 0
	s_cbranch_scc0 .LBB7_1907
; %bb.1899:
	global_load_b32 v1, v[24:25], off
	s_mov_b32 s13, 0
	s_mov_b32 s15, -1
	s_wait_loadcnt 0x0
	v_lshlrev_b32_e32 v1, 16, v1
	s_delay_alu instid0(VALU_DEP_1)
	v_cvt_f64_f32_e32 v[12:13], v1
	s_branch .LBB7_1909
.LBB7_1900:
	s_mov_b32 s15, 0
                                        ; implicit-def: $vgpr12_vgpr13
	s_cbranch_execnz .LBB7_1975
.LBB7_1901:
	s_and_not1_b32 vcc_lo, exec_lo, s15
	s_cbranch_vccnz .LBB7_3113
	s_branch .LBB7_2023
.LBB7_1902:
	s_mov_b32 s16, -1
	s_mov_b32 s15, 0
	s_mov_b32 s13, 0
                                        ; implicit-def: $vgpr12_vgpr13
	s_branch .LBB7_1938
.LBB7_1903:
	s_mov_b32 s16, -1
	s_mov_b32 s15, 0
	s_mov_b32 s13, 0
                                        ; implicit-def: $vgpr12_vgpr13
	s_branch .LBB7_1919
.LBB7_1904:
	s_mov_b32 s16, -1
	s_mov_b32 s15, 0
	s_mov_b32 s13, 0
                                        ; implicit-def: $vgpr12_vgpr13
	s_branch .LBB7_1914
.LBB7_1905:
	s_or_b32 s10, s10, exec_lo
	s_trap 2
	s_cbranch_execz .LBB7_1844
	s_branch .LBB7_1845
.LBB7_1906:
	s_mov_b32 s16, -1
	s_mov_b32 s15, 0
	s_mov_b32 s13, 0
	s_branch .LBB7_1908
.LBB7_1907:
	s_mov_b32 s13, -1
	s_mov_b32 s15, 0
.LBB7_1908:
                                        ; implicit-def: $vgpr12_vgpr13
.LBB7_1909:
	s_and_b32 vcc_lo, exec_lo, s16
	s_cbranch_vccz .LBB7_1913
; %bb.1910:
	s_cmp_eq_u32 s11, 44
	s_cbranch_scc0 .LBB7_1912
; %bb.1911:
	global_load_u8 v1, v[24:25], off
	s_mov_b32 s13, 0
	s_mov_b32 s15, -1
	s_wait_loadcnt 0x0
	v_lshlrev_b32_e32 v5, 23, v1
	v_cmp_ne_u32_e32 vcc_lo, 0xff, v1
	s_delay_alu instid0(VALU_DEP_2) | instskip(NEXT) | instid1(VALU_DEP_1)
	v_cvt_f64_f32_e32 v[12:13], v5
	v_cndmask_b32_e32 v5, 0x20000000, v12, vcc_lo
	s_delay_alu instid0(VALU_DEP_2) | instskip(SKIP_1) | instid1(VALU_DEP_2)
	v_cndmask_b32_e32 v7, 0x7ff80000, v13, vcc_lo
	v_cmp_ne_u32_e32 vcc_lo, 0, v1
	v_cndmask_b32_e32 v13, 0x38000000, v7, vcc_lo
	s_delay_alu instid0(VALU_DEP_4)
	v_cndmask_b32_e32 v12, 0, v5, vcc_lo
	s_branch .LBB7_1913
.LBB7_1912:
	s_mov_b32 s13, -1
                                        ; implicit-def: $vgpr12_vgpr13
.LBB7_1913:
	s_mov_b32 s16, 0
.LBB7_1914:
	s_delay_alu instid0(SALU_CYCLE_1)
	s_and_b32 vcc_lo, exec_lo, s16
	s_cbranch_vccz .LBB7_1918
; %bb.1915:
	s_cmp_eq_u32 s11, 29
	s_cbranch_scc0 .LBB7_1917
; %bb.1916:
	global_load_b64 v[12:13], v[24:25], off
	s_mov_b32 s13, 0
	s_mov_b32 s15, -1
	s_mov_b32 s16, 0
	s_wait_loadcnt 0x0
	v_cvt_f64_u32_e32 v[26:27], v13
	v_cvt_f64_u32_e32 v[12:13], v12
	s_delay_alu instid0(VALU_DEP_2) | instskip(NEXT) | instid1(VALU_DEP_1)
	v_ldexp_f64 v[26:27], v[26:27], 32
	v_add_f64_e32 v[12:13], v[26:27], v[12:13]
	s_branch .LBB7_1919
.LBB7_1917:
	s_mov_b32 s13, -1
                                        ; implicit-def: $vgpr12_vgpr13
.LBB7_1918:
	s_mov_b32 s16, 0
.LBB7_1919:
	s_delay_alu instid0(SALU_CYCLE_1)
	s_and_b32 vcc_lo, exec_lo, s16
	s_cbranch_vccz .LBB7_1937
; %bb.1920:
	s_cmp_lt_i32 s11, 27
	s_cbranch_scc1 .LBB7_1923
; %bb.1921:
	s_cmp_gt_i32 s11, 27
	s_cbranch_scc0 .LBB7_1924
; %bb.1922:
	global_load_b32 v1, v[24:25], off
	s_mov_b32 s15, 0
	s_wait_loadcnt 0x0
	v_cvt_f64_u32_e32 v[12:13], v1
	s_branch .LBB7_1925
.LBB7_1923:
	s_mov_b32 s15, -1
                                        ; implicit-def: $vgpr12_vgpr13
	s_branch .LBB7_1928
.LBB7_1924:
	s_mov_b32 s15, -1
                                        ; implicit-def: $vgpr12_vgpr13
.LBB7_1925:
	s_delay_alu instid0(SALU_CYCLE_1)
	s_and_not1_b32 vcc_lo, exec_lo, s15
	s_cbranch_vccnz .LBB7_1927
; %bb.1926:
	global_load_u16 v1, v[24:25], off
	s_wait_loadcnt 0x0
	v_cvt_f64_u32_e32 v[12:13], v1
.LBB7_1927:
	s_mov_b32 s15, 0
.LBB7_1928:
	s_delay_alu instid0(SALU_CYCLE_1)
	s_and_not1_b32 vcc_lo, exec_lo, s15
	s_cbranch_vccnz .LBB7_1936
; %bb.1929:
	global_load_u8 v1, v[24:25], off
	s_mov_b32 s15, 0
	s_mov_b32 s16, exec_lo
	s_wait_loadcnt 0x0
	v_cmpx_lt_i16_e32 0x7f, v1
	s_xor_b32 s16, exec_lo, s16
	s_cbranch_execz .LBB7_1950
; %bb.1930:
	s_mov_b32 s15, -1
	s_mov_b32 s17, exec_lo
	v_cmpx_eq_u16_e32 0x80, v1
; %bb.1931:
	s_xor_b32 s15, exec_lo, -1
; %bb.1932:
	s_or_b32 exec_lo, exec_lo, s17
	s_delay_alu instid0(SALU_CYCLE_1)
	s_and_b32 s15, s15, exec_lo
	s_or_saveexec_b32 s16, s16
	v_mov_b64_e32 v[12:13], 0x7ff8000020000000
	s_xor_b32 exec_lo, exec_lo, s16
	s_cbranch_execnz .LBB7_1951
.LBB7_1933:
	s_or_b32 exec_lo, exec_lo, s16
	s_and_saveexec_b32 s16, s15
	s_cbranch_execz .LBB7_1935
.LBB7_1934:
	v_and_b32_e32 v5, 0xffff, v1
	v_lshlrev_b32_e32 v1, 24, v1
	s_delay_alu instid0(VALU_DEP_2) | instskip(SKIP_1) | instid1(VALU_DEP_3)
	v_and_b32_e32 v7, 7, v5
	v_bfe_u32 v12, v5, 3, 4
	v_and_b32_e32 v1, 0x80000000, v1
	s_delay_alu instid0(VALU_DEP_3) | instskip(NEXT) | instid1(VALU_DEP_3)
	v_clz_i32_u32_e32 v9, v7
	v_cmp_eq_u32_e32 vcc_lo, 0, v12
	s_delay_alu instid0(VALU_DEP_2) | instskip(NEXT) | instid1(VALU_DEP_1)
	v_min_u32_e32 v9, 32, v9
	v_subrev_nc_u32_e32 v11, 28, v9
	v_sub_nc_u32_e32 v9, 29, v9
	s_delay_alu instid0(VALU_DEP_2) | instskip(NEXT) | instid1(VALU_DEP_2)
	v_lshlrev_b32_e32 v5, v11, v5
	v_cndmask_b32_e32 v9, v12, v9, vcc_lo
	s_delay_alu instid0(VALU_DEP_2) | instskip(NEXT) | instid1(VALU_DEP_1)
	v_and_b32_e32 v5, 7, v5
	v_cndmask_b32_e32 v5, v7, v5, vcc_lo
	s_delay_alu instid0(VALU_DEP_3) | instskip(NEXT) | instid1(VALU_DEP_2)
	v_lshl_add_u32 v7, v9, 23, 0x3b800000
	v_lshlrev_b32_e32 v5, 20, v5
	s_delay_alu instid0(VALU_DEP_1) | instskip(NEXT) | instid1(VALU_DEP_1)
	v_or3_b32 v1, v1, v7, v5
	v_cvt_f64_f32_e32 v[12:13], v1
.LBB7_1935:
	s_or_b32 exec_lo, exec_lo, s16
.LBB7_1936:
	s_mov_b32 s15, -1
.LBB7_1937:
	s_mov_b32 s16, 0
.LBB7_1938:
	s_delay_alu instid0(SALU_CYCLE_1)
	s_and_b32 vcc_lo, exec_lo, s16
	s_cbranch_vccz .LBB7_1971
; %bb.1939:
	s_cmp_gt_i32 s11, 22
	s_cbranch_scc0 .LBB7_1949
; %bb.1940:
	s_cmp_lt_i32 s11, 24
	s_cbranch_scc1 .LBB7_1952
; %bb.1941:
	s_cmp_gt_i32 s11, 24
	s_cbranch_scc0 .LBB7_1953
; %bb.1942:
	global_load_u8 v1, v[24:25], off
	s_mov_b32 s15, exec_lo
	s_wait_loadcnt 0x0
	v_cmpx_lt_i16_e32 0x7f, v1
	s_xor_b32 s15, exec_lo, s15
	s_cbranch_execz .LBB7_1965
; %bb.1943:
	s_mov_b32 s14, -1
	s_mov_b32 s16, exec_lo
	v_cmpx_eq_u16_e32 0x80, v1
; %bb.1944:
	s_xor_b32 s14, exec_lo, -1
; %bb.1945:
	s_or_b32 exec_lo, exec_lo, s16
	s_delay_alu instid0(SALU_CYCLE_1)
	s_and_b32 s14, s14, exec_lo
	s_or_saveexec_b32 s15, s15
	v_mov_b64_e32 v[12:13], 0x7ff8000020000000
	s_xor_b32 exec_lo, exec_lo, s15
	s_cbranch_execnz .LBB7_1966
.LBB7_1946:
	s_or_b32 exec_lo, exec_lo, s15
	s_and_saveexec_b32 s15, s14
	s_cbranch_execz .LBB7_1948
.LBB7_1947:
	v_and_b32_e32 v5, 0xffff, v1
	v_lshlrev_b32_e32 v1, 24, v1
	s_delay_alu instid0(VALU_DEP_2) | instskip(SKIP_1) | instid1(VALU_DEP_3)
	v_and_b32_e32 v7, 3, v5
	v_bfe_u32 v12, v5, 2, 5
	v_and_b32_e32 v1, 0x80000000, v1
	s_delay_alu instid0(VALU_DEP_3) | instskip(NEXT) | instid1(VALU_DEP_3)
	v_clz_i32_u32_e32 v9, v7
	v_cmp_eq_u32_e32 vcc_lo, 0, v12
	s_delay_alu instid0(VALU_DEP_2) | instskip(NEXT) | instid1(VALU_DEP_1)
	v_min_u32_e32 v9, 32, v9
	v_subrev_nc_u32_e32 v11, 29, v9
	v_sub_nc_u32_e32 v9, 30, v9
	s_delay_alu instid0(VALU_DEP_2) | instskip(NEXT) | instid1(VALU_DEP_2)
	v_lshlrev_b32_e32 v5, v11, v5
	v_cndmask_b32_e32 v9, v12, v9, vcc_lo
	s_delay_alu instid0(VALU_DEP_2) | instskip(NEXT) | instid1(VALU_DEP_1)
	v_and_b32_e32 v5, 3, v5
	v_cndmask_b32_e32 v5, v7, v5, vcc_lo
	s_delay_alu instid0(VALU_DEP_3) | instskip(NEXT) | instid1(VALU_DEP_2)
	v_lshl_add_u32 v7, v9, 23, 0x37800000
	v_lshlrev_b32_e32 v5, 21, v5
	s_delay_alu instid0(VALU_DEP_1) | instskip(NEXT) | instid1(VALU_DEP_1)
	v_or3_b32 v1, v1, v7, v5
	v_cvt_f64_f32_e32 v[12:13], v1
.LBB7_1948:
	s_or_b32 exec_lo, exec_lo, s15
	s_mov_b32 s14, 0
	s_branch .LBB7_1954
.LBB7_1949:
	s_mov_b32 s14, -1
                                        ; implicit-def: $vgpr12_vgpr13
	s_branch .LBB7_1960
.LBB7_1950:
	s_or_saveexec_b32 s16, s16
	v_mov_b64_e32 v[12:13], 0x7ff8000020000000
	s_xor_b32 exec_lo, exec_lo, s16
	s_cbranch_execz .LBB7_1933
.LBB7_1951:
	v_cmp_ne_u16_e32 vcc_lo, 0, v1
	v_mov_b64_e32 v[12:13], 0
	s_and_not1_b32 s15, s15, exec_lo
	s_and_b32 s17, vcc_lo, exec_lo
	s_delay_alu instid0(SALU_CYCLE_1)
	s_or_b32 s15, s15, s17
	s_or_b32 exec_lo, exec_lo, s16
	s_and_saveexec_b32 s16, s15
	s_cbranch_execnz .LBB7_1934
	s_branch .LBB7_1935
.LBB7_1952:
	s_mov_b32 s14, -1
                                        ; implicit-def: $vgpr12_vgpr13
	s_branch .LBB7_1957
.LBB7_1953:
	s_mov_b32 s14, -1
                                        ; implicit-def: $vgpr12_vgpr13
.LBB7_1954:
	s_delay_alu instid0(SALU_CYCLE_1)
	s_and_b32 vcc_lo, exec_lo, s14
	s_cbranch_vccz .LBB7_1956
; %bb.1955:
	global_load_u8 v1, v[24:25], off
	s_wait_loadcnt 0x0
	v_lshlrev_b32_e32 v1, 24, v1
	s_delay_alu instid0(VALU_DEP_1) | instskip(NEXT) | instid1(VALU_DEP_1)
	v_and_b32_e32 v5, 0x7f000000, v1
	v_clz_i32_u32_e32 v7, v5
	v_cmp_ne_u32_e32 vcc_lo, 0, v5
	v_add_nc_u32_e32 v11, 0x1000000, v5
	s_delay_alu instid0(VALU_DEP_3) | instskip(NEXT) | instid1(VALU_DEP_1)
	v_min_u32_e32 v7, 32, v7
	v_sub_nc_u32_e64 v7, v7, 4 clamp
	s_delay_alu instid0(VALU_DEP_1) | instskip(NEXT) | instid1(VALU_DEP_1)
	v_dual_lshlrev_b32 v9, v7, v5 :: v_dual_lshlrev_b32 v7, 23, v7
	v_lshrrev_b32_e32 v9, 4, v9
	s_delay_alu instid0(VALU_DEP_1) | instskip(SKIP_1) | instid1(VALU_DEP_2)
	v_sub_nc_u32_e32 v7, v9, v7
	v_ashrrev_i32_e32 v9, 8, v11
	v_add_nc_u32_e32 v7, 0x3c000000, v7
	s_delay_alu instid0(VALU_DEP_1) | instskip(NEXT) | instid1(VALU_DEP_1)
	v_and_or_b32 v7, 0x7f800000, v9, v7
	v_cndmask_b32_e32 v5, 0, v7, vcc_lo
	s_delay_alu instid0(VALU_DEP_1) | instskip(NEXT) | instid1(VALU_DEP_1)
	v_and_or_b32 v1, 0x80000000, v1, v5
	v_cvt_f64_f32_e32 v[12:13], v1
.LBB7_1956:
	s_mov_b32 s14, 0
.LBB7_1957:
	s_delay_alu instid0(SALU_CYCLE_1)
	s_and_not1_b32 vcc_lo, exec_lo, s14
	s_cbranch_vccnz .LBB7_1959
; %bb.1958:
	global_load_u8 v1, v[24:25], off
	s_wait_loadcnt 0x0
	v_lshlrev_b32_e32 v5, 25, v1
	v_lshlrev_b16 v1, 8, v1
	s_delay_alu instid0(VALU_DEP_2) | instskip(NEXT) | instid1(VALU_DEP_2)
	v_lshrrev_b32_e32 v7, 4, v5
	v_and_or_b32 v9, 0x7f00, v1, 0.5
	v_cmp_gt_u32_e32 vcc_lo, 0x8000000, v5
	v_bfe_i32 v1, v1, 0, 16
	s_delay_alu instid0(VALU_DEP_4) | instskip(NEXT) | instid1(VALU_DEP_4)
	v_or_b32_e32 v7, 0x70000000, v7
	v_add_f32_e32 v9, -0.5, v9
	s_delay_alu instid0(VALU_DEP_2) | instskip(NEXT) | instid1(VALU_DEP_1)
	v_mul_f32_e32 v7, 0x7800000, v7
	v_cndmask_b32_e32 v5, v7, v9, vcc_lo
	s_delay_alu instid0(VALU_DEP_1) | instskip(NEXT) | instid1(VALU_DEP_1)
	v_and_or_b32 v1, 0x80000000, v1, v5
	v_cvt_f64_f32_e32 v[12:13], v1
.LBB7_1959:
	s_mov_b32 s14, 0
	s_mov_b32 s15, -1
.LBB7_1960:
	s_and_not1_b32 vcc_lo, exec_lo, s14
	s_mov_b32 s14, 0
	s_cbranch_vccnz .LBB7_1971
; %bb.1961:
	s_cmp_gt_i32 s11, 14
	s_cbranch_scc0 .LBB7_1964
; %bb.1962:
	s_cmp_eq_u32 s11, 15
	s_cbranch_scc0 .LBB7_1967
; %bb.1963:
	global_load_u16 v1, v[24:25], off
	s_mov_b32 s13, 0
	s_mov_b32 s15, -1
	s_wait_loadcnt 0x0
	v_lshlrev_b32_e32 v1, 16, v1
	s_delay_alu instid0(VALU_DEP_1)
	v_cvt_f64_f32_e32 v[12:13], v1
	s_branch .LBB7_1969
.LBB7_1964:
	s_mov_b32 s14, -1
	s_branch .LBB7_1968
.LBB7_1965:
	s_or_saveexec_b32 s15, s15
	v_mov_b64_e32 v[12:13], 0x7ff8000020000000
	s_xor_b32 exec_lo, exec_lo, s15
	s_cbranch_execz .LBB7_1946
.LBB7_1966:
	v_cmp_ne_u16_e32 vcc_lo, 0, v1
	v_mov_b64_e32 v[12:13], 0
	s_and_not1_b32 s14, s14, exec_lo
	s_and_b32 s16, vcc_lo, exec_lo
	s_delay_alu instid0(SALU_CYCLE_1)
	s_or_b32 s14, s14, s16
	s_or_b32 exec_lo, exec_lo, s15
	s_and_saveexec_b32 s15, s14
	s_cbranch_execnz .LBB7_1947
	s_branch .LBB7_1948
.LBB7_1967:
	s_mov_b32 s13, -1
.LBB7_1968:
                                        ; implicit-def: $vgpr12_vgpr13
.LBB7_1969:
	s_and_b32 vcc_lo, exec_lo, s14
	s_mov_b32 s14, 0
	s_cbranch_vccz .LBB7_1971
; %bb.1970:
	s_cmp_lg_u32 s11, 11
	s_mov_b32 s14, -1
	s_cselect_b32 s13, -1, 0
.LBB7_1971:
	s_delay_alu instid0(SALU_CYCLE_1)
	s_and_b32 vcc_lo, exec_lo, s13
	s_cbranch_vccnz .LBB7_2034
; %bb.1972:
	s_and_not1_b32 vcc_lo, exec_lo, s14
	s_cbranch_vccnz .LBB7_1974
.LBB7_1973:
	global_load_u8 v1, v[24:25], off
	v_mov_b32_e32 v12, 0
	s_mov_b32 s15, -1
	s_wait_loadcnt 0x0
	v_cmp_ne_u16_e32 vcc_lo, 0, v1
	v_cndmask_b32_e64 v13, 0, 0x3ff00000, vcc_lo
.LBB7_1974:
	s_branch .LBB7_1901
.LBB7_1975:
	s_cmp_lt_i32 s11, 5
	s_cbranch_scc1 .LBB7_1980
; %bb.1976:
	s_cmp_lt_i32 s11, 8
	s_cbranch_scc1 .LBB7_1981
; %bb.1977:
	;; [unrolled: 3-line block ×3, first 2 shown]
	s_cmp_gt_i32 s11, 9
	s_cbranch_scc0 .LBB7_1983
; %bb.1979:
	global_load_b64 v[12:13], v[24:25], off
	s_mov_b32 s13, 0
	s_branch .LBB7_1984
.LBB7_1980:
	s_mov_b32 s13, -1
                                        ; implicit-def: $vgpr12_vgpr13
	s_branch .LBB7_2002
.LBB7_1981:
	s_mov_b32 s13, -1
                                        ; implicit-def: $vgpr12_vgpr13
	s_branch .LBB7_1990
.LBB7_1982:
	s_mov_b32 s13, -1
                                        ; implicit-def: $vgpr12_vgpr13
	s_branch .LBB7_1987
.LBB7_1983:
	s_mov_b32 s13, -1
                                        ; implicit-def: $vgpr12_vgpr13
.LBB7_1984:
	s_delay_alu instid0(SALU_CYCLE_1)
	s_and_not1_b32 vcc_lo, exec_lo, s13
	s_cbranch_vccnz .LBB7_1986
; %bb.1985:
	global_load_b32 v1, v[24:25], off
	s_wait_loadcnt 0x0
	v_cvt_f64_f32_e32 v[12:13], v1
.LBB7_1986:
	s_mov_b32 s13, 0
.LBB7_1987:
	s_delay_alu instid0(SALU_CYCLE_1)
	s_and_not1_b32 vcc_lo, exec_lo, s13
	s_cbranch_vccnz .LBB7_1989
; %bb.1988:
	global_load_b32 v1, v[24:25], off
	s_wait_loadcnt 0x0
	v_cvt_f32_f16_e32 v1, v1
	s_delay_alu instid0(VALU_DEP_1)
	v_cvt_f64_f32_e32 v[12:13], v1
.LBB7_1989:
	s_mov_b32 s13, 0
.LBB7_1990:
	s_delay_alu instid0(SALU_CYCLE_1)
	s_and_not1_b32 vcc_lo, exec_lo, s13
	s_cbranch_vccnz .LBB7_2001
; %bb.1991:
	s_cmp_lt_i32 s11, 6
	s_cbranch_scc1 .LBB7_1994
; %bb.1992:
	s_cmp_gt_i32 s11, 6
	s_cbranch_scc0 .LBB7_1995
; %bb.1993:
	s_wait_loadcnt 0x0
	global_load_b64 v[12:13], v[24:25], off
	s_mov_b32 s13, 0
	s_branch .LBB7_1996
.LBB7_1994:
	s_mov_b32 s13, -1
                                        ; implicit-def: $vgpr12_vgpr13
	s_branch .LBB7_1999
.LBB7_1995:
	s_mov_b32 s13, -1
                                        ; implicit-def: $vgpr12_vgpr13
.LBB7_1996:
	s_delay_alu instid0(SALU_CYCLE_1)
	s_and_not1_b32 vcc_lo, exec_lo, s13
	s_cbranch_vccnz .LBB7_1998
; %bb.1997:
	global_load_b32 v1, v[24:25], off
	s_wait_loadcnt 0x0
	v_cvt_f64_f32_e32 v[12:13], v1
.LBB7_1998:
	s_mov_b32 s13, 0
.LBB7_1999:
	s_delay_alu instid0(SALU_CYCLE_1)
	s_and_not1_b32 vcc_lo, exec_lo, s13
	s_cbranch_vccnz .LBB7_2001
; %bb.2000:
	global_load_u16 v1, v[24:25], off
	s_wait_loadcnt 0x0
	v_cvt_f32_f16_e32 v1, v1
	s_delay_alu instid0(VALU_DEP_1)
	v_cvt_f64_f32_e32 v[12:13], v1
.LBB7_2001:
	s_mov_b32 s13, 0
.LBB7_2002:
	s_delay_alu instid0(SALU_CYCLE_1)
	s_and_not1_b32 vcc_lo, exec_lo, s13
	s_cbranch_vccnz .LBB7_2022
; %bb.2003:
	s_cmp_lt_i32 s11, 2
	s_cbranch_scc1 .LBB7_2007
; %bb.2004:
	s_cmp_lt_i32 s11, 3
	s_cbranch_scc1 .LBB7_2008
; %bb.2005:
	s_cmp_gt_i32 s11, 3
	s_cbranch_scc0 .LBB7_2009
; %bb.2006:
	s_wait_loadcnt 0x0
	global_load_b64 v[12:13], v[24:25], off
	s_mov_b32 s13, 0
	s_wait_loadcnt 0x0
	v_cvt_f64_i32_e32 v[26:27], v13
	v_cvt_f64_u32_e32 v[12:13], v12
	s_delay_alu instid0(VALU_DEP_2) | instskip(NEXT) | instid1(VALU_DEP_1)
	v_ldexp_f64 v[26:27], v[26:27], 32
	v_add_f64_e32 v[12:13], v[26:27], v[12:13]
	s_branch .LBB7_2010
.LBB7_2007:
	s_mov_b32 s13, -1
                                        ; implicit-def: $vgpr12_vgpr13
	s_branch .LBB7_2016
.LBB7_2008:
	s_mov_b32 s13, -1
                                        ; implicit-def: $vgpr12_vgpr13
	s_branch .LBB7_2013
.LBB7_2009:
	s_mov_b32 s13, -1
                                        ; implicit-def: $vgpr12_vgpr13
.LBB7_2010:
	s_delay_alu instid0(SALU_CYCLE_1)
	s_and_not1_b32 vcc_lo, exec_lo, s13
	s_cbranch_vccnz .LBB7_2012
; %bb.2011:
	global_load_b32 v1, v[24:25], off
	s_wait_loadcnt 0x0
	v_cvt_f64_i32_e32 v[12:13], v1
.LBB7_2012:
	s_mov_b32 s13, 0
.LBB7_2013:
	s_delay_alu instid0(SALU_CYCLE_1)
	s_and_not1_b32 vcc_lo, exec_lo, s13
	s_cbranch_vccnz .LBB7_2015
; %bb.2014:
	global_load_i16 v1, v[24:25], off
	s_wait_loadcnt 0x0
	v_cvt_f64_i32_e32 v[12:13], v1
.LBB7_2015:
	s_mov_b32 s13, 0
.LBB7_2016:
	s_delay_alu instid0(SALU_CYCLE_1)
	s_and_not1_b32 vcc_lo, exec_lo, s13
	s_cbranch_vccnz .LBB7_2022
; %bb.2017:
	s_cmp_gt_i32 s11, 0
	s_mov_b32 s13, 0
	s_cbranch_scc0 .LBB7_2019
; %bb.2018:
	global_load_i8 v1, v[24:25], off
	s_wait_loadcnt 0x0
	v_cvt_f64_i32_e32 v[12:13], v1
	s_branch .LBB7_2020
.LBB7_2019:
	s_mov_b32 s13, -1
                                        ; implicit-def: $vgpr12_vgpr13
.LBB7_2020:
	s_delay_alu instid0(SALU_CYCLE_1)
	s_and_not1_b32 vcc_lo, exec_lo, s13
	s_cbranch_vccnz .LBB7_2022
; %bb.2021:
	global_load_u8 v1, v[24:25], off
	s_wait_loadcnt 0x0
	v_cvt_f64_u32_e32 v[12:13], v1
.LBB7_2022:
.LBB7_2023:
	v_mov_b32_e32 v21, 0
	s_and_b32 s12, 0xffff, s12
	s_delay_alu instid0(SALU_CYCLE_1) | instskip(SKIP_1) | instid1(VALU_DEP_1)
	s_cmp_lt_i32 s12, 11
	s_wait_xcnt 0x0
	v_add_nc_u64_e32 v[24:25], s[0:1], v[20:21]
	s_cbranch_scc1 .LBB7_2030
; %bb.2024:
	s_cmp_gt_i32 s12, 25
	s_mov_b32 s14, 0
	s_cbranch_scc0 .LBB7_2031
; %bb.2025:
	s_cmp_gt_i32 s12, 28
	s_cbranch_scc0 .LBB7_2032
; %bb.2026:
	s_cmp_gt_i32 s12, 43
	s_cbranch_scc0 .LBB7_2033
; %bb.2027:
	s_cmp_gt_i32 s12, 45
	s_cbranch_scc0 .LBB7_2035
; %bb.2028:
	s_cmp_eq_u32 s12, 46
	s_mov_b32 s16, 0
	s_cbranch_scc0 .LBB7_2036
; %bb.2029:
	global_load_b32 v1, v[24:25], off
	s_mov_b32 s13, 0
	s_mov_b32 s15, -1
	s_wait_loadcnt 0x0
	v_lshlrev_b32_e32 v1, 16, v1
	s_delay_alu instid0(VALU_DEP_1)
	v_cvt_f64_f32_e32 v[20:21], v1
	s_branch .LBB7_2038
.LBB7_2030:
	s_mov_b32 s13, -1
	s_mov_b32 s15, 0
                                        ; implicit-def: $vgpr20_vgpr21
	s_branch .LBB7_2104
.LBB7_2031:
	s_mov_b32 s16, -1
	s_mov_b32 s15, 0
	s_mov_b32 s13, 0
                                        ; implicit-def: $vgpr20_vgpr21
	s_branch .LBB7_2067
.LBB7_2032:
	s_mov_b32 s16, -1
	s_mov_b32 s15, 0
	s_mov_b32 s13, 0
                                        ; implicit-def: $vgpr20_vgpr21
	s_branch .LBB7_2048
.LBB7_2033:
	s_mov_b32 s16, -1
	s_mov_b32 s15, 0
	s_mov_b32 s13, 0
                                        ; implicit-def: $vgpr20_vgpr21
	s_branch .LBB7_2043
.LBB7_2034:
	s_or_b32 s10, s10, exec_lo
	s_trap 2
	s_cbranch_execz .LBB7_1973
	s_branch .LBB7_1974
.LBB7_2035:
	s_mov_b32 s16, -1
	s_mov_b32 s15, 0
	s_mov_b32 s13, 0
	s_branch .LBB7_2037
.LBB7_2036:
	s_mov_b32 s13, -1
	s_mov_b32 s15, 0
.LBB7_2037:
                                        ; implicit-def: $vgpr20_vgpr21
.LBB7_2038:
	s_and_b32 vcc_lo, exec_lo, s16
	s_cbranch_vccz .LBB7_2042
; %bb.2039:
	s_cmp_eq_u32 s12, 44
	s_cbranch_scc0 .LBB7_2041
; %bb.2040:
	global_load_u8 v1, v[24:25], off
	s_mov_b32 s13, 0
	s_mov_b32 s15, -1
	s_wait_loadcnt 0x0
	v_lshlrev_b32_e32 v5, 23, v1
	v_cmp_ne_u32_e32 vcc_lo, 0xff, v1
	s_delay_alu instid0(VALU_DEP_2) | instskip(NEXT) | instid1(VALU_DEP_1)
	v_cvt_f64_f32_e32 v[20:21], v5
	v_cndmask_b32_e32 v5, 0x20000000, v20, vcc_lo
	s_delay_alu instid0(VALU_DEP_2) | instskip(SKIP_1) | instid1(VALU_DEP_2)
	v_cndmask_b32_e32 v7, 0x7ff80000, v21, vcc_lo
	v_cmp_ne_u32_e32 vcc_lo, 0, v1
	v_cndmask_b32_e32 v21, 0x38000000, v7, vcc_lo
	s_delay_alu instid0(VALU_DEP_4)
	v_cndmask_b32_e32 v20, 0, v5, vcc_lo
	s_branch .LBB7_2042
.LBB7_2041:
	s_mov_b32 s13, -1
                                        ; implicit-def: $vgpr20_vgpr21
.LBB7_2042:
	s_mov_b32 s16, 0
.LBB7_2043:
	s_delay_alu instid0(SALU_CYCLE_1)
	s_and_b32 vcc_lo, exec_lo, s16
	s_cbranch_vccz .LBB7_2047
; %bb.2044:
	s_cmp_eq_u32 s12, 29
	s_cbranch_scc0 .LBB7_2046
; %bb.2045:
	global_load_b64 v[20:21], v[24:25], off
	s_mov_b32 s13, 0
	s_mov_b32 s15, -1
	s_mov_b32 s16, 0
	s_wait_loadcnt 0x0
	v_cvt_f64_u32_e32 v[26:27], v21
	v_cvt_f64_u32_e32 v[20:21], v20
	s_delay_alu instid0(VALU_DEP_2) | instskip(NEXT) | instid1(VALU_DEP_1)
	v_ldexp_f64 v[26:27], v[26:27], 32
	v_add_f64_e32 v[20:21], v[26:27], v[20:21]
	s_branch .LBB7_2048
.LBB7_2046:
	s_mov_b32 s13, -1
                                        ; implicit-def: $vgpr20_vgpr21
.LBB7_2047:
	s_mov_b32 s16, 0
.LBB7_2048:
	s_delay_alu instid0(SALU_CYCLE_1)
	s_and_b32 vcc_lo, exec_lo, s16
	s_cbranch_vccz .LBB7_2066
; %bb.2049:
	s_cmp_lt_i32 s12, 27
	s_cbranch_scc1 .LBB7_2052
; %bb.2050:
	s_cmp_gt_i32 s12, 27
	s_cbranch_scc0 .LBB7_2053
; %bb.2051:
	global_load_b32 v1, v[24:25], off
	s_mov_b32 s15, 0
	s_wait_loadcnt 0x0
	v_cvt_f64_u32_e32 v[20:21], v1
	s_branch .LBB7_2054
.LBB7_2052:
	s_mov_b32 s15, -1
                                        ; implicit-def: $vgpr20_vgpr21
	s_branch .LBB7_2057
.LBB7_2053:
	s_mov_b32 s15, -1
                                        ; implicit-def: $vgpr20_vgpr21
.LBB7_2054:
	s_delay_alu instid0(SALU_CYCLE_1)
	s_and_not1_b32 vcc_lo, exec_lo, s15
	s_cbranch_vccnz .LBB7_2056
; %bb.2055:
	global_load_u16 v1, v[24:25], off
	s_wait_loadcnt 0x0
	v_cvt_f64_u32_e32 v[20:21], v1
.LBB7_2056:
	s_mov_b32 s15, 0
.LBB7_2057:
	s_delay_alu instid0(SALU_CYCLE_1)
	s_and_not1_b32 vcc_lo, exec_lo, s15
	s_cbranch_vccnz .LBB7_2065
; %bb.2058:
	global_load_u8 v1, v[24:25], off
	s_mov_b32 s15, 0
	s_mov_b32 s16, exec_lo
	s_wait_loadcnt 0x0
	v_cmpx_lt_i16_e32 0x7f, v1
	s_xor_b32 s16, exec_lo, s16
	s_cbranch_execz .LBB7_2079
; %bb.2059:
	s_mov_b32 s15, -1
	s_mov_b32 s17, exec_lo
	v_cmpx_eq_u16_e32 0x80, v1
; %bb.2060:
	s_xor_b32 s15, exec_lo, -1
; %bb.2061:
	s_or_b32 exec_lo, exec_lo, s17
	s_delay_alu instid0(SALU_CYCLE_1)
	s_and_b32 s15, s15, exec_lo
	s_or_saveexec_b32 s16, s16
	v_mov_b64_e32 v[20:21], 0x7ff8000020000000
	s_xor_b32 exec_lo, exec_lo, s16
	s_cbranch_execnz .LBB7_2080
.LBB7_2062:
	s_or_b32 exec_lo, exec_lo, s16
	s_and_saveexec_b32 s16, s15
	s_cbranch_execz .LBB7_2064
.LBB7_2063:
	v_and_b32_e32 v5, 0xffff, v1
	v_lshlrev_b32_e32 v1, 24, v1
	s_delay_alu instid0(VALU_DEP_2) | instskip(SKIP_1) | instid1(VALU_DEP_3)
	v_and_b32_e32 v7, 7, v5
	v_bfe_u32 v17, v5, 3, 4
	v_and_b32_e32 v1, 0x80000000, v1
	s_delay_alu instid0(VALU_DEP_3) | instskip(NEXT) | instid1(VALU_DEP_3)
	v_clz_i32_u32_e32 v9, v7
	v_cmp_eq_u32_e32 vcc_lo, 0, v17
	s_delay_alu instid0(VALU_DEP_2) | instskip(NEXT) | instid1(VALU_DEP_1)
	v_min_u32_e32 v9, 32, v9
	v_subrev_nc_u32_e32 v11, 28, v9
	v_sub_nc_u32_e32 v9, 29, v9
	s_delay_alu instid0(VALU_DEP_2) | instskip(NEXT) | instid1(VALU_DEP_2)
	v_lshlrev_b32_e32 v5, v11, v5
	v_cndmask_b32_e32 v9, v17, v9, vcc_lo
	s_delay_alu instid0(VALU_DEP_2) | instskip(NEXT) | instid1(VALU_DEP_1)
	v_and_b32_e32 v5, 7, v5
	v_cndmask_b32_e32 v5, v7, v5, vcc_lo
	s_delay_alu instid0(VALU_DEP_3) | instskip(NEXT) | instid1(VALU_DEP_2)
	v_lshl_add_u32 v7, v9, 23, 0x3b800000
	v_lshlrev_b32_e32 v5, 20, v5
	s_delay_alu instid0(VALU_DEP_1) | instskip(NEXT) | instid1(VALU_DEP_1)
	v_or3_b32 v1, v1, v7, v5
	v_cvt_f64_f32_e32 v[20:21], v1
.LBB7_2064:
	s_or_b32 exec_lo, exec_lo, s16
.LBB7_2065:
	s_mov_b32 s15, -1
.LBB7_2066:
	s_mov_b32 s16, 0
.LBB7_2067:
	s_delay_alu instid0(SALU_CYCLE_1)
	s_and_b32 vcc_lo, exec_lo, s16
	s_cbranch_vccz .LBB7_2100
; %bb.2068:
	s_cmp_gt_i32 s12, 22
	s_cbranch_scc0 .LBB7_2078
; %bb.2069:
	s_cmp_lt_i32 s12, 24
	s_cbranch_scc1 .LBB7_2081
; %bb.2070:
	s_cmp_gt_i32 s12, 24
	s_cbranch_scc0 .LBB7_2082
; %bb.2071:
	global_load_u8 v1, v[24:25], off
	s_mov_b32 s15, exec_lo
	s_wait_loadcnt 0x0
	v_cmpx_lt_i16_e32 0x7f, v1
	s_xor_b32 s15, exec_lo, s15
	s_cbranch_execz .LBB7_2094
; %bb.2072:
	s_mov_b32 s14, -1
	s_mov_b32 s16, exec_lo
	v_cmpx_eq_u16_e32 0x80, v1
; %bb.2073:
	s_xor_b32 s14, exec_lo, -1
; %bb.2074:
	s_or_b32 exec_lo, exec_lo, s16
	s_delay_alu instid0(SALU_CYCLE_1)
	s_and_b32 s14, s14, exec_lo
	s_or_saveexec_b32 s15, s15
	v_mov_b64_e32 v[20:21], 0x7ff8000020000000
	s_xor_b32 exec_lo, exec_lo, s15
	s_cbranch_execnz .LBB7_2095
.LBB7_2075:
	s_or_b32 exec_lo, exec_lo, s15
	s_and_saveexec_b32 s15, s14
	s_cbranch_execz .LBB7_2077
.LBB7_2076:
	v_and_b32_e32 v5, 0xffff, v1
	v_lshlrev_b32_e32 v1, 24, v1
	s_delay_alu instid0(VALU_DEP_2) | instskip(SKIP_1) | instid1(VALU_DEP_3)
	v_and_b32_e32 v7, 3, v5
	v_bfe_u32 v17, v5, 2, 5
	v_and_b32_e32 v1, 0x80000000, v1
	s_delay_alu instid0(VALU_DEP_3) | instskip(NEXT) | instid1(VALU_DEP_3)
	v_clz_i32_u32_e32 v9, v7
	v_cmp_eq_u32_e32 vcc_lo, 0, v17
	s_delay_alu instid0(VALU_DEP_2) | instskip(NEXT) | instid1(VALU_DEP_1)
	v_min_u32_e32 v9, 32, v9
	v_subrev_nc_u32_e32 v11, 29, v9
	v_sub_nc_u32_e32 v9, 30, v9
	s_delay_alu instid0(VALU_DEP_2) | instskip(NEXT) | instid1(VALU_DEP_2)
	v_lshlrev_b32_e32 v5, v11, v5
	v_cndmask_b32_e32 v9, v17, v9, vcc_lo
	s_delay_alu instid0(VALU_DEP_2) | instskip(NEXT) | instid1(VALU_DEP_1)
	v_and_b32_e32 v5, 3, v5
	v_cndmask_b32_e32 v5, v7, v5, vcc_lo
	s_delay_alu instid0(VALU_DEP_3) | instskip(NEXT) | instid1(VALU_DEP_2)
	v_lshl_add_u32 v7, v9, 23, 0x37800000
	v_lshlrev_b32_e32 v5, 21, v5
	s_delay_alu instid0(VALU_DEP_1) | instskip(NEXT) | instid1(VALU_DEP_1)
	v_or3_b32 v1, v1, v7, v5
	v_cvt_f64_f32_e32 v[20:21], v1
.LBB7_2077:
	s_or_b32 exec_lo, exec_lo, s15
	s_mov_b32 s14, 0
	s_branch .LBB7_2083
.LBB7_2078:
	s_mov_b32 s14, -1
                                        ; implicit-def: $vgpr20_vgpr21
	s_branch .LBB7_2089
.LBB7_2079:
	s_or_saveexec_b32 s16, s16
	v_mov_b64_e32 v[20:21], 0x7ff8000020000000
	s_xor_b32 exec_lo, exec_lo, s16
	s_cbranch_execz .LBB7_2062
.LBB7_2080:
	v_cmp_ne_u16_e32 vcc_lo, 0, v1
	v_mov_b64_e32 v[20:21], 0
	s_and_not1_b32 s15, s15, exec_lo
	s_and_b32 s17, vcc_lo, exec_lo
	s_delay_alu instid0(SALU_CYCLE_1)
	s_or_b32 s15, s15, s17
	s_or_b32 exec_lo, exec_lo, s16
	s_and_saveexec_b32 s16, s15
	s_cbranch_execnz .LBB7_2063
	s_branch .LBB7_2064
.LBB7_2081:
	s_mov_b32 s14, -1
                                        ; implicit-def: $vgpr20_vgpr21
	s_branch .LBB7_2086
.LBB7_2082:
	s_mov_b32 s14, -1
                                        ; implicit-def: $vgpr20_vgpr21
.LBB7_2083:
	s_delay_alu instid0(SALU_CYCLE_1)
	s_and_b32 vcc_lo, exec_lo, s14
	s_cbranch_vccz .LBB7_2085
; %bb.2084:
	global_load_u8 v1, v[24:25], off
	s_wait_loadcnt 0x0
	v_lshlrev_b32_e32 v1, 24, v1
	s_delay_alu instid0(VALU_DEP_1) | instskip(NEXT) | instid1(VALU_DEP_1)
	v_and_b32_e32 v5, 0x7f000000, v1
	v_clz_i32_u32_e32 v7, v5
	v_cmp_ne_u32_e32 vcc_lo, 0, v5
	v_add_nc_u32_e32 v11, 0x1000000, v5
	s_delay_alu instid0(VALU_DEP_3) | instskip(NEXT) | instid1(VALU_DEP_1)
	v_min_u32_e32 v7, 32, v7
	v_sub_nc_u32_e64 v7, v7, 4 clamp
	s_delay_alu instid0(VALU_DEP_1) | instskip(NEXT) | instid1(VALU_DEP_1)
	v_dual_lshlrev_b32 v9, v7, v5 :: v_dual_lshlrev_b32 v7, 23, v7
	v_lshrrev_b32_e32 v9, 4, v9
	s_delay_alu instid0(VALU_DEP_1) | instskip(SKIP_1) | instid1(VALU_DEP_2)
	v_sub_nc_u32_e32 v7, v9, v7
	v_ashrrev_i32_e32 v9, 8, v11
	v_add_nc_u32_e32 v7, 0x3c000000, v7
	s_delay_alu instid0(VALU_DEP_1) | instskip(NEXT) | instid1(VALU_DEP_1)
	v_and_or_b32 v7, 0x7f800000, v9, v7
	v_cndmask_b32_e32 v5, 0, v7, vcc_lo
	s_delay_alu instid0(VALU_DEP_1) | instskip(NEXT) | instid1(VALU_DEP_1)
	v_and_or_b32 v1, 0x80000000, v1, v5
	v_cvt_f64_f32_e32 v[20:21], v1
.LBB7_2085:
	s_mov_b32 s14, 0
.LBB7_2086:
	s_delay_alu instid0(SALU_CYCLE_1)
	s_and_not1_b32 vcc_lo, exec_lo, s14
	s_cbranch_vccnz .LBB7_2088
; %bb.2087:
	global_load_u8 v1, v[24:25], off
	s_wait_loadcnt 0x0
	v_lshlrev_b32_e32 v5, 25, v1
	v_lshlrev_b16 v1, 8, v1
	s_delay_alu instid0(VALU_DEP_2) | instskip(NEXT) | instid1(VALU_DEP_2)
	v_lshrrev_b32_e32 v7, 4, v5
	v_and_or_b32 v9, 0x7f00, v1, 0.5
	v_cmp_gt_u32_e32 vcc_lo, 0x8000000, v5
	v_bfe_i32 v1, v1, 0, 16
	s_delay_alu instid0(VALU_DEP_4) | instskip(NEXT) | instid1(VALU_DEP_4)
	v_or_b32_e32 v7, 0x70000000, v7
	v_add_f32_e32 v9, -0.5, v9
	s_delay_alu instid0(VALU_DEP_2) | instskip(NEXT) | instid1(VALU_DEP_1)
	v_mul_f32_e32 v7, 0x7800000, v7
	v_cndmask_b32_e32 v5, v7, v9, vcc_lo
	s_delay_alu instid0(VALU_DEP_1) | instskip(NEXT) | instid1(VALU_DEP_1)
	v_and_or_b32 v1, 0x80000000, v1, v5
	v_cvt_f64_f32_e32 v[20:21], v1
.LBB7_2088:
	s_mov_b32 s14, 0
	s_mov_b32 s15, -1
.LBB7_2089:
	s_and_not1_b32 vcc_lo, exec_lo, s14
	s_mov_b32 s14, 0
	s_cbranch_vccnz .LBB7_2100
; %bb.2090:
	s_cmp_gt_i32 s12, 14
	s_cbranch_scc0 .LBB7_2093
; %bb.2091:
	s_cmp_eq_u32 s12, 15
	s_cbranch_scc0 .LBB7_2096
; %bb.2092:
	global_load_u16 v1, v[24:25], off
	s_mov_b32 s13, 0
	s_mov_b32 s15, -1
	s_wait_loadcnt 0x0
	v_lshlrev_b32_e32 v1, 16, v1
	s_delay_alu instid0(VALU_DEP_1)
	v_cvt_f64_f32_e32 v[20:21], v1
	s_branch .LBB7_2098
.LBB7_2093:
	s_mov_b32 s14, -1
	s_branch .LBB7_2097
.LBB7_2094:
	s_or_saveexec_b32 s15, s15
	v_mov_b64_e32 v[20:21], 0x7ff8000020000000
	s_xor_b32 exec_lo, exec_lo, s15
	s_cbranch_execz .LBB7_2075
.LBB7_2095:
	v_cmp_ne_u16_e32 vcc_lo, 0, v1
	v_mov_b64_e32 v[20:21], 0
	s_and_not1_b32 s14, s14, exec_lo
	s_and_b32 s16, vcc_lo, exec_lo
	s_delay_alu instid0(SALU_CYCLE_1)
	s_or_b32 s14, s14, s16
	s_or_b32 exec_lo, exec_lo, s15
	s_and_saveexec_b32 s15, s14
	s_cbranch_execnz .LBB7_2076
	s_branch .LBB7_2077
.LBB7_2096:
	s_mov_b32 s13, -1
.LBB7_2097:
                                        ; implicit-def: $vgpr20_vgpr21
.LBB7_2098:
	s_and_b32 vcc_lo, exec_lo, s14
	s_mov_b32 s14, 0
	s_cbranch_vccz .LBB7_2100
; %bb.2099:
	s_cmp_lg_u32 s12, 11
	s_mov_b32 s14, -1
	s_cselect_b32 s13, -1, 0
.LBB7_2100:
	s_delay_alu instid0(SALU_CYCLE_1)
	s_and_b32 vcc_lo, exec_lo, s13
	s_cbranch_vccnz .LBB7_2165
; %bb.2101:
	s_and_not1_b32 vcc_lo, exec_lo, s14
	s_cbranch_vccnz .LBB7_2103
.LBB7_2102:
	global_load_u8 v1, v[24:25], off
	v_mov_b32_e32 v20, 0
	s_mov_b32 s15, -1
	s_wait_loadcnt 0x0
	v_cmp_ne_u16_e32 vcc_lo, 0, v1
	v_cndmask_b32_e64 v21, 0, 0x3ff00000, vcc_lo
.LBB7_2103:
	s_mov_b32 s13, 0
.LBB7_2104:
	s_delay_alu instid0(SALU_CYCLE_1)
	s_and_b32 vcc_lo, exec_lo, s13
	s_cbranch_vccz .LBB7_2153
; %bb.2105:
	s_cmp_lt_i32 s12, 5
	s_cbranch_scc1 .LBB7_2110
; %bb.2106:
	s_cmp_lt_i32 s12, 8
	s_cbranch_scc1 .LBB7_2111
	;; [unrolled: 3-line block ×3, first 2 shown]
; %bb.2108:
	s_cmp_gt_i32 s12, 9
	s_cbranch_scc0 .LBB7_2113
; %bb.2109:
	global_load_b64 v[20:21], v[24:25], off
	s_mov_b32 s13, 0
	s_branch .LBB7_2114
.LBB7_2110:
	s_mov_b32 s13, -1
                                        ; implicit-def: $vgpr20_vgpr21
	s_branch .LBB7_2132
.LBB7_2111:
	s_mov_b32 s13, -1
                                        ; implicit-def: $vgpr20_vgpr21
	s_branch .LBB7_2120
.LBB7_2112:
	s_mov_b32 s13, -1
                                        ; implicit-def: $vgpr20_vgpr21
	s_branch .LBB7_2117
.LBB7_2113:
	s_mov_b32 s13, -1
                                        ; implicit-def: $vgpr20_vgpr21
.LBB7_2114:
	s_delay_alu instid0(SALU_CYCLE_1)
	s_and_not1_b32 vcc_lo, exec_lo, s13
	s_cbranch_vccnz .LBB7_2116
; %bb.2115:
	global_load_b32 v1, v[24:25], off
	s_wait_loadcnt 0x0
	v_cvt_f64_f32_e32 v[20:21], v1
.LBB7_2116:
	s_mov_b32 s13, 0
.LBB7_2117:
	s_delay_alu instid0(SALU_CYCLE_1)
	s_and_not1_b32 vcc_lo, exec_lo, s13
	s_cbranch_vccnz .LBB7_2119
; %bb.2118:
	global_load_b32 v1, v[24:25], off
	s_wait_loadcnt 0x0
	v_cvt_f32_f16_e32 v1, v1
	s_delay_alu instid0(VALU_DEP_1)
	v_cvt_f64_f32_e32 v[20:21], v1
.LBB7_2119:
	s_mov_b32 s13, 0
.LBB7_2120:
	s_delay_alu instid0(SALU_CYCLE_1)
	s_and_not1_b32 vcc_lo, exec_lo, s13
	s_cbranch_vccnz .LBB7_2131
; %bb.2121:
	s_cmp_lt_i32 s12, 6
	s_cbranch_scc1 .LBB7_2124
; %bb.2122:
	s_cmp_gt_i32 s12, 6
	s_cbranch_scc0 .LBB7_2125
; %bb.2123:
	s_wait_loadcnt 0x0
	global_load_b64 v[20:21], v[24:25], off
	s_mov_b32 s13, 0
	s_branch .LBB7_2126
.LBB7_2124:
	s_mov_b32 s13, -1
                                        ; implicit-def: $vgpr20_vgpr21
	s_branch .LBB7_2129
.LBB7_2125:
	s_mov_b32 s13, -1
                                        ; implicit-def: $vgpr20_vgpr21
.LBB7_2126:
	s_delay_alu instid0(SALU_CYCLE_1)
	s_and_not1_b32 vcc_lo, exec_lo, s13
	s_cbranch_vccnz .LBB7_2128
; %bb.2127:
	global_load_b32 v1, v[24:25], off
	s_wait_loadcnt 0x0
	v_cvt_f64_f32_e32 v[20:21], v1
.LBB7_2128:
	s_mov_b32 s13, 0
.LBB7_2129:
	s_delay_alu instid0(SALU_CYCLE_1)
	s_and_not1_b32 vcc_lo, exec_lo, s13
	s_cbranch_vccnz .LBB7_2131
; %bb.2130:
	global_load_u16 v1, v[24:25], off
	s_wait_loadcnt 0x0
	v_cvt_f32_f16_e32 v1, v1
	s_delay_alu instid0(VALU_DEP_1)
	v_cvt_f64_f32_e32 v[20:21], v1
.LBB7_2131:
	s_mov_b32 s13, 0
.LBB7_2132:
	s_delay_alu instid0(SALU_CYCLE_1)
	s_and_not1_b32 vcc_lo, exec_lo, s13
	s_cbranch_vccnz .LBB7_2152
; %bb.2133:
	s_cmp_lt_i32 s12, 2
	s_cbranch_scc1 .LBB7_2137
; %bb.2134:
	s_cmp_lt_i32 s12, 3
	s_cbranch_scc1 .LBB7_2138
; %bb.2135:
	s_cmp_gt_i32 s12, 3
	s_cbranch_scc0 .LBB7_2139
; %bb.2136:
	s_wait_loadcnt 0x0
	global_load_b64 v[20:21], v[24:25], off
	s_mov_b32 s13, 0
	s_wait_loadcnt 0x0
	v_cvt_f64_i32_e32 v[26:27], v21
	v_cvt_f64_u32_e32 v[20:21], v20
	s_delay_alu instid0(VALU_DEP_2) | instskip(NEXT) | instid1(VALU_DEP_1)
	v_ldexp_f64 v[26:27], v[26:27], 32
	v_add_f64_e32 v[20:21], v[26:27], v[20:21]
	s_branch .LBB7_2140
.LBB7_2137:
	s_mov_b32 s13, -1
                                        ; implicit-def: $vgpr20_vgpr21
	s_branch .LBB7_2146
.LBB7_2138:
	s_mov_b32 s13, -1
                                        ; implicit-def: $vgpr20_vgpr21
	s_branch .LBB7_2143
.LBB7_2139:
	s_mov_b32 s13, -1
                                        ; implicit-def: $vgpr20_vgpr21
.LBB7_2140:
	s_delay_alu instid0(SALU_CYCLE_1)
	s_and_not1_b32 vcc_lo, exec_lo, s13
	s_cbranch_vccnz .LBB7_2142
; %bb.2141:
	global_load_b32 v1, v[24:25], off
	s_wait_loadcnt 0x0
	v_cvt_f64_i32_e32 v[20:21], v1
.LBB7_2142:
	s_mov_b32 s13, 0
.LBB7_2143:
	s_delay_alu instid0(SALU_CYCLE_1)
	s_and_not1_b32 vcc_lo, exec_lo, s13
	s_cbranch_vccnz .LBB7_2145
; %bb.2144:
	global_load_i16 v1, v[24:25], off
	s_wait_loadcnt 0x0
	v_cvt_f64_i32_e32 v[20:21], v1
.LBB7_2145:
	s_mov_b32 s13, 0
.LBB7_2146:
	s_delay_alu instid0(SALU_CYCLE_1)
	s_and_not1_b32 vcc_lo, exec_lo, s13
	s_cbranch_vccnz .LBB7_2152
; %bb.2147:
	s_cmp_gt_i32 s12, 0
	s_mov_b32 s13, 0
	s_cbranch_scc0 .LBB7_2149
; %bb.2148:
	global_load_i8 v1, v[24:25], off
	s_wait_loadcnt 0x0
	v_cvt_f64_i32_e32 v[20:21], v1
	s_branch .LBB7_2150
.LBB7_2149:
	s_mov_b32 s13, -1
                                        ; implicit-def: $vgpr20_vgpr21
.LBB7_2150:
	s_delay_alu instid0(SALU_CYCLE_1)
	s_and_not1_b32 vcc_lo, exec_lo, s13
	s_cbranch_vccnz .LBB7_2152
; %bb.2151:
	global_load_u8 v1, v[24:25], off
	s_wait_loadcnt 0x0
	v_cvt_f64_u32_e32 v[20:21], v1
.LBB7_2152:
	s_mov_b32 s15, -1
.LBB7_2153:
	s_delay_alu instid0(SALU_CYCLE_1)
	s_and_not1_b32 vcc_lo, exec_lo, s15
	s_cbranch_vccnz .LBB7_3113
; %bb.2154:
	v_mov_b32_e32 v19, 0
	s_cmp_lt_i32 s11, 11
	s_wait_xcnt 0x0
	s_delay_alu instid0(VALU_DEP_1)
	v_add_nc_u64_e32 v[24:25], s[6:7], v[18:19]
	s_cbranch_scc1 .LBB7_2161
; %bb.2155:
	s_cmp_gt_i32 s11, 25
	s_mov_b32 s14, 0
	s_cbranch_scc0 .LBB7_2162
; %bb.2156:
	s_cmp_gt_i32 s11, 28
	s_cbranch_scc0 .LBB7_2163
; %bb.2157:
	s_cmp_gt_i32 s11, 43
	;; [unrolled: 3-line block ×3, first 2 shown]
	s_cbranch_scc0 .LBB7_2166
; %bb.2159:
	s_cmp_eq_u32 s11, 46
	s_mov_b32 s16, 0
	s_cbranch_scc0 .LBB7_2167
; %bb.2160:
	global_load_b32 v1, v[24:25], off
	s_mov_b32 s13, 0
	s_mov_b32 s15, -1
	s_wait_loadcnt 0x0
	v_lshlrev_b32_e32 v1, 16, v1
	s_delay_alu instid0(VALU_DEP_1)
	v_cvt_f64_f32_e32 v[18:19], v1
	s_branch .LBB7_2169
.LBB7_2161:
	s_mov_b32 s13, -1
	s_mov_b32 s15, 0
                                        ; implicit-def: $vgpr18_vgpr19
	s_branch .LBB7_2235
.LBB7_2162:
	s_mov_b32 s16, -1
	s_mov_b32 s15, 0
	s_mov_b32 s13, 0
                                        ; implicit-def: $vgpr18_vgpr19
	s_branch .LBB7_2198
.LBB7_2163:
	s_mov_b32 s16, -1
	s_mov_b32 s15, 0
	s_mov_b32 s13, 0
                                        ; implicit-def: $vgpr18_vgpr19
	s_branch .LBB7_2179
.LBB7_2164:
	s_mov_b32 s16, -1
	s_mov_b32 s15, 0
	s_mov_b32 s13, 0
                                        ; implicit-def: $vgpr18_vgpr19
	s_branch .LBB7_2174
.LBB7_2165:
	s_or_b32 s10, s10, exec_lo
	s_trap 2
	s_cbranch_execz .LBB7_2102
	s_branch .LBB7_2103
.LBB7_2166:
	s_mov_b32 s16, -1
	s_mov_b32 s15, 0
	s_mov_b32 s13, 0
	s_branch .LBB7_2168
.LBB7_2167:
	s_mov_b32 s13, -1
	s_mov_b32 s15, 0
.LBB7_2168:
                                        ; implicit-def: $vgpr18_vgpr19
.LBB7_2169:
	s_and_b32 vcc_lo, exec_lo, s16
	s_cbranch_vccz .LBB7_2173
; %bb.2170:
	s_cmp_eq_u32 s11, 44
	s_cbranch_scc0 .LBB7_2172
; %bb.2171:
	global_load_u8 v1, v[24:25], off
	s_mov_b32 s13, 0
	s_mov_b32 s15, -1
	s_wait_loadcnt 0x0
	v_lshlrev_b32_e32 v5, 23, v1
	v_cmp_ne_u32_e32 vcc_lo, 0xff, v1
	s_delay_alu instid0(VALU_DEP_2) | instskip(NEXT) | instid1(VALU_DEP_1)
	v_cvt_f64_f32_e32 v[18:19], v5
	v_cndmask_b32_e32 v5, 0x20000000, v18, vcc_lo
	s_delay_alu instid0(VALU_DEP_2) | instskip(SKIP_1) | instid1(VALU_DEP_2)
	v_cndmask_b32_e32 v7, 0x7ff80000, v19, vcc_lo
	v_cmp_ne_u32_e32 vcc_lo, 0, v1
	v_cndmask_b32_e32 v19, 0x38000000, v7, vcc_lo
	s_delay_alu instid0(VALU_DEP_4)
	v_cndmask_b32_e32 v18, 0, v5, vcc_lo
	s_branch .LBB7_2173
.LBB7_2172:
	s_mov_b32 s13, -1
                                        ; implicit-def: $vgpr18_vgpr19
.LBB7_2173:
	s_mov_b32 s16, 0
.LBB7_2174:
	s_delay_alu instid0(SALU_CYCLE_1)
	s_and_b32 vcc_lo, exec_lo, s16
	s_cbranch_vccz .LBB7_2178
; %bb.2175:
	s_cmp_eq_u32 s11, 29
	s_cbranch_scc0 .LBB7_2177
; %bb.2176:
	global_load_b64 v[18:19], v[24:25], off
	s_mov_b32 s13, 0
	s_mov_b32 s15, -1
	s_mov_b32 s16, 0
	s_wait_loadcnt 0x0
	v_cvt_f64_u32_e32 v[26:27], v19
	v_cvt_f64_u32_e32 v[18:19], v18
	s_delay_alu instid0(VALU_DEP_2) | instskip(NEXT) | instid1(VALU_DEP_1)
	v_ldexp_f64 v[26:27], v[26:27], 32
	v_add_f64_e32 v[18:19], v[26:27], v[18:19]
	s_branch .LBB7_2179
.LBB7_2177:
	s_mov_b32 s13, -1
                                        ; implicit-def: $vgpr18_vgpr19
.LBB7_2178:
	s_mov_b32 s16, 0
.LBB7_2179:
	s_delay_alu instid0(SALU_CYCLE_1)
	s_and_b32 vcc_lo, exec_lo, s16
	s_cbranch_vccz .LBB7_2197
; %bb.2180:
	s_cmp_lt_i32 s11, 27
	s_cbranch_scc1 .LBB7_2183
; %bb.2181:
	s_cmp_gt_i32 s11, 27
	s_cbranch_scc0 .LBB7_2184
; %bb.2182:
	global_load_b32 v1, v[24:25], off
	s_mov_b32 s15, 0
	s_wait_loadcnt 0x0
	v_cvt_f64_u32_e32 v[18:19], v1
	s_branch .LBB7_2185
.LBB7_2183:
	s_mov_b32 s15, -1
                                        ; implicit-def: $vgpr18_vgpr19
	s_branch .LBB7_2188
.LBB7_2184:
	s_mov_b32 s15, -1
                                        ; implicit-def: $vgpr18_vgpr19
.LBB7_2185:
	s_delay_alu instid0(SALU_CYCLE_1)
	s_and_not1_b32 vcc_lo, exec_lo, s15
	s_cbranch_vccnz .LBB7_2187
; %bb.2186:
	global_load_u16 v1, v[24:25], off
	s_wait_loadcnt 0x0
	v_cvt_f64_u32_e32 v[18:19], v1
.LBB7_2187:
	s_mov_b32 s15, 0
.LBB7_2188:
	s_delay_alu instid0(SALU_CYCLE_1)
	s_and_not1_b32 vcc_lo, exec_lo, s15
	s_cbranch_vccnz .LBB7_2196
; %bb.2189:
	global_load_u8 v1, v[24:25], off
	s_mov_b32 s15, 0
	s_mov_b32 s16, exec_lo
	s_wait_loadcnt 0x0
	v_cmpx_lt_i16_e32 0x7f, v1
	s_xor_b32 s16, exec_lo, s16
	s_cbranch_execz .LBB7_2210
; %bb.2190:
	s_mov_b32 s15, -1
	s_mov_b32 s17, exec_lo
	v_cmpx_eq_u16_e32 0x80, v1
; %bb.2191:
	s_xor_b32 s15, exec_lo, -1
; %bb.2192:
	s_or_b32 exec_lo, exec_lo, s17
	s_delay_alu instid0(SALU_CYCLE_1)
	s_and_b32 s15, s15, exec_lo
	s_or_saveexec_b32 s16, s16
	v_mov_b64_e32 v[18:19], 0x7ff8000020000000
	s_xor_b32 exec_lo, exec_lo, s16
	s_cbranch_execnz .LBB7_2211
.LBB7_2193:
	s_or_b32 exec_lo, exec_lo, s16
	s_and_saveexec_b32 s16, s15
	s_cbranch_execz .LBB7_2195
.LBB7_2194:
	v_and_b32_e32 v5, 0xffff, v1
	v_lshlrev_b32_e32 v1, 24, v1
	s_delay_alu instid0(VALU_DEP_2) | instskip(SKIP_1) | instid1(VALU_DEP_3)
	v_and_b32_e32 v7, 7, v5
	v_bfe_u32 v17, v5, 3, 4
	v_and_b32_e32 v1, 0x80000000, v1
	s_delay_alu instid0(VALU_DEP_3) | instskip(NEXT) | instid1(VALU_DEP_3)
	v_clz_i32_u32_e32 v9, v7
	v_cmp_eq_u32_e32 vcc_lo, 0, v17
	s_delay_alu instid0(VALU_DEP_2) | instskip(NEXT) | instid1(VALU_DEP_1)
	v_min_u32_e32 v9, 32, v9
	v_subrev_nc_u32_e32 v11, 28, v9
	v_sub_nc_u32_e32 v9, 29, v9
	s_delay_alu instid0(VALU_DEP_2) | instskip(NEXT) | instid1(VALU_DEP_2)
	v_lshlrev_b32_e32 v5, v11, v5
	v_cndmask_b32_e32 v9, v17, v9, vcc_lo
	s_delay_alu instid0(VALU_DEP_2) | instskip(NEXT) | instid1(VALU_DEP_1)
	v_and_b32_e32 v5, 7, v5
	v_cndmask_b32_e32 v5, v7, v5, vcc_lo
	s_delay_alu instid0(VALU_DEP_3) | instskip(NEXT) | instid1(VALU_DEP_2)
	v_lshl_add_u32 v7, v9, 23, 0x3b800000
	v_lshlrev_b32_e32 v5, 20, v5
	s_delay_alu instid0(VALU_DEP_1) | instskip(NEXT) | instid1(VALU_DEP_1)
	v_or3_b32 v1, v1, v7, v5
	v_cvt_f64_f32_e32 v[18:19], v1
.LBB7_2195:
	s_or_b32 exec_lo, exec_lo, s16
.LBB7_2196:
	s_mov_b32 s15, -1
.LBB7_2197:
	s_mov_b32 s16, 0
.LBB7_2198:
	s_delay_alu instid0(SALU_CYCLE_1)
	s_and_b32 vcc_lo, exec_lo, s16
	s_cbranch_vccz .LBB7_2231
; %bb.2199:
	s_cmp_gt_i32 s11, 22
	s_cbranch_scc0 .LBB7_2209
; %bb.2200:
	s_cmp_lt_i32 s11, 24
	s_cbranch_scc1 .LBB7_2212
; %bb.2201:
	s_cmp_gt_i32 s11, 24
	s_cbranch_scc0 .LBB7_2213
; %bb.2202:
	global_load_u8 v1, v[24:25], off
	s_mov_b32 s15, exec_lo
	s_wait_loadcnt 0x0
	v_cmpx_lt_i16_e32 0x7f, v1
	s_xor_b32 s15, exec_lo, s15
	s_cbranch_execz .LBB7_2225
; %bb.2203:
	s_mov_b32 s14, -1
	s_mov_b32 s16, exec_lo
	v_cmpx_eq_u16_e32 0x80, v1
; %bb.2204:
	s_xor_b32 s14, exec_lo, -1
; %bb.2205:
	s_or_b32 exec_lo, exec_lo, s16
	s_delay_alu instid0(SALU_CYCLE_1)
	s_and_b32 s14, s14, exec_lo
	s_or_saveexec_b32 s15, s15
	v_mov_b64_e32 v[18:19], 0x7ff8000020000000
	s_xor_b32 exec_lo, exec_lo, s15
	s_cbranch_execnz .LBB7_2226
.LBB7_2206:
	s_or_b32 exec_lo, exec_lo, s15
	s_and_saveexec_b32 s15, s14
	s_cbranch_execz .LBB7_2208
.LBB7_2207:
	v_and_b32_e32 v5, 0xffff, v1
	v_lshlrev_b32_e32 v1, 24, v1
	s_delay_alu instid0(VALU_DEP_2) | instskip(SKIP_1) | instid1(VALU_DEP_3)
	v_and_b32_e32 v7, 3, v5
	v_bfe_u32 v17, v5, 2, 5
	v_and_b32_e32 v1, 0x80000000, v1
	s_delay_alu instid0(VALU_DEP_3) | instskip(NEXT) | instid1(VALU_DEP_3)
	v_clz_i32_u32_e32 v9, v7
	v_cmp_eq_u32_e32 vcc_lo, 0, v17
	s_delay_alu instid0(VALU_DEP_2) | instskip(NEXT) | instid1(VALU_DEP_1)
	v_min_u32_e32 v9, 32, v9
	v_subrev_nc_u32_e32 v11, 29, v9
	v_sub_nc_u32_e32 v9, 30, v9
	s_delay_alu instid0(VALU_DEP_2) | instskip(NEXT) | instid1(VALU_DEP_2)
	v_lshlrev_b32_e32 v5, v11, v5
	v_cndmask_b32_e32 v9, v17, v9, vcc_lo
	s_delay_alu instid0(VALU_DEP_2) | instskip(NEXT) | instid1(VALU_DEP_1)
	v_and_b32_e32 v5, 3, v5
	v_cndmask_b32_e32 v5, v7, v5, vcc_lo
	s_delay_alu instid0(VALU_DEP_3) | instskip(NEXT) | instid1(VALU_DEP_2)
	v_lshl_add_u32 v7, v9, 23, 0x37800000
	v_lshlrev_b32_e32 v5, 21, v5
	s_delay_alu instid0(VALU_DEP_1) | instskip(NEXT) | instid1(VALU_DEP_1)
	v_or3_b32 v1, v1, v7, v5
	v_cvt_f64_f32_e32 v[18:19], v1
.LBB7_2208:
	s_or_b32 exec_lo, exec_lo, s15
	s_mov_b32 s14, 0
	s_branch .LBB7_2214
.LBB7_2209:
	s_mov_b32 s14, -1
                                        ; implicit-def: $vgpr18_vgpr19
	s_branch .LBB7_2220
.LBB7_2210:
	s_or_saveexec_b32 s16, s16
	v_mov_b64_e32 v[18:19], 0x7ff8000020000000
	s_xor_b32 exec_lo, exec_lo, s16
	s_cbranch_execz .LBB7_2193
.LBB7_2211:
	v_cmp_ne_u16_e32 vcc_lo, 0, v1
	v_mov_b64_e32 v[18:19], 0
	s_and_not1_b32 s15, s15, exec_lo
	s_and_b32 s17, vcc_lo, exec_lo
	s_delay_alu instid0(SALU_CYCLE_1)
	s_or_b32 s15, s15, s17
	s_or_b32 exec_lo, exec_lo, s16
	s_and_saveexec_b32 s16, s15
	s_cbranch_execnz .LBB7_2194
	s_branch .LBB7_2195
.LBB7_2212:
	s_mov_b32 s14, -1
                                        ; implicit-def: $vgpr18_vgpr19
	s_branch .LBB7_2217
.LBB7_2213:
	s_mov_b32 s14, -1
                                        ; implicit-def: $vgpr18_vgpr19
.LBB7_2214:
	s_delay_alu instid0(SALU_CYCLE_1)
	s_and_b32 vcc_lo, exec_lo, s14
	s_cbranch_vccz .LBB7_2216
; %bb.2215:
	global_load_u8 v1, v[24:25], off
	s_wait_loadcnt 0x0
	v_lshlrev_b32_e32 v1, 24, v1
	s_delay_alu instid0(VALU_DEP_1) | instskip(NEXT) | instid1(VALU_DEP_1)
	v_and_b32_e32 v5, 0x7f000000, v1
	v_clz_i32_u32_e32 v7, v5
	v_cmp_ne_u32_e32 vcc_lo, 0, v5
	v_add_nc_u32_e32 v11, 0x1000000, v5
	s_delay_alu instid0(VALU_DEP_3) | instskip(NEXT) | instid1(VALU_DEP_1)
	v_min_u32_e32 v7, 32, v7
	v_sub_nc_u32_e64 v7, v7, 4 clamp
	s_delay_alu instid0(VALU_DEP_1) | instskip(NEXT) | instid1(VALU_DEP_1)
	v_dual_lshlrev_b32 v9, v7, v5 :: v_dual_lshlrev_b32 v7, 23, v7
	v_lshrrev_b32_e32 v9, 4, v9
	s_delay_alu instid0(VALU_DEP_1) | instskip(SKIP_1) | instid1(VALU_DEP_2)
	v_sub_nc_u32_e32 v7, v9, v7
	v_ashrrev_i32_e32 v9, 8, v11
	v_add_nc_u32_e32 v7, 0x3c000000, v7
	s_delay_alu instid0(VALU_DEP_1) | instskip(NEXT) | instid1(VALU_DEP_1)
	v_and_or_b32 v7, 0x7f800000, v9, v7
	v_cndmask_b32_e32 v5, 0, v7, vcc_lo
	s_delay_alu instid0(VALU_DEP_1) | instskip(NEXT) | instid1(VALU_DEP_1)
	v_and_or_b32 v1, 0x80000000, v1, v5
	v_cvt_f64_f32_e32 v[18:19], v1
.LBB7_2216:
	s_mov_b32 s14, 0
.LBB7_2217:
	s_delay_alu instid0(SALU_CYCLE_1)
	s_and_not1_b32 vcc_lo, exec_lo, s14
	s_cbranch_vccnz .LBB7_2219
; %bb.2218:
	global_load_u8 v1, v[24:25], off
	s_wait_loadcnt 0x0
	v_lshlrev_b32_e32 v5, 25, v1
	v_lshlrev_b16 v1, 8, v1
	s_delay_alu instid0(VALU_DEP_2) | instskip(NEXT) | instid1(VALU_DEP_2)
	v_lshrrev_b32_e32 v7, 4, v5
	v_and_or_b32 v9, 0x7f00, v1, 0.5
	v_cmp_gt_u32_e32 vcc_lo, 0x8000000, v5
	v_bfe_i32 v1, v1, 0, 16
	s_delay_alu instid0(VALU_DEP_4) | instskip(NEXT) | instid1(VALU_DEP_4)
	v_or_b32_e32 v7, 0x70000000, v7
	v_add_f32_e32 v9, -0.5, v9
	s_delay_alu instid0(VALU_DEP_2) | instskip(NEXT) | instid1(VALU_DEP_1)
	v_mul_f32_e32 v7, 0x7800000, v7
	v_cndmask_b32_e32 v5, v7, v9, vcc_lo
	s_delay_alu instid0(VALU_DEP_1) | instskip(NEXT) | instid1(VALU_DEP_1)
	v_and_or_b32 v1, 0x80000000, v1, v5
	v_cvt_f64_f32_e32 v[18:19], v1
.LBB7_2219:
	s_mov_b32 s14, 0
	s_mov_b32 s15, -1
.LBB7_2220:
	s_and_not1_b32 vcc_lo, exec_lo, s14
	s_mov_b32 s14, 0
	s_cbranch_vccnz .LBB7_2231
; %bb.2221:
	s_cmp_gt_i32 s11, 14
	s_cbranch_scc0 .LBB7_2224
; %bb.2222:
	s_cmp_eq_u32 s11, 15
	s_cbranch_scc0 .LBB7_2227
; %bb.2223:
	global_load_u16 v1, v[24:25], off
	s_mov_b32 s13, 0
	s_mov_b32 s15, -1
	s_wait_loadcnt 0x0
	v_lshlrev_b32_e32 v1, 16, v1
	s_delay_alu instid0(VALU_DEP_1)
	v_cvt_f64_f32_e32 v[18:19], v1
	s_branch .LBB7_2229
.LBB7_2224:
	s_mov_b32 s14, -1
	s_branch .LBB7_2228
.LBB7_2225:
	s_or_saveexec_b32 s15, s15
	v_mov_b64_e32 v[18:19], 0x7ff8000020000000
	s_xor_b32 exec_lo, exec_lo, s15
	s_cbranch_execz .LBB7_2206
.LBB7_2226:
	v_cmp_ne_u16_e32 vcc_lo, 0, v1
	v_mov_b64_e32 v[18:19], 0
	s_and_not1_b32 s14, s14, exec_lo
	s_and_b32 s16, vcc_lo, exec_lo
	s_delay_alu instid0(SALU_CYCLE_1)
	s_or_b32 s14, s14, s16
	s_or_b32 exec_lo, exec_lo, s15
	s_and_saveexec_b32 s15, s14
	s_cbranch_execnz .LBB7_2207
	s_branch .LBB7_2208
.LBB7_2227:
	s_mov_b32 s13, -1
.LBB7_2228:
                                        ; implicit-def: $vgpr18_vgpr19
.LBB7_2229:
	s_and_b32 vcc_lo, exec_lo, s14
	s_mov_b32 s14, 0
	s_cbranch_vccz .LBB7_2231
; %bb.2230:
	s_cmp_lg_u32 s11, 11
	s_mov_b32 s14, -1
	s_cselect_b32 s13, -1, 0
.LBB7_2231:
	s_delay_alu instid0(SALU_CYCLE_1)
	s_and_b32 vcc_lo, exec_lo, s13
	s_cbranch_vccnz .LBB7_2296
; %bb.2232:
	s_and_not1_b32 vcc_lo, exec_lo, s14
	s_cbranch_vccnz .LBB7_2234
.LBB7_2233:
	global_load_u8 v1, v[24:25], off
	v_mov_b32_e32 v18, 0
	s_mov_b32 s15, -1
	s_wait_loadcnt 0x0
	v_cmp_ne_u16_e32 vcc_lo, 0, v1
	v_cndmask_b32_e64 v19, 0, 0x3ff00000, vcc_lo
.LBB7_2234:
	s_mov_b32 s13, 0
.LBB7_2235:
	s_delay_alu instid0(SALU_CYCLE_1)
	s_and_b32 vcc_lo, exec_lo, s13
	s_cbranch_vccz .LBB7_2284
; %bb.2236:
	s_cmp_lt_i32 s11, 5
	s_cbranch_scc1 .LBB7_2241
; %bb.2237:
	s_cmp_lt_i32 s11, 8
	s_cbranch_scc1 .LBB7_2242
; %bb.2238:
	s_cmp_lt_i32 s11, 9
	s_cbranch_scc1 .LBB7_2243
; %bb.2239:
	s_cmp_gt_i32 s11, 9
	s_cbranch_scc0 .LBB7_2244
; %bb.2240:
	global_load_b64 v[18:19], v[24:25], off
	s_mov_b32 s13, 0
	s_branch .LBB7_2245
.LBB7_2241:
	s_mov_b32 s13, -1
                                        ; implicit-def: $vgpr18_vgpr19
	s_branch .LBB7_2263
.LBB7_2242:
	s_mov_b32 s13, -1
                                        ; implicit-def: $vgpr18_vgpr19
	s_branch .LBB7_2251
.LBB7_2243:
	s_mov_b32 s13, -1
                                        ; implicit-def: $vgpr18_vgpr19
	s_branch .LBB7_2248
.LBB7_2244:
	s_mov_b32 s13, -1
                                        ; implicit-def: $vgpr18_vgpr19
.LBB7_2245:
	s_delay_alu instid0(SALU_CYCLE_1)
	s_and_not1_b32 vcc_lo, exec_lo, s13
	s_cbranch_vccnz .LBB7_2247
; %bb.2246:
	global_load_b32 v1, v[24:25], off
	s_wait_loadcnt 0x0
	v_cvt_f64_f32_e32 v[18:19], v1
.LBB7_2247:
	s_mov_b32 s13, 0
.LBB7_2248:
	s_delay_alu instid0(SALU_CYCLE_1)
	s_and_not1_b32 vcc_lo, exec_lo, s13
	s_cbranch_vccnz .LBB7_2250
; %bb.2249:
	global_load_b32 v1, v[24:25], off
	s_wait_loadcnt 0x0
	v_cvt_f32_f16_e32 v1, v1
	s_delay_alu instid0(VALU_DEP_1)
	v_cvt_f64_f32_e32 v[18:19], v1
.LBB7_2250:
	s_mov_b32 s13, 0
.LBB7_2251:
	s_delay_alu instid0(SALU_CYCLE_1)
	s_and_not1_b32 vcc_lo, exec_lo, s13
	s_cbranch_vccnz .LBB7_2262
; %bb.2252:
	s_cmp_lt_i32 s11, 6
	s_cbranch_scc1 .LBB7_2255
; %bb.2253:
	s_cmp_gt_i32 s11, 6
	s_cbranch_scc0 .LBB7_2256
; %bb.2254:
	s_wait_loadcnt 0x0
	global_load_b64 v[18:19], v[24:25], off
	s_mov_b32 s13, 0
	s_branch .LBB7_2257
.LBB7_2255:
	s_mov_b32 s13, -1
                                        ; implicit-def: $vgpr18_vgpr19
	s_branch .LBB7_2260
.LBB7_2256:
	s_mov_b32 s13, -1
                                        ; implicit-def: $vgpr18_vgpr19
.LBB7_2257:
	s_delay_alu instid0(SALU_CYCLE_1)
	s_and_not1_b32 vcc_lo, exec_lo, s13
	s_cbranch_vccnz .LBB7_2259
; %bb.2258:
	global_load_b32 v1, v[24:25], off
	s_wait_loadcnt 0x0
	v_cvt_f64_f32_e32 v[18:19], v1
.LBB7_2259:
	s_mov_b32 s13, 0
.LBB7_2260:
	s_delay_alu instid0(SALU_CYCLE_1)
	s_and_not1_b32 vcc_lo, exec_lo, s13
	s_cbranch_vccnz .LBB7_2262
; %bb.2261:
	global_load_u16 v1, v[24:25], off
	s_wait_loadcnt 0x0
	v_cvt_f32_f16_e32 v1, v1
	s_delay_alu instid0(VALU_DEP_1)
	v_cvt_f64_f32_e32 v[18:19], v1
.LBB7_2262:
	s_mov_b32 s13, 0
.LBB7_2263:
	s_delay_alu instid0(SALU_CYCLE_1)
	s_and_not1_b32 vcc_lo, exec_lo, s13
	s_cbranch_vccnz .LBB7_2283
; %bb.2264:
	s_cmp_lt_i32 s11, 2
	s_cbranch_scc1 .LBB7_2268
; %bb.2265:
	s_cmp_lt_i32 s11, 3
	s_cbranch_scc1 .LBB7_2269
; %bb.2266:
	s_cmp_gt_i32 s11, 3
	s_cbranch_scc0 .LBB7_2270
; %bb.2267:
	s_wait_loadcnt 0x0
	global_load_b64 v[18:19], v[24:25], off
	s_mov_b32 s13, 0
	s_wait_loadcnt 0x0
	v_cvt_f64_i32_e32 v[26:27], v19
	v_cvt_f64_u32_e32 v[18:19], v18
	s_delay_alu instid0(VALU_DEP_2) | instskip(NEXT) | instid1(VALU_DEP_1)
	v_ldexp_f64 v[26:27], v[26:27], 32
	v_add_f64_e32 v[18:19], v[26:27], v[18:19]
	s_branch .LBB7_2271
.LBB7_2268:
	s_mov_b32 s13, -1
                                        ; implicit-def: $vgpr18_vgpr19
	s_branch .LBB7_2277
.LBB7_2269:
	s_mov_b32 s13, -1
                                        ; implicit-def: $vgpr18_vgpr19
	s_branch .LBB7_2274
.LBB7_2270:
	s_mov_b32 s13, -1
                                        ; implicit-def: $vgpr18_vgpr19
.LBB7_2271:
	s_delay_alu instid0(SALU_CYCLE_1)
	s_and_not1_b32 vcc_lo, exec_lo, s13
	s_cbranch_vccnz .LBB7_2273
; %bb.2272:
	global_load_b32 v1, v[24:25], off
	s_wait_loadcnt 0x0
	v_cvt_f64_i32_e32 v[18:19], v1
.LBB7_2273:
	s_mov_b32 s13, 0
.LBB7_2274:
	s_delay_alu instid0(SALU_CYCLE_1)
	s_and_not1_b32 vcc_lo, exec_lo, s13
	s_cbranch_vccnz .LBB7_2276
; %bb.2275:
	global_load_i16 v1, v[24:25], off
	s_wait_loadcnt 0x0
	v_cvt_f64_i32_e32 v[18:19], v1
.LBB7_2276:
	s_mov_b32 s13, 0
.LBB7_2277:
	s_delay_alu instid0(SALU_CYCLE_1)
	s_and_not1_b32 vcc_lo, exec_lo, s13
	s_cbranch_vccnz .LBB7_2283
; %bb.2278:
	s_cmp_gt_i32 s11, 0
	s_mov_b32 s13, 0
	s_cbranch_scc0 .LBB7_2280
; %bb.2279:
	global_load_i8 v1, v[24:25], off
	s_wait_loadcnt 0x0
	v_cvt_f64_i32_e32 v[18:19], v1
	s_branch .LBB7_2281
.LBB7_2280:
	s_mov_b32 s13, -1
                                        ; implicit-def: $vgpr18_vgpr19
.LBB7_2281:
	s_delay_alu instid0(SALU_CYCLE_1)
	s_and_not1_b32 vcc_lo, exec_lo, s13
	s_cbranch_vccnz .LBB7_2283
; %bb.2282:
	global_load_u8 v1, v[24:25], off
	s_wait_loadcnt 0x0
	v_cvt_f64_u32_e32 v[18:19], v1
.LBB7_2283:
	s_mov_b32 s15, -1
.LBB7_2284:
	s_delay_alu instid0(SALU_CYCLE_1)
	s_and_not1_b32 vcc_lo, exec_lo, s15
	s_cbranch_vccnz .LBB7_3113
; %bb.2285:
	v_mov_b32_e32 v23, 0
	s_cmp_lt_i32 s12, 11
	s_wait_xcnt 0x0
	s_delay_alu instid0(VALU_DEP_1)
	v_add_nc_u64_e32 v[24:25], s[0:1], v[22:23]
	s_cbranch_scc1 .LBB7_2292
; %bb.2286:
	s_cmp_gt_i32 s12, 25
	s_mov_b32 s14, 0
	s_cbranch_scc0 .LBB7_2293
; %bb.2287:
	s_cmp_gt_i32 s12, 28
	s_cbranch_scc0 .LBB7_2294
; %bb.2288:
	s_cmp_gt_i32 s12, 43
	;; [unrolled: 3-line block ×3, first 2 shown]
	s_cbranch_scc0 .LBB7_2297
; %bb.2290:
	s_cmp_eq_u32 s12, 46
	s_mov_b32 s16, 0
	s_cbranch_scc0 .LBB7_2300
; %bb.2291:
	global_load_b32 v1, v[24:25], off
	s_mov_b32 s13, 0
	s_mov_b32 s15, -1
	s_wait_loadcnt 0x0
	v_lshlrev_b32_e32 v1, 16, v1
	s_delay_alu instid0(VALU_DEP_1)
	v_cvt_f64_f32_e32 v[22:23], v1
	s_branch .LBB7_2302
.LBB7_2292:
	s_mov_b32 s13, -1
	s_mov_b32 s15, 0
                                        ; implicit-def: $vgpr22_vgpr23
	s_branch .LBB7_2368
.LBB7_2293:
	s_mov_b32 s16, -1
	s_mov_b32 s15, 0
	s_mov_b32 s13, 0
                                        ; implicit-def: $vgpr22_vgpr23
	s_branch .LBB7_2331
.LBB7_2294:
	s_mov_b32 s16, -1
	s_mov_b32 s15, 0
	s_mov_b32 s13, 0
                                        ; implicit-def: $vgpr22_vgpr23
	s_branch .LBB7_2312
.LBB7_2295:
	s_mov_b32 s16, -1
	s_mov_b32 s15, 0
	s_mov_b32 s13, 0
                                        ; implicit-def: $vgpr22_vgpr23
	s_branch .LBB7_2307
.LBB7_2296:
	s_or_b32 s10, s10, exec_lo
	s_trap 2
	s_cbranch_execz .LBB7_2233
	s_branch .LBB7_2234
.LBB7_2297:
	s_mov_b32 s16, -1
	s_mov_b32 s15, 0
	s_mov_b32 s13, 0
	s_branch .LBB7_2301
.LBB7_2298:
	s_and_not1_saveexec_b32 s51, s51
	s_cbranch_execz .LBB7_1121
.LBB7_2299:
	v_add_f32_e64 v3, 0x42800000, |v2|
	s_and_not1_b32 s50, s50, exec_lo
	s_delay_alu instid0(VALU_DEP_1) | instskip(NEXT) | instid1(VALU_DEP_1)
	v_and_b32_e32 v3, 0xff, v3
	v_cmp_ne_u32_e32 vcc_lo, 0, v3
	s_and_b32 s52, vcc_lo, exec_lo
	s_delay_alu instid0(SALU_CYCLE_1)
	s_or_b32 s50, s50, s52
	s_or_b32 exec_lo, exec_lo, s51
	v_mov_b32_e32 v5, 0
	s_and_saveexec_b32 s51, s50
	s_cbranch_execnz .LBB7_1122
	s_branch .LBB7_1123
.LBB7_2300:
	s_mov_b32 s13, -1
	s_mov_b32 s15, 0
.LBB7_2301:
                                        ; implicit-def: $vgpr22_vgpr23
.LBB7_2302:
	s_and_b32 vcc_lo, exec_lo, s16
	s_cbranch_vccz .LBB7_2306
; %bb.2303:
	s_cmp_eq_u32 s12, 44
	s_cbranch_scc0 .LBB7_2305
; %bb.2304:
	global_load_u8 v1, v[24:25], off
	s_mov_b32 s13, 0
	s_mov_b32 s15, -1
	s_wait_loadcnt 0x0
	v_lshlrev_b32_e32 v5, 23, v1
	v_cmp_ne_u32_e32 vcc_lo, 0xff, v1
	s_delay_alu instid0(VALU_DEP_2) | instskip(NEXT) | instid1(VALU_DEP_1)
	v_cvt_f64_f32_e32 v[22:23], v5
	v_cndmask_b32_e32 v5, 0x20000000, v22, vcc_lo
	s_delay_alu instid0(VALU_DEP_2) | instskip(SKIP_1) | instid1(VALU_DEP_2)
	v_cndmask_b32_e32 v7, 0x7ff80000, v23, vcc_lo
	v_cmp_ne_u32_e32 vcc_lo, 0, v1
	v_cndmask_b32_e32 v23, 0x38000000, v7, vcc_lo
	s_delay_alu instid0(VALU_DEP_4)
	v_cndmask_b32_e32 v22, 0, v5, vcc_lo
	s_branch .LBB7_2306
.LBB7_2305:
	s_mov_b32 s13, -1
                                        ; implicit-def: $vgpr22_vgpr23
.LBB7_2306:
	s_mov_b32 s16, 0
.LBB7_2307:
	s_delay_alu instid0(SALU_CYCLE_1)
	s_and_b32 vcc_lo, exec_lo, s16
	s_cbranch_vccz .LBB7_2311
; %bb.2308:
	s_cmp_eq_u32 s12, 29
	s_cbranch_scc0 .LBB7_2310
; %bb.2309:
	global_load_b64 v[22:23], v[24:25], off
	s_mov_b32 s13, 0
	s_mov_b32 s15, -1
	s_mov_b32 s16, 0
	s_wait_loadcnt 0x0
	v_cvt_f64_u32_e32 v[26:27], v23
	v_cvt_f64_u32_e32 v[22:23], v22
	s_delay_alu instid0(VALU_DEP_2) | instskip(NEXT) | instid1(VALU_DEP_1)
	v_ldexp_f64 v[26:27], v[26:27], 32
	v_add_f64_e32 v[22:23], v[26:27], v[22:23]
	s_branch .LBB7_2312
.LBB7_2310:
	s_mov_b32 s13, -1
                                        ; implicit-def: $vgpr22_vgpr23
.LBB7_2311:
	s_mov_b32 s16, 0
.LBB7_2312:
	s_delay_alu instid0(SALU_CYCLE_1)
	s_and_b32 vcc_lo, exec_lo, s16
	s_cbranch_vccz .LBB7_2330
; %bb.2313:
	s_cmp_lt_i32 s12, 27
	s_cbranch_scc1 .LBB7_2316
; %bb.2314:
	s_cmp_gt_i32 s12, 27
	s_cbranch_scc0 .LBB7_2317
; %bb.2315:
	global_load_b32 v1, v[24:25], off
	s_mov_b32 s15, 0
	s_wait_loadcnt 0x0
	v_cvt_f64_u32_e32 v[22:23], v1
	s_branch .LBB7_2318
.LBB7_2316:
	s_mov_b32 s15, -1
                                        ; implicit-def: $vgpr22_vgpr23
	s_branch .LBB7_2321
.LBB7_2317:
	s_mov_b32 s15, -1
                                        ; implicit-def: $vgpr22_vgpr23
.LBB7_2318:
	s_delay_alu instid0(SALU_CYCLE_1)
	s_and_not1_b32 vcc_lo, exec_lo, s15
	s_cbranch_vccnz .LBB7_2320
; %bb.2319:
	global_load_u16 v1, v[24:25], off
	s_wait_loadcnt 0x0
	v_cvt_f64_u32_e32 v[22:23], v1
.LBB7_2320:
	s_mov_b32 s15, 0
.LBB7_2321:
	s_delay_alu instid0(SALU_CYCLE_1)
	s_and_not1_b32 vcc_lo, exec_lo, s15
	s_cbranch_vccnz .LBB7_2329
; %bb.2322:
	global_load_u8 v1, v[24:25], off
	s_mov_b32 s15, 0
	s_mov_b32 s16, exec_lo
	s_wait_loadcnt 0x0
	v_cmpx_lt_i16_e32 0x7f, v1
	s_xor_b32 s16, exec_lo, s16
	s_cbranch_execz .LBB7_2343
; %bb.2323:
	s_mov_b32 s15, -1
	s_mov_b32 s17, exec_lo
	v_cmpx_eq_u16_e32 0x80, v1
; %bb.2324:
	s_xor_b32 s15, exec_lo, -1
; %bb.2325:
	s_or_b32 exec_lo, exec_lo, s17
	s_delay_alu instid0(SALU_CYCLE_1)
	s_and_b32 s15, s15, exec_lo
	s_or_saveexec_b32 s16, s16
	v_mov_b64_e32 v[22:23], 0x7ff8000020000000
	s_xor_b32 exec_lo, exec_lo, s16
	s_cbranch_execnz .LBB7_2344
.LBB7_2326:
	s_or_b32 exec_lo, exec_lo, s16
	s_and_saveexec_b32 s16, s15
	s_cbranch_execz .LBB7_2328
.LBB7_2327:
	v_and_b32_e32 v5, 0xffff, v1
	v_lshlrev_b32_e32 v1, 24, v1
	s_delay_alu instid0(VALU_DEP_2) | instskip(SKIP_1) | instid1(VALU_DEP_3)
	v_and_b32_e32 v7, 7, v5
	v_bfe_u32 v17, v5, 3, 4
	v_and_b32_e32 v1, 0x80000000, v1
	s_delay_alu instid0(VALU_DEP_3) | instskip(NEXT) | instid1(VALU_DEP_3)
	v_clz_i32_u32_e32 v9, v7
	v_cmp_eq_u32_e32 vcc_lo, 0, v17
	s_delay_alu instid0(VALU_DEP_2) | instskip(NEXT) | instid1(VALU_DEP_1)
	v_min_u32_e32 v9, 32, v9
	v_subrev_nc_u32_e32 v11, 28, v9
	v_sub_nc_u32_e32 v9, 29, v9
	s_delay_alu instid0(VALU_DEP_2) | instskip(NEXT) | instid1(VALU_DEP_2)
	v_lshlrev_b32_e32 v5, v11, v5
	v_cndmask_b32_e32 v9, v17, v9, vcc_lo
	s_delay_alu instid0(VALU_DEP_2) | instskip(NEXT) | instid1(VALU_DEP_1)
	v_and_b32_e32 v5, 7, v5
	v_cndmask_b32_e32 v5, v7, v5, vcc_lo
	s_delay_alu instid0(VALU_DEP_3) | instskip(NEXT) | instid1(VALU_DEP_2)
	v_lshl_add_u32 v7, v9, 23, 0x3b800000
	v_lshlrev_b32_e32 v5, 20, v5
	s_delay_alu instid0(VALU_DEP_1) | instskip(NEXT) | instid1(VALU_DEP_1)
	v_or3_b32 v1, v1, v7, v5
	v_cvt_f64_f32_e32 v[22:23], v1
.LBB7_2328:
	s_or_b32 exec_lo, exec_lo, s16
.LBB7_2329:
	s_mov_b32 s15, -1
.LBB7_2330:
	s_mov_b32 s16, 0
.LBB7_2331:
	s_delay_alu instid0(SALU_CYCLE_1)
	s_and_b32 vcc_lo, exec_lo, s16
	s_cbranch_vccz .LBB7_2364
; %bb.2332:
	s_cmp_gt_i32 s12, 22
	s_cbranch_scc0 .LBB7_2342
; %bb.2333:
	s_cmp_lt_i32 s12, 24
	s_cbranch_scc1 .LBB7_2345
; %bb.2334:
	s_cmp_gt_i32 s12, 24
	s_cbranch_scc0 .LBB7_2346
; %bb.2335:
	global_load_u8 v1, v[24:25], off
	s_mov_b32 s15, exec_lo
	s_wait_loadcnt 0x0
	v_cmpx_lt_i16_e32 0x7f, v1
	s_xor_b32 s15, exec_lo, s15
	s_cbranch_execz .LBB7_2358
; %bb.2336:
	s_mov_b32 s14, -1
	s_mov_b32 s16, exec_lo
	v_cmpx_eq_u16_e32 0x80, v1
; %bb.2337:
	s_xor_b32 s14, exec_lo, -1
; %bb.2338:
	s_or_b32 exec_lo, exec_lo, s16
	s_delay_alu instid0(SALU_CYCLE_1)
	s_and_b32 s14, s14, exec_lo
	s_or_saveexec_b32 s15, s15
	v_mov_b64_e32 v[22:23], 0x7ff8000020000000
	s_xor_b32 exec_lo, exec_lo, s15
	s_cbranch_execnz .LBB7_2359
.LBB7_2339:
	s_or_b32 exec_lo, exec_lo, s15
	s_and_saveexec_b32 s15, s14
	s_cbranch_execz .LBB7_2341
.LBB7_2340:
	v_and_b32_e32 v5, 0xffff, v1
	v_lshlrev_b32_e32 v1, 24, v1
	s_delay_alu instid0(VALU_DEP_2) | instskip(SKIP_1) | instid1(VALU_DEP_3)
	v_and_b32_e32 v7, 3, v5
	v_bfe_u32 v17, v5, 2, 5
	v_and_b32_e32 v1, 0x80000000, v1
	s_delay_alu instid0(VALU_DEP_3) | instskip(NEXT) | instid1(VALU_DEP_3)
	v_clz_i32_u32_e32 v9, v7
	v_cmp_eq_u32_e32 vcc_lo, 0, v17
	s_delay_alu instid0(VALU_DEP_2) | instskip(NEXT) | instid1(VALU_DEP_1)
	v_min_u32_e32 v9, 32, v9
	v_subrev_nc_u32_e32 v11, 29, v9
	v_sub_nc_u32_e32 v9, 30, v9
	s_delay_alu instid0(VALU_DEP_2) | instskip(NEXT) | instid1(VALU_DEP_2)
	v_lshlrev_b32_e32 v5, v11, v5
	v_cndmask_b32_e32 v9, v17, v9, vcc_lo
	s_delay_alu instid0(VALU_DEP_2) | instskip(NEXT) | instid1(VALU_DEP_1)
	v_and_b32_e32 v5, 3, v5
	v_cndmask_b32_e32 v5, v7, v5, vcc_lo
	s_delay_alu instid0(VALU_DEP_3) | instskip(NEXT) | instid1(VALU_DEP_2)
	v_lshl_add_u32 v7, v9, 23, 0x37800000
	v_lshlrev_b32_e32 v5, 21, v5
	s_delay_alu instid0(VALU_DEP_1) | instskip(NEXT) | instid1(VALU_DEP_1)
	v_or3_b32 v1, v1, v7, v5
	v_cvt_f64_f32_e32 v[22:23], v1
.LBB7_2341:
	s_or_b32 exec_lo, exec_lo, s15
	s_mov_b32 s14, 0
	s_branch .LBB7_2347
.LBB7_2342:
	s_mov_b32 s14, -1
                                        ; implicit-def: $vgpr22_vgpr23
	s_branch .LBB7_2353
.LBB7_2343:
	s_or_saveexec_b32 s16, s16
	v_mov_b64_e32 v[22:23], 0x7ff8000020000000
	s_xor_b32 exec_lo, exec_lo, s16
	s_cbranch_execz .LBB7_2326
.LBB7_2344:
	v_cmp_ne_u16_e32 vcc_lo, 0, v1
	v_mov_b64_e32 v[22:23], 0
	s_and_not1_b32 s15, s15, exec_lo
	s_and_b32 s17, vcc_lo, exec_lo
	s_delay_alu instid0(SALU_CYCLE_1)
	s_or_b32 s15, s15, s17
	s_or_b32 exec_lo, exec_lo, s16
	s_and_saveexec_b32 s16, s15
	s_cbranch_execnz .LBB7_2327
	s_branch .LBB7_2328
.LBB7_2345:
	s_mov_b32 s14, -1
                                        ; implicit-def: $vgpr22_vgpr23
	s_branch .LBB7_2350
.LBB7_2346:
	s_mov_b32 s14, -1
                                        ; implicit-def: $vgpr22_vgpr23
.LBB7_2347:
	s_delay_alu instid0(SALU_CYCLE_1)
	s_and_b32 vcc_lo, exec_lo, s14
	s_cbranch_vccz .LBB7_2349
; %bb.2348:
	global_load_u8 v1, v[24:25], off
	s_wait_loadcnt 0x0
	v_lshlrev_b32_e32 v1, 24, v1
	s_delay_alu instid0(VALU_DEP_1) | instskip(NEXT) | instid1(VALU_DEP_1)
	v_and_b32_e32 v5, 0x7f000000, v1
	v_clz_i32_u32_e32 v7, v5
	v_cmp_ne_u32_e32 vcc_lo, 0, v5
	v_add_nc_u32_e32 v11, 0x1000000, v5
	s_delay_alu instid0(VALU_DEP_3) | instskip(NEXT) | instid1(VALU_DEP_1)
	v_min_u32_e32 v7, 32, v7
	v_sub_nc_u32_e64 v7, v7, 4 clamp
	s_delay_alu instid0(VALU_DEP_1) | instskip(NEXT) | instid1(VALU_DEP_1)
	v_dual_lshlrev_b32 v9, v7, v5 :: v_dual_lshlrev_b32 v7, 23, v7
	v_lshrrev_b32_e32 v9, 4, v9
	s_delay_alu instid0(VALU_DEP_1) | instskip(SKIP_1) | instid1(VALU_DEP_2)
	v_sub_nc_u32_e32 v7, v9, v7
	v_ashrrev_i32_e32 v9, 8, v11
	v_add_nc_u32_e32 v7, 0x3c000000, v7
	s_delay_alu instid0(VALU_DEP_1) | instskip(NEXT) | instid1(VALU_DEP_1)
	v_and_or_b32 v7, 0x7f800000, v9, v7
	v_cndmask_b32_e32 v5, 0, v7, vcc_lo
	s_delay_alu instid0(VALU_DEP_1) | instskip(NEXT) | instid1(VALU_DEP_1)
	v_and_or_b32 v1, 0x80000000, v1, v5
	v_cvt_f64_f32_e32 v[22:23], v1
.LBB7_2349:
	s_mov_b32 s14, 0
.LBB7_2350:
	s_delay_alu instid0(SALU_CYCLE_1)
	s_and_not1_b32 vcc_lo, exec_lo, s14
	s_cbranch_vccnz .LBB7_2352
; %bb.2351:
	global_load_u8 v1, v[24:25], off
	s_wait_loadcnt 0x0
	v_lshlrev_b32_e32 v5, 25, v1
	v_lshlrev_b16 v1, 8, v1
	s_delay_alu instid0(VALU_DEP_2) | instskip(NEXT) | instid1(VALU_DEP_2)
	v_lshrrev_b32_e32 v7, 4, v5
	v_and_or_b32 v9, 0x7f00, v1, 0.5
	v_cmp_gt_u32_e32 vcc_lo, 0x8000000, v5
	v_bfe_i32 v1, v1, 0, 16
	s_delay_alu instid0(VALU_DEP_4) | instskip(NEXT) | instid1(VALU_DEP_4)
	v_or_b32_e32 v7, 0x70000000, v7
	v_add_f32_e32 v9, -0.5, v9
	s_delay_alu instid0(VALU_DEP_2) | instskip(NEXT) | instid1(VALU_DEP_1)
	v_mul_f32_e32 v7, 0x7800000, v7
	v_cndmask_b32_e32 v5, v7, v9, vcc_lo
	s_delay_alu instid0(VALU_DEP_1) | instskip(NEXT) | instid1(VALU_DEP_1)
	v_and_or_b32 v1, 0x80000000, v1, v5
	v_cvt_f64_f32_e32 v[22:23], v1
.LBB7_2352:
	s_mov_b32 s14, 0
	s_mov_b32 s15, -1
.LBB7_2353:
	s_and_not1_b32 vcc_lo, exec_lo, s14
	s_mov_b32 s14, 0
	s_cbranch_vccnz .LBB7_2364
; %bb.2354:
	s_cmp_gt_i32 s12, 14
	s_cbranch_scc0 .LBB7_2357
; %bb.2355:
	s_cmp_eq_u32 s12, 15
	s_cbranch_scc0 .LBB7_2360
; %bb.2356:
	global_load_u16 v1, v[24:25], off
	s_mov_b32 s13, 0
	s_mov_b32 s15, -1
	s_wait_loadcnt 0x0
	v_lshlrev_b32_e32 v1, 16, v1
	s_delay_alu instid0(VALU_DEP_1)
	v_cvt_f64_f32_e32 v[22:23], v1
	s_branch .LBB7_2362
.LBB7_2357:
	s_mov_b32 s14, -1
	s_branch .LBB7_2361
.LBB7_2358:
	s_or_saveexec_b32 s15, s15
	v_mov_b64_e32 v[22:23], 0x7ff8000020000000
	s_xor_b32 exec_lo, exec_lo, s15
	s_cbranch_execz .LBB7_2339
.LBB7_2359:
	v_cmp_ne_u16_e32 vcc_lo, 0, v1
	v_mov_b64_e32 v[22:23], 0
	s_and_not1_b32 s14, s14, exec_lo
	s_and_b32 s16, vcc_lo, exec_lo
	s_delay_alu instid0(SALU_CYCLE_1)
	s_or_b32 s14, s14, s16
	s_or_b32 exec_lo, exec_lo, s15
	s_and_saveexec_b32 s15, s14
	s_cbranch_execnz .LBB7_2340
	s_branch .LBB7_2341
.LBB7_2360:
	s_mov_b32 s13, -1
.LBB7_2361:
                                        ; implicit-def: $vgpr22_vgpr23
.LBB7_2362:
	s_and_b32 vcc_lo, exec_lo, s14
	s_mov_b32 s14, 0
	s_cbranch_vccz .LBB7_2364
; %bb.2363:
	s_cmp_lg_u32 s12, 11
	s_mov_b32 s14, -1
	s_cselect_b32 s13, -1, 0
.LBB7_2364:
	s_delay_alu instid0(SALU_CYCLE_1)
	s_and_b32 vcc_lo, exec_lo, s13
	s_cbranch_vccnz .LBB7_2429
; %bb.2365:
	s_and_not1_b32 vcc_lo, exec_lo, s14
	s_cbranch_vccnz .LBB7_2367
.LBB7_2366:
	global_load_u8 v1, v[24:25], off
	v_mov_b32_e32 v22, 0
	s_mov_b32 s15, -1
	s_wait_loadcnt 0x0
	v_cmp_ne_u16_e32 vcc_lo, 0, v1
	v_cndmask_b32_e64 v23, 0, 0x3ff00000, vcc_lo
.LBB7_2367:
	s_mov_b32 s13, 0
.LBB7_2368:
	s_delay_alu instid0(SALU_CYCLE_1)
	s_and_b32 vcc_lo, exec_lo, s13
	s_cbranch_vccz .LBB7_2417
; %bb.2369:
	s_cmp_lt_i32 s12, 5
	s_cbranch_scc1 .LBB7_2374
; %bb.2370:
	s_cmp_lt_i32 s12, 8
	s_cbranch_scc1 .LBB7_2375
	;; [unrolled: 3-line block ×3, first 2 shown]
; %bb.2372:
	s_cmp_gt_i32 s12, 9
	s_cbranch_scc0 .LBB7_2377
; %bb.2373:
	global_load_b64 v[22:23], v[24:25], off
	s_mov_b32 s13, 0
	s_branch .LBB7_2378
.LBB7_2374:
	s_mov_b32 s13, -1
                                        ; implicit-def: $vgpr22_vgpr23
	s_branch .LBB7_2396
.LBB7_2375:
	s_mov_b32 s13, -1
                                        ; implicit-def: $vgpr22_vgpr23
	s_branch .LBB7_2384
.LBB7_2376:
	s_mov_b32 s13, -1
                                        ; implicit-def: $vgpr22_vgpr23
	s_branch .LBB7_2381
.LBB7_2377:
	s_mov_b32 s13, -1
                                        ; implicit-def: $vgpr22_vgpr23
.LBB7_2378:
	s_delay_alu instid0(SALU_CYCLE_1)
	s_and_not1_b32 vcc_lo, exec_lo, s13
	s_cbranch_vccnz .LBB7_2380
; %bb.2379:
	global_load_b32 v1, v[24:25], off
	s_wait_loadcnt 0x0
	v_cvt_f64_f32_e32 v[22:23], v1
.LBB7_2380:
	s_mov_b32 s13, 0
.LBB7_2381:
	s_delay_alu instid0(SALU_CYCLE_1)
	s_and_not1_b32 vcc_lo, exec_lo, s13
	s_cbranch_vccnz .LBB7_2383
; %bb.2382:
	global_load_b32 v1, v[24:25], off
	s_wait_loadcnt 0x0
	v_cvt_f32_f16_e32 v1, v1
	s_delay_alu instid0(VALU_DEP_1)
	v_cvt_f64_f32_e32 v[22:23], v1
.LBB7_2383:
	s_mov_b32 s13, 0
.LBB7_2384:
	s_delay_alu instid0(SALU_CYCLE_1)
	s_and_not1_b32 vcc_lo, exec_lo, s13
	s_cbranch_vccnz .LBB7_2395
; %bb.2385:
	s_cmp_lt_i32 s12, 6
	s_cbranch_scc1 .LBB7_2388
; %bb.2386:
	s_cmp_gt_i32 s12, 6
	s_cbranch_scc0 .LBB7_2389
; %bb.2387:
	s_wait_loadcnt 0x0
	global_load_b64 v[22:23], v[24:25], off
	s_mov_b32 s13, 0
	s_branch .LBB7_2390
.LBB7_2388:
	s_mov_b32 s13, -1
                                        ; implicit-def: $vgpr22_vgpr23
	s_branch .LBB7_2393
.LBB7_2389:
	s_mov_b32 s13, -1
                                        ; implicit-def: $vgpr22_vgpr23
.LBB7_2390:
	s_delay_alu instid0(SALU_CYCLE_1)
	s_and_not1_b32 vcc_lo, exec_lo, s13
	s_cbranch_vccnz .LBB7_2392
; %bb.2391:
	global_load_b32 v1, v[24:25], off
	s_wait_loadcnt 0x0
	v_cvt_f64_f32_e32 v[22:23], v1
.LBB7_2392:
	s_mov_b32 s13, 0
.LBB7_2393:
	s_delay_alu instid0(SALU_CYCLE_1)
	s_and_not1_b32 vcc_lo, exec_lo, s13
	s_cbranch_vccnz .LBB7_2395
; %bb.2394:
	global_load_u16 v1, v[24:25], off
	s_wait_loadcnt 0x0
	v_cvt_f32_f16_e32 v1, v1
	s_delay_alu instid0(VALU_DEP_1)
	v_cvt_f64_f32_e32 v[22:23], v1
.LBB7_2395:
	s_mov_b32 s13, 0
.LBB7_2396:
	s_delay_alu instid0(SALU_CYCLE_1)
	s_and_not1_b32 vcc_lo, exec_lo, s13
	s_cbranch_vccnz .LBB7_2416
; %bb.2397:
	s_cmp_lt_i32 s12, 2
	s_cbranch_scc1 .LBB7_2401
; %bb.2398:
	s_cmp_lt_i32 s12, 3
	s_cbranch_scc1 .LBB7_2402
; %bb.2399:
	s_cmp_gt_i32 s12, 3
	s_cbranch_scc0 .LBB7_2403
; %bb.2400:
	s_wait_loadcnt 0x0
	global_load_b64 v[22:23], v[24:25], off
	s_mov_b32 s13, 0
	s_wait_loadcnt 0x0
	v_cvt_f64_i32_e32 v[26:27], v23
	v_cvt_f64_u32_e32 v[22:23], v22
	s_delay_alu instid0(VALU_DEP_2) | instskip(NEXT) | instid1(VALU_DEP_1)
	v_ldexp_f64 v[26:27], v[26:27], 32
	v_add_f64_e32 v[22:23], v[26:27], v[22:23]
	s_branch .LBB7_2404
.LBB7_2401:
	s_mov_b32 s13, -1
                                        ; implicit-def: $vgpr22_vgpr23
	s_branch .LBB7_2410
.LBB7_2402:
	s_mov_b32 s13, -1
                                        ; implicit-def: $vgpr22_vgpr23
	s_branch .LBB7_2407
.LBB7_2403:
	s_mov_b32 s13, -1
                                        ; implicit-def: $vgpr22_vgpr23
.LBB7_2404:
	s_delay_alu instid0(SALU_CYCLE_1)
	s_and_not1_b32 vcc_lo, exec_lo, s13
	s_cbranch_vccnz .LBB7_2406
; %bb.2405:
	global_load_b32 v1, v[24:25], off
	s_wait_loadcnt 0x0
	v_cvt_f64_i32_e32 v[22:23], v1
.LBB7_2406:
	s_mov_b32 s13, 0
.LBB7_2407:
	s_delay_alu instid0(SALU_CYCLE_1)
	s_and_not1_b32 vcc_lo, exec_lo, s13
	s_cbranch_vccnz .LBB7_2409
; %bb.2408:
	global_load_i16 v1, v[24:25], off
	s_wait_loadcnt 0x0
	v_cvt_f64_i32_e32 v[22:23], v1
.LBB7_2409:
	s_mov_b32 s13, 0
.LBB7_2410:
	s_delay_alu instid0(SALU_CYCLE_1)
	s_and_not1_b32 vcc_lo, exec_lo, s13
	s_cbranch_vccnz .LBB7_2416
; %bb.2411:
	s_cmp_gt_i32 s12, 0
	s_mov_b32 s13, 0
	s_cbranch_scc0 .LBB7_2413
; %bb.2412:
	global_load_i8 v1, v[24:25], off
	s_wait_loadcnt 0x0
	v_cvt_f64_i32_e32 v[22:23], v1
	s_branch .LBB7_2414
.LBB7_2413:
	s_mov_b32 s13, -1
                                        ; implicit-def: $vgpr22_vgpr23
.LBB7_2414:
	s_delay_alu instid0(SALU_CYCLE_1)
	s_and_not1_b32 vcc_lo, exec_lo, s13
	s_cbranch_vccnz .LBB7_2416
; %bb.2415:
	global_load_u8 v1, v[24:25], off
	s_wait_loadcnt 0x0
	v_cvt_f64_u32_e32 v[22:23], v1
.LBB7_2416:
	s_mov_b32 s15, -1
.LBB7_2417:
	s_delay_alu instid0(SALU_CYCLE_1)
	s_and_not1_b32 vcc_lo, exec_lo, s15
	s_cbranch_vccnz .LBB7_3113
; %bb.2418:
	v_mov_b32_e32 v17, 0
	s_cmp_lt_i32 s11, 11
	s_wait_xcnt 0x0
	s_delay_alu instid0(VALU_DEP_1)
	v_add_nc_u64_e32 v[24:25], s[6:7], v[16:17]
	s_cbranch_scc1 .LBB7_2425
; %bb.2419:
	s_cmp_gt_i32 s11, 25
	s_mov_b32 s7, 0
	s_cbranch_scc0 .LBB7_2426
; %bb.2420:
	s_cmp_gt_i32 s11, 28
	s_cbranch_scc0 .LBB7_2427
; %bb.2421:
	s_cmp_gt_i32 s11, 43
	;; [unrolled: 3-line block ×3, first 2 shown]
	s_cbranch_scc0 .LBB7_2430
; %bb.2423:
	s_cmp_eq_u32 s11, 46
	s_mov_b32 s14, 0
	s_cbranch_scc0 .LBB7_2431
; %bb.2424:
	global_load_b32 v1, v[24:25], off
	s_mov_b32 s6, 0
	s_mov_b32 s13, -1
	s_wait_loadcnt 0x0
	v_lshlrev_b32_e32 v1, 16, v1
	s_delay_alu instid0(VALU_DEP_1)
	v_cvt_f64_f32_e32 v[16:17], v1
	s_branch .LBB7_2433
.LBB7_2425:
	s_mov_b32 s6, -1
	s_mov_b32 s13, 0
                                        ; implicit-def: $vgpr16_vgpr17
	s_branch .LBB7_2499
.LBB7_2426:
	s_mov_b32 s14, -1
	s_mov_b32 s13, 0
	s_mov_b32 s6, 0
                                        ; implicit-def: $vgpr16_vgpr17
	s_branch .LBB7_2462
.LBB7_2427:
	s_mov_b32 s14, -1
	s_mov_b32 s13, 0
	s_mov_b32 s6, 0
                                        ; implicit-def: $vgpr16_vgpr17
	s_branch .LBB7_2443
.LBB7_2428:
	s_mov_b32 s14, -1
	s_mov_b32 s13, 0
	s_mov_b32 s6, 0
                                        ; implicit-def: $vgpr16_vgpr17
	s_branch .LBB7_2438
.LBB7_2429:
	s_or_b32 s10, s10, exec_lo
	s_trap 2
	s_cbranch_execz .LBB7_2366
	s_branch .LBB7_2367
.LBB7_2430:
	s_mov_b32 s14, -1
	s_mov_b32 s13, 0
	s_mov_b32 s6, 0
	s_branch .LBB7_2432
.LBB7_2431:
	s_mov_b32 s6, -1
	s_mov_b32 s13, 0
.LBB7_2432:
                                        ; implicit-def: $vgpr16_vgpr17
.LBB7_2433:
	s_and_b32 vcc_lo, exec_lo, s14
	s_cbranch_vccz .LBB7_2437
; %bb.2434:
	s_cmp_eq_u32 s11, 44
	s_cbranch_scc0 .LBB7_2436
; %bb.2435:
	global_load_u8 v1, v[24:25], off
	s_mov_b32 s6, 0
	s_mov_b32 s13, -1
	s_wait_loadcnt 0x0
	v_lshlrev_b32_e32 v5, 23, v1
	v_cmp_ne_u32_e32 vcc_lo, 0xff, v1
	s_delay_alu instid0(VALU_DEP_2) | instskip(NEXT) | instid1(VALU_DEP_1)
	v_cvt_f64_f32_e32 v[16:17], v5
	v_cndmask_b32_e32 v5, 0x20000000, v16, vcc_lo
	s_delay_alu instid0(VALU_DEP_2) | instskip(SKIP_1) | instid1(VALU_DEP_2)
	v_cndmask_b32_e32 v7, 0x7ff80000, v17, vcc_lo
	v_cmp_ne_u32_e32 vcc_lo, 0, v1
	v_cndmask_b32_e32 v17, 0x38000000, v7, vcc_lo
	s_delay_alu instid0(VALU_DEP_4)
	v_cndmask_b32_e32 v16, 0, v5, vcc_lo
	s_branch .LBB7_2437
.LBB7_2436:
	s_mov_b32 s6, -1
                                        ; implicit-def: $vgpr16_vgpr17
.LBB7_2437:
	s_mov_b32 s14, 0
.LBB7_2438:
	s_delay_alu instid0(SALU_CYCLE_1)
	s_and_b32 vcc_lo, exec_lo, s14
	s_cbranch_vccz .LBB7_2442
; %bb.2439:
	s_cmp_eq_u32 s11, 29
	s_cbranch_scc0 .LBB7_2441
; %bb.2440:
	global_load_b64 v[16:17], v[24:25], off
	s_mov_b32 s6, 0
	s_mov_b32 s13, -1
	s_mov_b32 s14, 0
	s_wait_loadcnt 0x0
	v_cvt_f64_u32_e32 v[26:27], v17
	v_cvt_f64_u32_e32 v[16:17], v16
	s_delay_alu instid0(VALU_DEP_2) | instskip(NEXT) | instid1(VALU_DEP_1)
	v_ldexp_f64 v[26:27], v[26:27], 32
	v_add_f64_e32 v[16:17], v[26:27], v[16:17]
	s_branch .LBB7_2443
.LBB7_2441:
	s_mov_b32 s6, -1
                                        ; implicit-def: $vgpr16_vgpr17
.LBB7_2442:
	s_mov_b32 s14, 0
.LBB7_2443:
	s_delay_alu instid0(SALU_CYCLE_1)
	s_and_b32 vcc_lo, exec_lo, s14
	s_cbranch_vccz .LBB7_2461
; %bb.2444:
	s_cmp_lt_i32 s11, 27
	s_cbranch_scc1 .LBB7_2447
; %bb.2445:
	s_cmp_gt_i32 s11, 27
	s_cbranch_scc0 .LBB7_2448
; %bb.2446:
	global_load_b32 v1, v[24:25], off
	s_mov_b32 s13, 0
	s_wait_loadcnt 0x0
	v_cvt_f64_u32_e32 v[16:17], v1
	s_branch .LBB7_2449
.LBB7_2447:
	s_mov_b32 s13, -1
                                        ; implicit-def: $vgpr16_vgpr17
	s_branch .LBB7_2452
.LBB7_2448:
	s_mov_b32 s13, -1
                                        ; implicit-def: $vgpr16_vgpr17
.LBB7_2449:
	s_delay_alu instid0(SALU_CYCLE_1)
	s_and_not1_b32 vcc_lo, exec_lo, s13
	s_cbranch_vccnz .LBB7_2451
; %bb.2450:
	global_load_u16 v1, v[24:25], off
	s_wait_loadcnt 0x0
	v_cvt_f64_u32_e32 v[16:17], v1
.LBB7_2451:
	s_mov_b32 s13, 0
.LBB7_2452:
	s_delay_alu instid0(SALU_CYCLE_1)
	s_and_not1_b32 vcc_lo, exec_lo, s13
	s_cbranch_vccnz .LBB7_2460
; %bb.2453:
	global_load_u8 v1, v[24:25], off
	s_mov_b32 s13, 0
	s_mov_b32 s14, exec_lo
	s_wait_loadcnt 0x0
	v_cmpx_lt_i16_e32 0x7f, v1
	s_xor_b32 s14, exec_lo, s14
	s_cbranch_execz .LBB7_2474
; %bb.2454:
	s_mov_b32 s13, -1
	s_mov_b32 s15, exec_lo
	v_cmpx_eq_u16_e32 0x80, v1
; %bb.2455:
	s_xor_b32 s13, exec_lo, -1
; %bb.2456:
	s_or_b32 exec_lo, exec_lo, s15
	s_delay_alu instid0(SALU_CYCLE_1)
	s_and_b32 s13, s13, exec_lo
	s_or_saveexec_b32 s14, s14
	v_mov_b64_e32 v[16:17], 0x7ff8000020000000
	s_xor_b32 exec_lo, exec_lo, s14
	s_cbranch_execnz .LBB7_2475
.LBB7_2457:
	s_or_b32 exec_lo, exec_lo, s14
	s_and_saveexec_b32 s14, s13
	s_cbranch_execz .LBB7_2459
.LBB7_2458:
	v_and_b32_e32 v5, 0xffff, v1
	v_lshlrev_b32_e32 v1, 24, v1
	s_delay_alu instid0(VALU_DEP_2) | instskip(SKIP_1) | instid1(VALU_DEP_3)
	v_and_b32_e32 v7, 7, v5
	v_bfe_u32 v16, v5, 3, 4
	v_and_b32_e32 v1, 0x80000000, v1
	s_delay_alu instid0(VALU_DEP_3) | instskip(NEXT) | instid1(VALU_DEP_3)
	v_clz_i32_u32_e32 v9, v7
	v_cmp_eq_u32_e32 vcc_lo, 0, v16
	s_delay_alu instid0(VALU_DEP_2) | instskip(NEXT) | instid1(VALU_DEP_1)
	v_min_u32_e32 v9, 32, v9
	v_subrev_nc_u32_e32 v11, 28, v9
	v_sub_nc_u32_e32 v9, 29, v9
	s_delay_alu instid0(VALU_DEP_2) | instskip(NEXT) | instid1(VALU_DEP_2)
	v_lshlrev_b32_e32 v5, v11, v5
	v_cndmask_b32_e32 v9, v16, v9, vcc_lo
	s_delay_alu instid0(VALU_DEP_2) | instskip(NEXT) | instid1(VALU_DEP_1)
	v_and_b32_e32 v5, 7, v5
	v_cndmask_b32_e32 v5, v7, v5, vcc_lo
	s_delay_alu instid0(VALU_DEP_3) | instskip(NEXT) | instid1(VALU_DEP_2)
	v_lshl_add_u32 v7, v9, 23, 0x3b800000
	v_lshlrev_b32_e32 v5, 20, v5
	s_delay_alu instid0(VALU_DEP_1) | instskip(NEXT) | instid1(VALU_DEP_1)
	v_or3_b32 v1, v1, v7, v5
	v_cvt_f64_f32_e32 v[16:17], v1
.LBB7_2459:
	s_or_b32 exec_lo, exec_lo, s14
.LBB7_2460:
	s_mov_b32 s13, -1
.LBB7_2461:
	s_mov_b32 s14, 0
.LBB7_2462:
	s_delay_alu instid0(SALU_CYCLE_1)
	s_and_b32 vcc_lo, exec_lo, s14
	s_cbranch_vccz .LBB7_2495
; %bb.2463:
	s_cmp_gt_i32 s11, 22
	s_cbranch_scc0 .LBB7_2473
; %bb.2464:
	s_cmp_lt_i32 s11, 24
	s_cbranch_scc1 .LBB7_2476
; %bb.2465:
	s_cmp_gt_i32 s11, 24
	s_cbranch_scc0 .LBB7_2477
; %bb.2466:
	global_load_u8 v1, v[24:25], off
	s_mov_b32 s13, exec_lo
	s_wait_loadcnt 0x0
	v_cmpx_lt_i16_e32 0x7f, v1
	s_xor_b32 s13, exec_lo, s13
	s_cbranch_execz .LBB7_2489
; %bb.2467:
	s_mov_b32 s7, -1
	s_mov_b32 s14, exec_lo
	v_cmpx_eq_u16_e32 0x80, v1
; %bb.2468:
	s_xor_b32 s7, exec_lo, -1
; %bb.2469:
	s_or_b32 exec_lo, exec_lo, s14
	s_delay_alu instid0(SALU_CYCLE_1)
	s_and_b32 s7, s7, exec_lo
	s_or_saveexec_b32 s13, s13
	v_mov_b64_e32 v[16:17], 0x7ff8000020000000
	s_xor_b32 exec_lo, exec_lo, s13
	s_cbranch_execnz .LBB7_2490
.LBB7_2470:
	s_or_b32 exec_lo, exec_lo, s13
	s_and_saveexec_b32 s13, s7
	s_cbranch_execz .LBB7_2472
.LBB7_2471:
	v_and_b32_e32 v5, 0xffff, v1
	v_lshlrev_b32_e32 v1, 24, v1
	s_delay_alu instid0(VALU_DEP_2) | instskip(SKIP_1) | instid1(VALU_DEP_3)
	v_and_b32_e32 v7, 3, v5
	v_bfe_u32 v16, v5, 2, 5
	v_and_b32_e32 v1, 0x80000000, v1
	s_delay_alu instid0(VALU_DEP_3) | instskip(NEXT) | instid1(VALU_DEP_3)
	v_clz_i32_u32_e32 v9, v7
	v_cmp_eq_u32_e32 vcc_lo, 0, v16
	s_delay_alu instid0(VALU_DEP_2) | instskip(NEXT) | instid1(VALU_DEP_1)
	v_min_u32_e32 v9, 32, v9
	v_subrev_nc_u32_e32 v11, 29, v9
	v_sub_nc_u32_e32 v9, 30, v9
	s_delay_alu instid0(VALU_DEP_2) | instskip(NEXT) | instid1(VALU_DEP_2)
	v_lshlrev_b32_e32 v5, v11, v5
	v_cndmask_b32_e32 v9, v16, v9, vcc_lo
	s_delay_alu instid0(VALU_DEP_2) | instskip(NEXT) | instid1(VALU_DEP_1)
	v_and_b32_e32 v5, 3, v5
	v_cndmask_b32_e32 v5, v7, v5, vcc_lo
	s_delay_alu instid0(VALU_DEP_3) | instskip(NEXT) | instid1(VALU_DEP_2)
	v_lshl_add_u32 v7, v9, 23, 0x37800000
	v_lshlrev_b32_e32 v5, 21, v5
	s_delay_alu instid0(VALU_DEP_1) | instskip(NEXT) | instid1(VALU_DEP_1)
	v_or3_b32 v1, v1, v7, v5
	v_cvt_f64_f32_e32 v[16:17], v1
.LBB7_2472:
	s_or_b32 exec_lo, exec_lo, s13
	s_mov_b32 s7, 0
	s_branch .LBB7_2478
.LBB7_2473:
	s_mov_b32 s7, -1
                                        ; implicit-def: $vgpr16_vgpr17
	s_branch .LBB7_2484
.LBB7_2474:
	s_or_saveexec_b32 s14, s14
	v_mov_b64_e32 v[16:17], 0x7ff8000020000000
	s_xor_b32 exec_lo, exec_lo, s14
	s_cbranch_execz .LBB7_2457
.LBB7_2475:
	v_cmp_ne_u16_e32 vcc_lo, 0, v1
	v_mov_b64_e32 v[16:17], 0
	s_and_not1_b32 s13, s13, exec_lo
	s_and_b32 s15, vcc_lo, exec_lo
	s_delay_alu instid0(SALU_CYCLE_1)
	s_or_b32 s13, s13, s15
	s_or_b32 exec_lo, exec_lo, s14
	s_and_saveexec_b32 s14, s13
	s_cbranch_execnz .LBB7_2458
	s_branch .LBB7_2459
.LBB7_2476:
	s_mov_b32 s7, -1
                                        ; implicit-def: $vgpr16_vgpr17
	s_branch .LBB7_2481
.LBB7_2477:
	s_mov_b32 s7, -1
                                        ; implicit-def: $vgpr16_vgpr17
.LBB7_2478:
	s_delay_alu instid0(SALU_CYCLE_1)
	s_and_b32 vcc_lo, exec_lo, s7
	s_cbranch_vccz .LBB7_2480
; %bb.2479:
	global_load_u8 v1, v[24:25], off
	s_wait_loadcnt 0x0
	v_lshlrev_b32_e32 v1, 24, v1
	s_delay_alu instid0(VALU_DEP_1) | instskip(NEXT) | instid1(VALU_DEP_1)
	v_and_b32_e32 v5, 0x7f000000, v1
	v_clz_i32_u32_e32 v7, v5
	v_cmp_ne_u32_e32 vcc_lo, 0, v5
	v_add_nc_u32_e32 v11, 0x1000000, v5
	s_delay_alu instid0(VALU_DEP_3) | instskip(NEXT) | instid1(VALU_DEP_1)
	v_min_u32_e32 v7, 32, v7
	v_sub_nc_u32_e64 v7, v7, 4 clamp
	s_delay_alu instid0(VALU_DEP_1) | instskip(NEXT) | instid1(VALU_DEP_1)
	v_dual_lshlrev_b32 v9, v7, v5 :: v_dual_lshlrev_b32 v7, 23, v7
	v_lshrrev_b32_e32 v9, 4, v9
	s_delay_alu instid0(VALU_DEP_1) | instskip(SKIP_1) | instid1(VALU_DEP_2)
	v_sub_nc_u32_e32 v7, v9, v7
	v_ashrrev_i32_e32 v9, 8, v11
	v_add_nc_u32_e32 v7, 0x3c000000, v7
	s_delay_alu instid0(VALU_DEP_1) | instskip(NEXT) | instid1(VALU_DEP_1)
	v_and_or_b32 v7, 0x7f800000, v9, v7
	v_cndmask_b32_e32 v5, 0, v7, vcc_lo
	s_delay_alu instid0(VALU_DEP_1) | instskip(NEXT) | instid1(VALU_DEP_1)
	v_and_or_b32 v1, 0x80000000, v1, v5
	v_cvt_f64_f32_e32 v[16:17], v1
.LBB7_2480:
	s_mov_b32 s7, 0
.LBB7_2481:
	s_delay_alu instid0(SALU_CYCLE_1)
	s_and_not1_b32 vcc_lo, exec_lo, s7
	s_cbranch_vccnz .LBB7_2483
; %bb.2482:
	global_load_u8 v1, v[24:25], off
	s_wait_loadcnt 0x0
	v_lshlrev_b32_e32 v5, 25, v1
	v_lshlrev_b16 v1, 8, v1
	s_delay_alu instid0(VALU_DEP_2) | instskip(NEXT) | instid1(VALU_DEP_2)
	v_lshrrev_b32_e32 v7, 4, v5
	v_and_or_b32 v9, 0x7f00, v1, 0.5
	v_cmp_gt_u32_e32 vcc_lo, 0x8000000, v5
	v_bfe_i32 v1, v1, 0, 16
	s_delay_alu instid0(VALU_DEP_4) | instskip(NEXT) | instid1(VALU_DEP_4)
	v_or_b32_e32 v7, 0x70000000, v7
	v_add_f32_e32 v9, -0.5, v9
	s_delay_alu instid0(VALU_DEP_2) | instskip(NEXT) | instid1(VALU_DEP_1)
	v_mul_f32_e32 v7, 0x7800000, v7
	v_cndmask_b32_e32 v5, v7, v9, vcc_lo
	s_delay_alu instid0(VALU_DEP_1) | instskip(NEXT) | instid1(VALU_DEP_1)
	v_and_or_b32 v1, 0x80000000, v1, v5
	v_cvt_f64_f32_e32 v[16:17], v1
.LBB7_2483:
	s_mov_b32 s7, 0
	s_mov_b32 s13, -1
.LBB7_2484:
	s_and_not1_b32 vcc_lo, exec_lo, s7
	s_mov_b32 s7, 0
	s_cbranch_vccnz .LBB7_2495
; %bb.2485:
	s_cmp_gt_i32 s11, 14
	s_cbranch_scc0 .LBB7_2488
; %bb.2486:
	s_cmp_eq_u32 s11, 15
	s_cbranch_scc0 .LBB7_2491
; %bb.2487:
	global_load_u16 v1, v[24:25], off
	s_mov_b32 s6, 0
	s_mov_b32 s13, -1
	s_wait_loadcnt 0x0
	v_lshlrev_b32_e32 v1, 16, v1
	s_delay_alu instid0(VALU_DEP_1)
	v_cvt_f64_f32_e32 v[16:17], v1
	s_branch .LBB7_2493
.LBB7_2488:
	s_mov_b32 s7, -1
	s_branch .LBB7_2492
.LBB7_2489:
	s_or_saveexec_b32 s13, s13
	v_mov_b64_e32 v[16:17], 0x7ff8000020000000
	s_xor_b32 exec_lo, exec_lo, s13
	s_cbranch_execz .LBB7_2470
.LBB7_2490:
	v_cmp_ne_u16_e32 vcc_lo, 0, v1
	v_mov_b64_e32 v[16:17], 0
	s_and_not1_b32 s7, s7, exec_lo
	s_and_b32 s14, vcc_lo, exec_lo
	s_delay_alu instid0(SALU_CYCLE_1)
	s_or_b32 s7, s7, s14
	s_or_b32 exec_lo, exec_lo, s13
	s_and_saveexec_b32 s13, s7
	s_cbranch_execnz .LBB7_2471
	s_branch .LBB7_2472
.LBB7_2491:
	s_mov_b32 s6, -1
.LBB7_2492:
                                        ; implicit-def: $vgpr16_vgpr17
.LBB7_2493:
	s_and_b32 vcc_lo, exec_lo, s7
	s_mov_b32 s7, 0
	s_cbranch_vccz .LBB7_2495
; %bb.2494:
	s_cmp_lg_u32 s11, 11
	s_mov_b32 s7, -1
	s_cselect_b32 s6, -1, 0
.LBB7_2495:
	s_delay_alu instid0(SALU_CYCLE_1)
	s_and_b32 vcc_lo, exec_lo, s6
	s_cbranch_vccnz .LBB7_2560
; %bb.2496:
	s_and_not1_b32 vcc_lo, exec_lo, s7
	s_cbranch_vccnz .LBB7_2498
.LBB7_2497:
	global_load_u8 v1, v[24:25], off
	v_mov_b32_e32 v16, 0
	s_mov_b32 s13, -1
	s_wait_loadcnt 0x0
	v_cmp_ne_u16_e32 vcc_lo, 0, v1
	v_cndmask_b32_e64 v17, 0, 0x3ff00000, vcc_lo
.LBB7_2498:
	s_mov_b32 s6, 0
.LBB7_2499:
	s_delay_alu instid0(SALU_CYCLE_1)
	s_and_b32 vcc_lo, exec_lo, s6
	s_cbranch_vccz .LBB7_2548
; %bb.2500:
	s_cmp_lt_i32 s11, 5
	s_cbranch_scc1 .LBB7_2505
; %bb.2501:
	s_cmp_lt_i32 s11, 8
	s_cbranch_scc1 .LBB7_2506
	;; [unrolled: 3-line block ×3, first 2 shown]
; %bb.2503:
	s_cmp_gt_i32 s11, 9
	s_cbranch_scc0 .LBB7_2508
; %bb.2504:
	global_load_b64 v[16:17], v[24:25], off
	s_mov_b32 s6, 0
	s_branch .LBB7_2509
.LBB7_2505:
	s_mov_b32 s6, -1
                                        ; implicit-def: $vgpr16_vgpr17
	s_branch .LBB7_2527
.LBB7_2506:
	s_mov_b32 s6, -1
                                        ; implicit-def: $vgpr16_vgpr17
	s_branch .LBB7_2515
.LBB7_2507:
	s_mov_b32 s6, -1
                                        ; implicit-def: $vgpr16_vgpr17
	s_branch .LBB7_2512
.LBB7_2508:
	s_mov_b32 s6, -1
                                        ; implicit-def: $vgpr16_vgpr17
.LBB7_2509:
	s_delay_alu instid0(SALU_CYCLE_1)
	s_and_not1_b32 vcc_lo, exec_lo, s6
	s_cbranch_vccnz .LBB7_2511
; %bb.2510:
	global_load_b32 v1, v[24:25], off
	s_wait_loadcnt 0x0
	v_cvt_f64_f32_e32 v[16:17], v1
.LBB7_2511:
	s_mov_b32 s6, 0
.LBB7_2512:
	s_delay_alu instid0(SALU_CYCLE_1)
	s_and_not1_b32 vcc_lo, exec_lo, s6
	s_cbranch_vccnz .LBB7_2514
; %bb.2513:
	global_load_b32 v1, v[24:25], off
	s_wait_loadcnt 0x0
	v_cvt_f32_f16_e32 v1, v1
	s_delay_alu instid0(VALU_DEP_1)
	v_cvt_f64_f32_e32 v[16:17], v1
.LBB7_2514:
	s_mov_b32 s6, 0
.LBB7_2515:
	s_delay_alu instid0(SALU_CYCLE_1)
	s_and_not1_b32 vcc_lo, exec_lo, s6
	s_cbranch_vccnz .LBB7_2526
; %bb.2516:
	s_cmp_lt_i32 s11, 6
	s_cbranch_scc1 .LBB7_2519
; %bb.2517:
	s_cmp_gt_i32 s11, 6
	s_cbranch_scc0 .LBB7_2520
; %bb.2518:
	s_wait_loadcnt 0x0
	global_load_b64 v[16:17], v[24:25], off
	s_mov_b32 s6, 0
	s_branch .LBB7_2521
.LBB7_2519:
	s_mov_b32 s6, -1
                                        ; implicit-def: $vgpr16_vgpr17
	s_branch .LBB7_2524
.LBB7_2520:
	s_mov_b32 s6, -1
                                        ; implicit-def: $vgpr16_vgpr17
.LBB7_2521:
	s_delay_alu instid0(SALU_CYCLE_1)
	s_and_not1_b32 vcc_lo, exec_lo, s6
	s_cbranch_vccnz .LBB7_2523
; %bb.2522:
	global_load_b32 v1, v[24:25], off
	s_wait_loadcnt 0x0
	v_cvt_f64_f32_e32 v[16:17], v1
.LBB7_2523:
	s_mov_b32 s6, 0
.LBB7_2524:
	s_delay_alu instid0(SALU_CYCLE_1)
	s_and_not1_b32 vcc_lo, exec_lo, s6
	s_cbranch_vccnz .LBB7_2526
; %bb.2525:
	global_load_u16 v1, v[24:25], off
	s_wait_loadcnt 0x0
	v_cvt_f32_f16_e32 v1, v1
	s_delay_alu instid0(VALU_DEP_1)
	v_cvt_f64_f32_e32 v[16:17], v1
.LBB7_2526:
	s_mov_b32 s6, 0
.LBB7_2527:
	s_delay_alu instid0(SALU_CYCLE_1)
	s_and_not1_b32 vcc_lo, exec_lo, s6
	s_cbranch_vccnz .LBB7_2547
; %bb.2528:
	s_cmp_lt_i32 s11, 2
	s_cbranch_scc1 .LBB7_2532
; %bb.2529:
	s_cmp_lt_i32 s11, 3
	s_cbranch_scc1 .LBB7_2533
; %bb.2530:
	s_cmp_gt_i32 s11, 3
	s_cbranch_scc0 .LBB7_2534
; %bb.2531:
	s_wait_loadcnt 0x0
	global_load_b64 v[16:17], v[24:25], off
	s_mov_b32 s6, 0
	s_wait_loadcnt 0x0
	v_cvt_f64_i32_e32 v[26:27], v17
	v_cvt_f64_u32_e32 v[16:17], v16
	s_delay_alu instid0(VALU_DEP_2) | instskip(NEXT) | instid1(VALU_DEP_1)
	v_ldexp_f64 v[26:27], v[26:27], 32
	v_add_f64_e32 v[16:17], v[26:27], v[16:17]
	s_branch .LBB7_2535
.LBB7_2532:
	s_mov_b32 s6, -1
                                        ; implicit-def: $vgpr16_vgpr17
	s_branch .LBB7_2541
.LBB7_2533:
	s_mov_b32 s6, -1
                                        ; implicit-def: $vgpr16_vgpr17
	s_branch .LBB7_2538
.LBB7_2534:
	s_mov_b32 s6, -1
                                        ; implicit-def: $vgpr16_vgpr17
.LBB7_2535:
	s_delay_alu instid0(SALU_CYCLE_1)
	s_and_not1_b32 vcc_lo, exec_lo, s6
	s_cbranch_vccnz .LBB7_2537
; %bb.2536:
	global_load_b32 v1, v[24:25], off
	s_wait_loadcnt 0x0
	v_cvt_f64_i32_e32 v[16:17], v1
.LBB7_2537:
	s_mov_b32 s6, 0
.LBB7_2538:
	s_delay_alu instid0(SALU_CYCLE_1)
	s_and_not1_b32 vcc_lo, exec_lo, s6
	s_cbranch_vccnz .LBB7_2540
; %bb.2539:
	global_load_i16 v1, v[24:25], off
	s_wait_loadcnt 0x0
	v_cvt_f64_i32_e32 v[16:17], v1
.LBB7_2540:
	s_mov_b32 s6, 0
.LBB7_2541:
	s_delay_alu instid0(SALU_CYCLE_1)
	s_and_not1_b32 vcc_lo, exec_lo, s6
	s_cbranch_vccnz .LBB7_2547
; %bb.2542:
	s_cmp_gt_i32 s11, 0
	s_mov_b32 s6, 0
	s_cbranch_scc0 .LBB7_2544
; %bb.2543:
	global_load_i8 v1, v[24:25], off
	s_wait_loadcnt 0x0
	v_cvt_f64_i32_e32 v[16:17], v1
	s_branch .LBB7_2545
.LBB7_2544:
	s_mov_b32 s6, -1
                                        ; implicit-def: $vgpr16_vgpr17
.LBB7_2545:
	s_delay_alu instid0(SALU_CYCLE_1)
	s_and_not1_b32 vcc_lo, exec_lo, s6
	s_cbranch_vccnz .LBB7_2547
; %bb.2546:
	global_load_u8 v1, v[24:25], off
	s_wait_loadcnt 0x0
	v_cvt_f64_u32_e32 v[16:17], v1
.LBB7_2547:
	s_mov_b32 s13, -1
.LBB7_2548:
	s_delay_alu instid0(SALU_CYCLE_1)
	s_and_not1_b32 vcc_lo, exec_lo, s13
	s_cbranch_vccnz .LBB7_3113
; %bb.2549:
	v_mov_b32_e32 v11, 0
	s_cmp_lt_i32 s12, 11
	s_wait_xcnt 0x0
	s_delay_alu instid0(VALU_DEP_1)
	v_add_nc_u64_e32 v[24:25], s[0:1], v[10:11]
	s_cbranch_scc1 .LBB7_2556
; %bb.2550:
	s_cmp_gt_i32 s12, 25
	s_mov_b32 s1, 0
	s_cbranch_scc0 .LBB7_2557
; %bb.2551:
	s_cmp_gt_i32 s12, 28
	s_cbranch_scc0 .LBB7_2558
; %bb.2552:
	s_cmp_gt_i32 s12, 43
	;; [unrolled: 3-line block ×3, first 2 shown]
	s_cbranch_scc0 .LBB7_2561
; %bb.2554:
	s_cmp_eq_u32 s12, 46
	s_mov_b32 s7, 0
	s_cbranch_scc0 .LBB7_2562
; %bb.2555:
	global_load_b32 v1, v[24:25], off
	s_mov_b32 s0, 0
	s_mov_b32 s6, -1
	s_wait_loadcnt 0x0
	v_lshlrev_b32_e32 v1, 16, v1
	s_delay_alu instid0(VALU_DEP_1)
	v_cvt_f64_f32_e32 v[10:11], v1
	s_branch .LBB7_2564
.LBB7_2556:
	s_mov_b32 s0, -1
	s_mov_b32 s6, 0
                                        ; implicit-def: $vgpr10_vgpr11
	s_branch .LBB7_2630
.LBB7_2557:
	s_mov_b32 s7, -1
	s_mov_b32 s6, 0
	s_mov_b32 s0, 0
                                        ; implicit-def: $vgpr10_vgpr11
	s_branch .LBB7_2593
.LBB7_2558:
	s_mov_b32 s7, -1
	s_mov_b32 s6, 0
	s_mov_b32 s0, 0
                                        ; implicit-def: $vgpr10_vgpr11
	s_branch .LBB7_2574
.LBB7_2559:
	s_mov_b32 s7, -1
	s_mov_b32 s6, 0
	s_mov_b32 s0, 0
                                        ; implicit-def: $vgpr10_vgpr11
	s_branch .LBB7_2569
.LBB7_2560:
	s_or_b32 s10, s10, exec_lo
	s_trap 2
	s_cbranch_execz .LBB7_2497
	s_branch .LBB7_2498
.LBB7_2561:
	s_mov_b32 s7, -1
	s_mov_b32 s6, 0
	s_mov_b32 s0, 0
	s_branch .LBB7_2563
.LBB7_2562:
	s_mov_b32 s0, -1
	s_mov_b32 s6, 0
.LBB7_2563:
                                        ; implicit-def: $vgpr10_vgpr11
.LBB7_2564:
	s_and_b32 vcc_lo, exec_lo, s7
	s_cbranch_vccz .LBB7_2568
; %bb.2565:
	s_cmp_eq_u32 s12, 44
	s_cbranch_scc0 .LBB7_2567
; %bb.2566:
	global_load_u8 v1, v[24:25], off
	s_mov_b32 s0, 0
	s_mov_b32 s6, -1
	s_wait_loadcnt 0x0
	v_lshlrev_b32_e32 v5, 23, v1
	v_cmp_ne_u32_e32 vcc_lo, 0xff, v1
	s_delay_alu instid0(VALU_DEP_2) | instskip(NEXT) | instid1(VALU_DEP_1)
	v_cvt_f64_f32_e32 v[10:11], v5
	v_cndmask_b32_e32 v5, 0x20000000, v10, vcc_lo
	s_delay_alu instid0(VALU_DEP_2) | instskip(SKIP_1) | instid1(VALU_DEP_2)
	v_cndmask_b32_e32 v7, 0x7ff80000, v11, vcc_lo
	v_cmp_ne_u32_e32 vcc_lo, 0, v1
	v_cndmask_b32_e32 v11, 0x38000000, v7, vcc_lo
	s_delay_alu instid0(VALU_DEP_4)
	v_cndmask_b32_e32 v10, 0, v5, vcc_lo
	s_branch .LBB7_2568
.LBB7_2567:
	s_mov_b32 s0, -1
                                        ; implicit-def: $vgpr10_vgpr11
.LBB7_2568:
	s_mov_b32 s7, 0
.LBB7_2569:
	s_delay_alu instid0(SALU_CYCLE_1)
	s_and_b32 vcc_lo, exec_lo, s7
	s_cbranch_vccz .LBB7_2573
; %bb.2570:
	s_cmp_eq_u32 s12, 29
	s_cbranch_scc0 .LBB7_2572
; %bb.2571:
	global_load_b64 v[10:11], v[24:25], off
	s_mov_b32 s0, 0
	s_mov_b32 s6, -1
	s_mov_b32 s7, 0
	s_wait_loadcnt 0x0
	v_cvt_f64_u32_e32 v[26:27], v11
	v_cvt_f64_u32_e32 v[10:11], v10
	s_delay_alu instid0(VALU_DEP_2) | instskip(NEXT) | instid1(VALU_DEP_1)
	v_ldexp_f64 v[26:27], v[26:27], 32
	v_add_f64_e32 v[10:11], v[26:27], v[10:11]
	s_branch .LBB7_2574
.LBB7_2572:
	s_mov_b32 s0, -1
                                        ; implicit-def: $vgpr10_vgpr11
.LBB7_2573:
	s_mov_b32 s7, 0
.LBB7_2574:
	s_delay_alu instid0(SALU_CYCLE_1)
	s_and_b32 vcc_lo, exec_lo, s7
	s_cbranch_vccz .LBB7_2592
; %bb.2575:
	s_cmp_lt_i32 s12, 27
	s_cbranch_scc1 .LBB7_2578
; %bb.2576:
	s_cmp_gt_i32 s12, 27
	s_cbranch_scc0 .LBB7_2579
; %bb.2577:
	global_load_b32 v1, v[24:25], off
	s_mov_b32 s6, 0
	s_wait_loadcnt 0x0
	v_cvt_f64_u32_e32 v[10:11], v1
	s_branch .LBB7_2580
.LBB7_2578:
	s_mov_b32 s6, -1
                                        ; implicit-def: $vgpr10_vgpr11
	s_branch .LBB7_2583
.LBB7_2579:
	s_mov_b32 s6, -1
                                        ; implicit-def: $vgpr10_vgpr11
.LBB7_2580:
	s_delay_alu instid0(SALU_CYCLE_1)
	s_and_not1_b32 vcc_lo, exec_lo, s6
	s_cbranch_vccnz .LBB7_2582
; %bb.2581:
	global_load_u16 v1, v[24:25], off
	s_wait_loadcnt 0x0
	v_cvt_f64_u32_e32 v[10:11], v1
.LBB7_2582:
	s_mov_b32 s6, 0
.LBB7_2583:
	s_delay_alu instid0(SALU_CYCLE_1)
	s_and_not1_b32 vcc_lo, exec_lo, s6
	s_cbranch_vccnz .LBB7_2591
; %bb.2584:
	global_load_u8 v1, v[24:25], off
	s_mov_b32 s6, 0
	s_mov_b32 s7, exec_lo
	s_wait_loadcnt 0x0
	v_cmpx_lt_i16_e32 0x7f, v1
	s_xor_b32 s7, exec_lo, s7
	s_cbranch_execz .LBB7_2605
; %bb.2585:
	s_mov_b32 s6, -1
	s_mov_b32 s11, exec_lo
	v_cmpx_eq_u16_e32 0x80, v1
; %bb.2586:
	s_xor_b32 s6, exec_lo, -1
; %bb.2587:
	s_or_b32 exec_lo, exec_lo, s11
	s_delay_alu instid0(SALU_CYCLE_1)
	s_and_b32 s6, s6, exec_lo
	s_or_saveexec_b32 s7, s7
	v_mov_b64_e32 v[10:11], 0x7ff8000020000000
	s_xor_b32 exec_lo, exec_lo, s7
	s_cbranch_execnz .LBB7_2606
.LBB7_2588:
	s_or_b32 exec_lo, exec_lo, s7
	s_and_saveexec_b32 s7, s6
	s_cbranch_execz .LBB7_2590
.LBB7_2589:
	v_and_b32_e32 v5, 0xffff, v1
	v_lshlrev_b32_e32 v1, 24, v1
	s_delay_alu instid0(VALU_DEP_2) | instskip(SKIP_1) | instid1(VALU_DEP_3)
	v_and_b32_e32 v7, 7, v5
	v_bfe_u32 v11, v5, 3, 4
	v_and_b32_e32 v1, 0x80000000, v1
	s_delay_alu instid0(VALU_DEP_3) | instskip(NEXT) | instid1(VALU_DEP_3)
	v_clz_i32_u32_e32 v9, v7
	v_cmp_eq_u32_e32 vcc_lo, 0, v11
	s_delay_alu instid0(VALU_DEP_2) | instskip(NEXT) | instid1(VALU_DEP_1)
	v_min_u32_e32 v9, 32, v9
	v_subrev_nc_u32_e32 v10, 28, v9
	v_sub_nc_u32_e32 v9, 29, v9
	s_delay_alu instid0(VALU_DEP_2) | instskip(NEXT) | instid1(VALU_DEP_2)
	v_lshlrev_b32_e32 v5, v10, v5
	v_cndmask_b32_e32 v9, v11, v9, vcc_lo
	s_delay_alu instid0(VALU_DEP_2) | instskip(NEXT) | instid1(VALU_DEP_1)
	v_and_b32_e32 v5, 7, v5
	v_cndmask_b32_e32 v5, v7, v5, vcc_lo
	s_delay_alu instid0(VALU_DEP_3) | instskip(NEXT) | instid1(VALU_DEP_2)
	v_lshl_add_u32 v7, v9, 23, 0x3b800000
	v_lshlrev_b32_e32 v5, 20, v5
	s_delay_alu instid0(VALU_DEP_1) | instskip(NEXT) | instid1(VALU_DEP_1)
	v_or3_b32 v1, v1, v7, v5
	v_cvt_f64_f32_e32 v[10:11], v1
.LBB7_2590:
	s_or_b32 exec_lo, exec_lo, s7
.LBB7_2591:
	s_mov_b32 s6, -1
.LBB7_2592:
	s_mov_b32 s7, 0
.LBB7_2593:
	s_delay_alu instid0(SALU_CYCLE_1)
	s_and_b32 vcc_lo, exec_lo, s7
	s_cbranch_vccz .LBB7_2626
; %bb.2594:
	s_cmp_gt_i32 s12, 22
	s_cbranch_scc0 .LBB7_2604
; %bb.2595:
	s_cmp_lt_i32 s12, 24
	s_cbranch_scc1 .LBB7_2607
; %bb.2596:
	s_cmp_gt_i32 s12, 24
	s_cbranch_scc0 .LBB7_2608
; %bb.2597:
	global_load_u8 v1, v[24:25], off
	s_mov_b32 s6, exec_lo
	s_wait_loadcnt 0x0
	v_cmpx_lt_i16_e32 0x7f, v1
	s_xor_b32 s6, exec_lo, s6
	s_cbranch_execz .LBB7_2620
; %bb.2598:
	s_mov_b32 s1, -1
	s_mov_b32 s7, exec_lo
	v_cmpx_eq_u16_e32 0x80, v1
; %bb.2599:
	s_xor_b32 s1, exec_lo, -1
; %bb.2600:
	s_or_b32 exec_lo, exec_lo, s7
	s_delay_alu instid0(SALU_CYCLE_1)
	s_and_b32 s1, s1, exec_lo
	s_or_saveexec_b32 s6, s6
	v_mov_b64_e32 v[10:11], 0x7ff8000020000000
	s_xor_b32 exec_lo, exec_lo, s6
	s_cbranch_execnz .LBB7_2621
.LBB7_2601:
	s_or_b32 exec_lo, exec_lo, s6
	s_and_saveexec_b32 s6, s1
	s_cbranch_execz .LBB7_2603
.LBB7_2602:
	v_and_b32_e32 v5, 0xffff, v1
	v_lshlrev_b32_e32 v1, 24, v1
	s_delay_alu instid0(VALU_DEP_2) | instskip(SKIP_1) | instid1(VALU_DEP_3)
	v_and_b32_e32 v7, 3, v5
	v_bfe_u32 v11, v5, 2, 5
	v_and_b32_e32 v1, 0x80000000, v1
	s_delay_alu instid0(VALU_DEP_3) | instskip(NEXT) | instid1(VALU_DEP_3)
	v_clz_i32_u32_e32 v9, v7
	v_cmp_eq_u32_e32 vcc_lo, 0, v11
	s_delay_alu instid0(VALU_DEP_2) | instskip(NEXT) | instid1(VALU_DEP_1)
	v_min_u32_e32 v9, 32, v9
	v_subrev_nc_u32_e32 v10, 29, v9
	v_sub_nc_u32_e32 v9, 30, v9
	s_delay_alu instid0(VALU_DEP_2) | instskip(NEXT) | instid1(VALU_DEP_2)
	v_lshlrev_b32_e32 v5, v10, v5
	v_cndmask_b32_e32 v9, v11, v9, vcc_lo
	s_delay_alu instid0(VALU_DEP_2) | instskip(NEXT) | instid1(VALU_DEP_1)
	v_and_b32_e32 v5, 3, v5
	v_cndmask_b32_e32 v5, v7, v5, vcc_lo
	s_delay_alu instid0(VALU_DEP_3) | instskip(NEXT) | instid1(VALU_DEP_2)
	v_lshl_add_u32 v7, v9, 23, 0x37800000
	v_lshlrev_b32_e32 v5, 21, v5
	s_delay_alu instid0(VALU_DEP_1) | instskip(NEXT) | instid1(VALU_DEP_1)
	v_or3_b32 v1, v1, v7, v5
	v_cvt_f64_f32_e32 v[10:11], v1
.LBB7_2603:
	s_or_b32 exec_lo, exec_lo, s6
	s_mov_b32 s1, 0
	s_branch .LBB7_2609
.LBB7_2604:
	s_mov_b32 s1, -1
                                        ; implicit-def: $vgpr10_vgpr11
	s_branch .LBB7_2615
.LBB7_2605:
	s_or_saveexec_b32 s7, s7
	v_mov_b64_e32 v[10:11], 0x7ff8000020000000
	s_xor_b32 exec_lo, exec_lo, s7
	s_cbranch_execz .LBB7_2588
.LBB7_2606:
	v_cmp_ne_u16_e32 vcc_lo, 0, v1
	v_mov_b64_e32 v[10:11], 0
	s_and_not1_b32 s6, s6, exec_lo
	s_and_b32 s11, vcc_lo, exec_lo
	s_delay_alu instid0(SALU_CYCLE_1)
	s_or_b32 s6, s6, s11
	s_or_b32 exec_lo, exec_lo, s7
	s_and_saveexec_b32 s7, s6
	s_cbranch_execnz .LBB7_2589
	s_branch .LBB7_2590
.LBB7_2607:
	s_mov_b32 s1, -1
                                        ; implicit-def: $vgpr10_vgpr11
	s_branch .LBB7_2612
.LBB7_2608:
	s_mov_b32 s1, -1
                                        ; implicit-def: $vgpr10_vgpr11
.LBB7_2609:
	s_delay_alu instid0(SALU_CYCLE_1)
	s_and_b32 vcc_lo, exec_lo, s1
	s_cbranch_vccz .LBB7_2611
; %bb.2610:
	global_load_u8 v1, v[24:25], off
	s_wait_loadcnt 0x0
	v_lshlrev_b32_e32 v1, 24, v1
	s_delay_alu instid0(VALU_DEP_1) | instskip(NEXT) | instid1(VALU_DEP_1)
	v_and_b32_e32 v5, 0x7f000000, v1
	v_clz_i32_u32_e32 v7, v5
	v_cmp_ne_u32_e32 vcc_lo, 0, v5
	v_add_nc_u32_e32 v10, 0x1000000, v5
	s_delay_alu instid0(VALU_DEP_3) | instskip(NEXT) | instid1(VALU_DEP_1)
	v_min_u32_e32 v7, 32, v7
	v_sub_nc_u32_e64 v7, v7, 4 clamp
	s_delay_alu instid0(VALU_DEP_1) | instskip(NEXT) | instid1(VALU_DEP_1)
	v_dual_lshlrev_b32 v9, v7, v5 :: v_dual_lshlrev_b32 v7, 23, v7
	v_lshrrev_b32_e32 v9, 4, v9
	s_delay_alu instid0(VALU_DEP_1) | instskip(NEXT) | instid1(VALU_DEP_1)
	v_dual_sub_nc_u32 v7, v9, v7 :: v_dual_ashrrev_i32 v9, 8, v10
	v_add_nc_u32_e32 v7, 0x3c000000, v7
	s_delay_alu instid0(VALU_DEP_1) | instskip(NEXT) | instid1(VALU_DEP_1)
	v_and_or_b32 v7, 0x7f800000, v9, v7
	v_cndmask_b32_e32 v5, 0, v7, vcc_lo
	s_delay_alu instid0(VALU_DEP_1) | instskip(NEXT) | instid1(VALU_DEP_1)
	v_and_or_b32 v1, 0x80000000, v1, v5
	v_cvt_f64_f32_e32 v[10:11], v1
.LBB7_2611:
	s_mov_b32 s1, 0
.LBB7_2612:
	s_delay_alu instid0(SALU_CYCLE_1)
	s_and_not1_b32 vcc_lo, exec_lo, s1
	s_cbranch_vccnz .LBB7_2614
; %bb.2613:
	global_load_u8 v1, v[24:25], off
	s_wait_loadcnt 0x0
	v_lshlrev_b32_e32 v5, 25, v1
	v_lshlrev_b16 v1, 8, v1
	s_delay_alu instid0(VALU_DEP_2) | instskip(NEXT) | instid1(VALU_DEP_2)
	v_lshrrev_b32_e32 v7, 4, v5
	v_and_or_b32 v9, 0x7f00, v1, 0.5
	v_cmp_gt_u32_e32 vcc_lo, 0x8000000, v5
	v_bfe_i32 v1, v1, 0, 16
	s_delay_alu instid0(VALU_DEP_4) | instskip(NEXT) | instid1(VALU_DEP_4)
	v_or_b32_e32 v7, 0x70000000, v7
	v_add_f32_e32 v9, -0.5, v9
	s_delay_alu instid0(VALU_DEP_2) | instskip(NEXT) | instid1(VALU_DEP_1)
	v_mul_f32_e32 v7, 0x7800000, v7
	v_cndmask_b32_e32 v5, v7, v9, vcc_lo
	s_delay_alu instid0(VALU_DEP_1) | instskip(NEXT) | instid1(VALU_DEP_1)
	v_and_or_b32 v1, 0x80000000, v1, v5
	v_cvt_f64_f32_e32 v[10:11], v1
.LBB7_2614:
	s_mov_b32 s1, 0
	s_mov_b32 s6, -1
.LBB7_2615:
	s_and_not1_b32 vcc_lo, exec_lo, s1
	s_mov_b32 s1, 0
	s_cbranch_vccnz .LBB7_2626
; %bb.2616:
	s_cmp_gt_i32 s12, 14
	s_cbranch_scc0 .LBB7_2619
; %bb.2617:
	s_cmp_eq_u32 s12, 15
	s_cbranch_scc0 .LBB7_2622
; %bb.2618:
	global_load_u16 v1, v[24:25], off
	s_mov_b32 s0, 0
	s_mov_b32 s6, -1
	s_wait_loadcnt 0x0
	v_lshlrev_b32_e32 v1, 16, v1
	s_delay_alu instid0(VALU_DEP_1)
	v_cvt_f64_f32_e32 v[10:11], v1
	s_branch .LBB7_2624
.LBB7_2619:
	s_mov_b32 s1, -1
	s_branch .LBB7_2623
.LBB7_2620:
	s_or_saveexec_b32 s6, s6
	v_mov_b64_e32 v[10:11], 0x7ff8000020000000
	s_xor_b32 exec_lo, exec_lo, s6
	s_cbranch_execz .LBB7_2601
.LBB7_2621:
	v_cmp_ne_u16_e32 vcc_lo, 0, v1
	v_mov_b64_e32 v[10:11], 0
	s_and_not1_b32 s1, s1, exec_lo
	s_and_b32 s7, vcc_lo, exec_lo
	s_delay_alu instid0(SALU_CYCLE_1)
	s_or_b32 s1, s1, s7
	s_or_b32 exec_lo, exec_lo, s6
	s_and_saveexec_b32 s6, s1
	s_cbranch_execnz .LBB7_2602
	s_branch .LBB7_2603
.LBB7_2622:
	s_mov_b32 s0, -1
.LBB7_2623:
                                        ; implicit-def: $vgpr10_vgpr11
.LBB7_2624:
	s_and_b32 vcc_lo, exec_lo, s1
	s_mov_b32 s1, 0
	s_cbranch_vccz .LBB7_2626
; %bb.2625:
	s_cmp_lg_u32 s12, 11
	s_mov_b32 s1, -1
	s_cselect_b32 s0, -1, 0
.LBB7_2626:
	s_delay_alu instid0(SALU_CYCLE_1)
	s_and_b32 vcc_lo, exec_lo, s0
	s_cbranch_vccnz .LBB7_3159
; %bb.2627:
	s_and_not1_b32 vcc_lo, exec_lo, s1
	s_cbranch_vccnz .LBB7_2629
.LBB7_2628:
	global_load_u8 v1, v[24:25], off
	v_mov_b32_e32 v10, 0
	s_mov_b32 s6, -1
	s_wait_loadcnt 0x0
	v_cmp_ne_u16_e32 vcc_lo, 0, v1
	v_cndmask_b32_e64 v11, 0, 0x3ff00000, vcc_lo
.LBB7_2629:
	s_mov_b32 s0, 0
.LBB7_2630:
	s_delay_alu instid0(SALU_CYCLE_1)
	s_and_b32 vcc_lo, exec_lo, s0
	s_cbranch_vccz .LBB7_2679
; %bb.2631:
	s_cmp_lt_i32 s12, 5
	s_cbranch_scc1 .LBB7_2636
; %bb.2632:
	s_cmp_lt_i32 s12, 8
	s_cbranch_scc1 .LBB7_2637
	;; [unrolled: 3-line block ×3, first 2 shown]
; %bb.2634:
	s_cmp_gt_i32 s12, 9
	s_cbranch_scc0 .LBB7_2639
; %bb.2635:
	global_load_b64 v[10:11], v[24:25], off
	s_mov_b32 s0, 0
	s_branch .LBB7_2640
.LBB7_2636:
	s_mov_b32 s0, -1
                                        ; implicit-def: $vgpr10_vgpr11
	s_branch .LBB7_2658
.LBB7_2637:
	s_mov_b32 s0, -1
                                        ; implicit-def: $vgpr10_vgpr11
	s_branch .LBB7_2646
.LBB7_2638:
	s_mov_b32 s0, -1
                                        ; implicit-def: $vgpr10_vgpr11
	s_branch .LBB7_2643
.LBB7_2639:
	s_mov_b32 s0, -1
                                        ; implicit-def: $vgpr10_vgpr11
.LBB7_2640:
	s_delay_alu instid0(SALU_CYCLE_1)
	s_and_not1_b32 vcc_lo, exec_lo, s0
	s_cbranch_vccnz .LBB7_2642
; %bb.2641:
	global_load_b32 v1, v[24:25], off
	s_wait_loadcnt 0x0
	v_cvt_f64_f32_e32 v[10:11], v1
.LBB7_2642:
	s_mov_b32 s0, 0
.LBB7_2643:
	s_delay_alu instid0(SALU_CYCLE_1)
	s_and_not1_b32 vcc_lo, exec_lo, s0
	s_cbranch_vccnz .LBB7_2645
; %bb.2644:
	global_load_b32 v1, v[24:25], off
	s_wait_loadcnt 0x0
	v_cvt_f32_f16_e32 v1, v1
	s_delay_alu instid0(VALU_DEP_1)
	v_cvt_f64_f32_e32 v[10:11], v1
.LBB7_2645:
	s_mov_b32 s0, 0
.LBB7_2646:
	s_delay_alu instid0(SALU_CYCLE_1)
	s_and_not1_b32 vcc_lo, exec_lo, s0
	s_cbranch_vccnz .LBB7_2657
; %bb.2647:
	s_cmp_lt_i32 s12, 6
	s_cbranch_scc1 .LBB7_2650
; %bb.2648:
	s_cmp_gt_i32 s12, 6
	s_cbranch_scc0 .LBB7_2651
; %bb.2649:
	s_wait_loadcnt 0x0
	global_load_b64 v[10:11], v[24:25], off
	s_mov_b32 s0, 0
	s_branch .LBB7_2652
.LBB7_2650:
	s_mov_b32 s0, -1
                                        ; implicit-def: $vgpr10_vgpr11
	s_branch .LBB7_2655
.LBB7_2651:
	s_mov_b32 s0, -1
                                        ; implicit-def: $vgpr10_vgpr11
.LBB7_2652:
	s_delay_alu instid0(SALU_CYCLE_1)
	s_and_not1_b32 vcc_lo, exec_lo, s0
	s_cbranch_vccnz .LBB7_2654
; %bb.2653:
	global_load_b32 v1, v[24:25], off
	s_wait_loadcnt 0x0
	v_cvt_f64_f32_e32 v[10:11], v1
.LBB7_2654:
	s_mov_b32 s0, 0
.LBB7_2655:
	s_delay_alu instid0(SALU_CYCLE_1)
	s_and_not1_b32 vcc_lo, exec_lo, s0
	s_cbranch_vccnz .LBB7_2657
; %bb.2656:
	global_load_u16 v1, v[24:25], off
	s_wait_loadcnt 0x0
	v_cvt_f32_f16_e32 v1, v1
	s_delay_alu instid0(VALU_DEP_1)
	v_cvt_f64_f32_e32 v[10:11], v1
.LBB7_2657:
	s_mov_b32 s0, 0
.LBB7_2658:
	s_delay_alu instid0(SALU_CYCLE_1)
	s_and_not1_b32 vcc_lo, exec_lo, s0
	s_cbranch_vccnz .LBB7_2678
; %bb.2659:
	s_cmp_lt_i32 s12, 2
	s_cbranch_scc1 .LBB7_2663
; %bb.2660:
	s_cmp_lt_i32 s12, 3
	s_cbranch_scc1 .LBB7_2664
; %bb.2661:
	s_cmp_gt_i32 s12, 3
	s_cbranch_scc0 .LBB7_2665
; %bb.2662:
	s_wait_loadcnt 0x0
	global_load_b64 v[10:11], v[24:25], off
	s_mov_b32 s0, 0
	s_wait_loadcnt 0x0
	v_cvt_f64_i32_e32 v[26:27], v11
	v_cvt_f64_u32_e32 v[10:11], v10
	s_delay_alu instid0(VALU_DEP_2) | instskip(NEXT) | instid1(VALU_DEP_1)
	v_ldexp_f64 v[26:27], v[26:27], 32
	v_add_f64_e32 v[10:11], v[26:27], v[10:11]
	s_branch .LBB7_2666
.LBB7_2663:
	s_mov_b32 s0, -1
                                        ; implicit-def: $vgpr10_vgpr11
	s_branch .LBB7_2672
.LBB7_2664:
	s_mov_b32 s0, -1
                                        ; implicit-def: $vgpr10_vgpr11
	s_branch .LBB7_2669
.LBB7_2665:
	s_mov_b32 s0, -1
                                        ; implicit-def: $vgpr10_vgpr11
.LBB7_2666:
	s_delay_alu instid0(SALU_CYCLE_1)
	s_and_not1_b32 vcc_lo, exec_lo, s0
	s_cbranch_vccnz .LBB7_2668
; %bb.2667:
	global_load_b32 v1, v[24:25], off
	s_wait_loadcnt 0x0
	v_cvt_f64_i32_e32 v[10:11], v1
.LBB7_2668:
	s_mov_b32 s0, 0
.LBB7_2669:
	s_delay_alu instid0(SALU_CYCLE_1)
	s_and_not1_b32 vcc_lo, exec_lo, s0
	s_cbranch_vccnz .LBB7_2671
; %bb.2670:
	global_load_i16 v1, v[24:25], off
	s_wait_loadcnt 0x0
	v_cvt_f64_i32_e32 v[10:11], v1
.LBB7_2671:
	s_mov_b32 s0, 0
.LBB7_2672:
	s_delay_alu instid0(SALU_CYCLE_1)
	s_and_not1_b32 vcc_lo, exec_lo, s0
	s_cbranch_vccnz .LBB7_2678
; %bb.2673:
	s_cmp_gt_i32 s12, 0
	s_mov_b32 s0, 0
	s_cbranch_scc0 .LBB7_2675
; %bb.2674:
	global_load_i8 v1, v[24:25], off
	s_wait_loadcnt 0x0
	v_cvt_f64_i32_e32 v[10:11], v1
	s_branch .LBB7_2676
.LBB7_2675:
	s_mov_b32 s0, -1
                                        ; implicit-def: $vgpr10_vgpr11
.LBB7_2676:
	s_delay_alu instid0(SALU_CYCLE_1)
	s_and_not1_b32 vcc_lo, exec_lo, s0
	s_cbranch_vccnz .LBB7_2678
; %bb.2677:
	global_load_u8 v1, v[24:25], off
	s_wait_loadcnt 0x0
	v_cvt_f64_u32_e32 v[10:11], v1
.LBB7_2678:
	s_mov_b32 s6, -1
.LBB7_2679:
	s_delay_alu instid0(SALU_CYCLE_1)
	s_and_not1_b32 vcc_lo, exec_lo, s6
	s_cbranch_vccnz .LBB7_3113
; %bb.2680:
	s_wait_loadcnt 0x0
	v_dual_mul_f64 v[24:25], v[2:3], v[14:15] :: v_dual_mov_b32 v1, 0
	v_cmp_lt_f64_e32 vcc_lo, 0, v[2:3]
	global_load_u8 v5, v1, s[2:3] offset:417
	v_add_nc_u64_e32 v[14:15], s[4:5], v[0:1]
	s_wait_xcnt 0x0
	v_dual_cndmask_b32 v1, v25, v3 :: v_dual_cndmask_b32 v0, v24, v2
	s_wait_loadcnt 0x0
	v_and_b32_e32 v7, 0xffff, v5
	v_readfirstlane_b32 s1, v5
	s_delay_alu instid0(VALU_DEP_2)
	v_cmp_gt_i32_e64 s0, 11, v7
	s_and_b32 vcc_lo, exec_lo, s0
	s_cbranch_vccnz .LBB7_2758
; %bb.2681:
	s_and_b32 s2, 0xffff, s1
	s_mov_b32 s7, -1
	s_mov_b32 s3, 0
	s_cmp_gt_i32 s2, 25
	s_mov_b32 s6, 0
	s_mov_b32 s0, 0
	s_cbranch_scc0 .LBB7_2714
; %bb.2682:
	s_cmp_gt_i32 s2, 28
	s_cbranch_scc0 .LBB7_2697
; %bb.2683:
	s_cmp_gt_i32 s2, 43
	;; [unrolled: 3-line block ×3, first 2 shown]
	s_cbranch_scc0 .LBB7_2687
; %bb.2685:
	s_mov_b32 s0, -1
	s_mov_b32 s7, 0
	s_cmp_eq_u32 s2, 46
	s_cbranch_scc0 .LBB7_2687
; %bb.2686:
	v_cvt_f32_f64_e32 v2, v[0:1]
	s_mov_b32 s0, 0
	s_mov_b32 s6, -1
	s_delay_alu instid0(VALU_DEP_1) | instskip(SKIP_1) | instid1(VALU_DEP_2)
	v_bfe_u32 v3, v2, 16, 1
	v_cmp_o_f32_e32 vcc_lo, v2, v2
	v_add3_u32 v3, v2, v3, 0x7fff
	s_delay_alu instid0(VALU_DEP_1) | instskip(NEXT) | instid1(VALU_DEP_1)
	v_lshrrev_b32_e32 v3, 16, v3
	v_cndmask_b32_e32 v2, 0x7fc0, v3, vcc_lo
	global_store_b32 v[14:15], v2, off
.LBB7_2687:
	s_and_b32 vcc_lo, exec_lo, s7
	s_cbranch_vccz .LBB7_2692
; %bb.2688:
	s_cmp_eq_u32 s2, 44
	s_mov_b32 s0, -1
	s_cbranch_scc0 .LBB7_2692
; %bb.2689:
	s_wait_xcnt 0x0
	v_cvt_f32_f64_e32 v2, v[0:1]
	v_mov_b32_e32 v3, 0xff
	s_mov_b32 s6, exec_lo
	s_delay_alu instid0(VALU_DEP_2) | instskip(NEXT) | instid1(VALU_DEP_1)
	v_bfe_u32 v5, v2, 23, 8
	v_cmpx_ne_u32_e32 0xff, v5
	s_cbranch_execz .LBB7_2691
; %bb.2690:
	v_and_b32_e32 v3, 0x400000, v2
	v_and_or_b32 v5, 0x3fffff, v2, v5
	v_lshrrev_b32_e32 v2, 23, v2
	s_delay_alu instid0(VALU_DEP_3) | instskip(NEXT) | instid1(VALU_DEP_3)
	v_cmp_ne_u32_e32 vcc_lo, 0, v3
	v_cmp_ne_u32_e64 s0, 0, v5
	s_and_b32 s0, vcc_lo, s0
	s_delay_alu instid0(SALU_CYCLE_1) | instskip(NEXT) | instid1(VALU_DEP_1)
	v_cndmask_b32_e64 v3, 0, 1, s0
	v_add_nc_u32_e32 v3, v2, v3
.LBB7_2691:
	s_or_b32 exec_lo, exec_lo, s6
	s_mov_b32 s0, 0
	s_mov_b32 s6, -1
	global_store_b8 v[14:15], v3, off
.LBB7_2692:
	s_mov_b32 s7, 0
.LBB7_2693:
	s_delay_alu instid0(SALU_CYCLE_1)
	s_and_b32 vcc_lo, exec_lo, s7
	s_cbranch_vccz .LBB7_2696
; %bb.2694:
	s_cmp_eq_u32 s2, 29
	s_mov_b32 s0, -1
	s_cbranch_scc0 .LBB7_2696
; %bb.2695:
	s_wait_xcnt 0x0
	v_trunc_f64_e32 v[2:3], v[0:1]
	s_mov_b32 s0, 0
	s_mov_b32 s6, -1
	s_delay_alu instid0(VALU_DEP_1) | instskip(NEXT) | instid1(VALU_DEP_1)
	v_ldexp_f64 v[24:25], v[2:3], 0xffffffe0
	v_floor_f64_e32 v[24:25], v[24:25]
	s_delay_alu instid0(VALU_DEP_1) | instskip(SKIP_1) | instid1(VALU_DEP_2)
	v_fmamk_f64 v[2:3], v[24:25], 0xc1f00000, v[2:3]
	v_cvt_u32_f64_e32 v25, v[24:25]
	v_cvt_u32_f64_e32 v24, v[2:3]
	global_store_b64 v[14:15], v[24:25], off
.LBB7_2696:
	s_mov_b32 s7, 0
.LBB7_2697:
	s_delay_alu instid0(SALU_CYCLE_1)
	s_and_b32 vcc_lo, exec_lo, s7
	s_cbranch_vccz .LBB7_2713
; %bb.2698:
	s_cmp_lt_i32 s2, 27
	s_mov_b32 s6, -1
	s_cbranch_scc1 .LBB7_2704
; %bb.2699:
	s_wait_xcnt 0x0
	v_cvt_u32_f64_e32 v2, v[0:1]
	s_cmp_gt_i32 s2, 27
	s_cbranch_scc0 .LBB7_2701
; %bb.2700:
	s_mov_b32 s6, 0
	global_store_b32 v[14:15], v2, off
.LBB7_2701:
	s_and_not1_b32 vcc_lo, exec_lo, s6
	s_cbranch_vccnz .LBB7_2703
; %bb.2702:
	global_store_b16 v[14:15], v2, off
.LBB7_2703:
	s_mov_b32 s6, 0
.LBB7_2704:
	s_delay_alu instid0(SALU_CYCLE_1)
	s_and_not1_b32 vcc_lo, exec_lo, s6
	s_cbranch_vccnz .LBB7_2712
; %bb.2705:
	s_wait_xcnt 0x0
	v_cvt_f32_f64_e32 v2, v[0:1]
	v_mov_b32_e32 v5, 0x80
	s_mov_b32 s6, exec_lo
	s_delay_alu instid0(VALU_DEP_2) | instskip(NEXT) | instid1(VALU_DEP_1)
	v_and_b32_e32 v3, 0x7fffffff, v2
	v_cmpx_gt_u32_e32 0x43800000, v3
	s_cbranch_execz .LBB7_2711
; %bb.2706:
	v_cmp_lt_u32_e32 vcc_lo, 0x3bffffff, v3
	s_mov_b32 s7, 0
                                        ; implicit-def: $vgpr3
	s_and_saveexec_b32 s11, vcc_lo
	s_delay_alu instid0(SALU_CYCLE_1)
	s_xor_b32 s11, exec_lo, s11
	s_cbranch_execz .LBB7_3160
; %bb.2707:
	v_bfe_u32 v3, v2, 20, 1
	s_mov_b32 s7, exec_lo
	s_delay_alu instid0(VALU_DEP_1) | instskip(NEXT) | instid1(VALU_DEP_1)
	v_add3_u32 v3, v2, v3, 0x487ffff
	v_lshrrev_b32_e32 v3, 20, v3
	s_and_not1_saveexec_b32 s11, s11
	s_cbranch_execnz .LBB7_3161
.LBB7_2708:
	s_or_b32 exec_lo, exec_lo, s11
	v_mov_b32_e32 v5, 0
	s_and_saveexec_b32 s11, s7
.LBB7_2709:
	v_lshrrev_b32_e32 v2, 24, v2
	s_delay_alu instid0(VALU_DEP_1)
	v_and_or_b32 v5, 0x80, v2, v3
.LBB7_2710:
	s_or_b32 exec_lo, exec_lo, s11
.LBB7_2711:
	s_delay_alu instid0(SALU_CYCLE_1)
	s_or_b32 exec_lo, exec_lo, s6
	global_store_b8 v[14:15], v5, off
.LBB7_2712:
	s_mov_b32 s6, -1
.LBB7_2713:
	s_mov_b32 s7, 0
.LBB7_2714:
	s_delay_alu instid0(SALU_CYCLE_1)
	s_and_b32 vcc_lo, exec_lo, s7
	s_cbranch_vccz .LBB7_2754
; %bb.2715:
	s_cmp_gt_i32 s2, 22
	s_mov_b32 s3, -1
	s_cbranch_scc0 .LBB7_2747
; %bb.2716:
	s_cmp_lt_i32 s2, 24
	s_cbranch_scc1 .LBB7_2736
; %bb.2717:
	s_cmp_gt_i32 s2, 24
	s_cbranch_scc0 .LBB7_2725
; %bb.2718:
	s_wait_xcnt 0x0
	v_cvt_f32_f64_e32 v2, v[0:1]
	v_mov_b32_e32 v5, 0x80
	s_mov_b32 s3, exec_lo
	s_delay_alu instid0(VALU_DEP_2) | instskip(NEXT) | instid1(VALU_DEP_1)
	v_and_b32_e32 v3, 0x7fffffff, v2
	v_cmpx_gt_u32_e32 0x47800000, v3
	s_cbranch_execz .LBB7_2724
; %bb.2719:
	v_cmp_lt_u32_e32 vcc_lo, 0x37ffffff, v3
	s_mov_b32 s6, 0
                                        ; implicit-def: $vgpr3
	s_and_saveexec_b32 s7, vcc_lo
	s_delay_alu instid0(SALU_CYCLE_1)
	s_xor_b32 s7, exec_lo, s7
	s_cbranch_execz .LBB7_3163
; %bb.2720:
	v_bfe_u32 v3, v2, 21, 1
	s_mov_b32 s6, exec_lo
	s_delay_alu instid0(VALU_DEP_1) | instskip(NEXT) | instid1(VALU_DEP_1)
	v_add3_u32 v3, v2, v3, 0x88fffff
	v_lshrrev_b32_e32 v3, 21, v3
	s_and_not1_saveexec_b32 s7, s7
	s_cbranch_execnz .LBB7_3164
.LBB7_2721:
	s_or_b32 exec_lo, exec_lo, s7
	v_mov_b32_e32 v5, 0
	s_and_saveexec_b32 s7, s6
.LBB7_2722:
	v_lshrrev_b32_e32 v2, 24, v2
	s_delay_alu instid0(VALU_DEP_1)
	v_and_or_b32 v5, 0x80, v2, v3
.LBB7_2723:
	s_or_b32 exec_lo, exec_lo, s7
.LBB7_2724:
	s_delay_alu instid0(SALU_CYCLE_1)
	s_or_b32 exec_lo, exec_lo, s3
	s_mov_b32 s3, 0
	global_store_b8 v[14:15], v5, off
.LBB7_2725:
	s_and_b32 vcc_lo, exec_lo, s3
	s_cbranch_vccz .LBB7_2735
; %bb.2726:
	s_wait_xcnt 0x0
	v_cvt_f32_f64_e32 v2, v[0:1]
	s_mov_b32 s3, exec_lo
                                        ; implicit-def: $vgpr3
	s_delay_alu instid0(VALU_DEP_1) | instskip(NEXT) | instid1(VALU_DEP_1)
	v_and_b32_e32 v5, 0x7fffffff, v2
	v_cmpx_gt_u32_e32 0x43f00000, v5
	s_xor_b32 s3, exec_lo, s3
	s_cbranch_execz .LBB7_2732
; %bb.2727:
	s_mov_b32 s6, exec_lo
                                        ; implicit-def: $vgpr3
	v_cmpx_lt_u32_e32 0x3c7fffff, v5
	s_xor_b32 s6, exec_lo, s6
; %bb.2728:
	v_bfe_u32 v3, v2, 20, 1
	s_delay_alu instid0(VALU_DEP_1) | instskip(NEXT) | instid1(VALU_DEP_1)
	v_add3_u32 v3, v2, v3, 0x407ffff
	v_and_b32_e32 v5, 0xff00000, v3
	v_lshrrev_b32_e32 v3, 20, v3
	s_delay_alu instid0(VALU_DEP_2) | instskip(NEXT) | instid1(VALU_DEP_2)
	v_cmp_ne_u32_e32 vcc_lo, 0x7f00000, v5
	v_cndmask_b32_e32 v3, 0x7e, v3, vcc_lo
; %bb.2729:
	s_and_not1_saveexec_b32 s6, s6
; %bb.2730:
	v_add_f32_e64 v3, 0x46800000, |v2|
; %bb.2731:
	s_or_b32 exec_lo, exec_lo, s6
                                        ; implicit-def: $vgpr5
.LBB7_2732:
	s_and_not1_saveexec_b32 s3, s3
; %bb.2733:
	v_mov_b32_e32 v3, 0x7f
	v_cmp_lt_u32_e32 vcc_lo, 0x7f800000, v5
	s_delay_alu instid0(VALU_DEP_2)
	v_cndmask_b32_e32 v3, 0x7e, v3, vcc_lo
; %bb.2734:
	s_or_b32 exec_lo, exec_lo, s3
	v_lshrrev_b32_e32 v2, 24, v2
	s_delay_alu instid0(VALU_DEP_1)
	v_and_or_b32 v2, 0x80, v2, v3
	global_store_b8 v[14:15], v2, off
.LBB7_2735:
	s_mov_b32 s3, 0
.LBB7_2736:
	s_delay_alu instid0(SALU_CYCLE_1)
	s_and_not1_b32 vcc_lo, exec_lo, s3
	s_cbranch_vccnz .LBB7_2746
; %bb.2737:
	s_wait_xcnt 0x0
	v_cvt_f32_f64_e32 v2, v[0:1]
	s_mov_b32 s3, exec_lo
                                        ; implicit-def: $vgpr3
	s_delay_alu instid0(VALU_DEP_1) | instskip(NEXT) | instid1(VALU_DEP_1)
	v_and_b32_e32 v5, 0x7fffffff, v2
	v_cmpx_gt_u32_e32 0x47800000, v5
	s_xor_b32 s3, exec_lo, s3
	s_cbranch_execz .LBB7_2743
; %bb.2738:
	s_mov_b32 s6, exec_lo
                                        ; implicit-def: $vgpr3
	v_cmpx_lt_u32_e32 0x387fffff, v5
	s_xor_b32 s6, exec_lo, s6
; %bb.2739:
	v_bfe_u32 v3, v2, 21, 1
	s_delay_alu instid0(VALU_DEP_1) | instskip(NEXT) | instid1(VALU_DEP_1)
	v_add3_u32 v3, v2, v3, 0x80fffff
	v_lshrrev_b32_e32 v3, 21, v3
; %bb.2740:
	s_and_not1_saveexec_b32 s6, s6
; %bb.2741:
	v_add_f32_e64 v3, 0x43000000, |v2|
; %bb.2742:
	s_or_b32 exec_lo, exec_lo, s6
                                        ; implicit-def: $vgpr5
.LBB7_2743:
	s_and_not1_saveexec_b32 s3, s3
; %bb.2744:
	v_mov_b32_e32 v3, 0x7f
	v_cmp_lt_u32_e32 vcc_lo, 0x7f800000, v5
	s_delay_alu instid0(VALU_DEP_2)
	v_cndmask_b32_e32 v3, 0x7c, v3, vcc_lo
; %bb.2745:
	s_or_b32 exec_lo, exec_lo, s3
	v_lshrrev_b32_e32 v2, 24, v2
	s_delay_alu instid0(VALU_DEP_1)
	v_and_or_b32 v2, 0x80, v2, v3
	global_store_b8 v[14:15], v2, off
.LBB7_2746:
	s_mov_b32 s3, 0
	s_mov_b32 s6, -1
.LBB7_2747:
	s_and_not1_b32 vcc_lo, exec_lo, s3
	s_mov_b32 s3, 0
	s_cbranch_vccnz .LBB7_2754
; %bb.2748:
	s_cmp_gt_i32 s2, 14
	s_mov_b32 s3, -1
	s_cbranch_scc0 .LBB7_2752
; %bb.2749:
	s_cmp_eq_u32 s2, 15
	s_mov_b32 s0, -1
	s_cbranch_scc0 .LBB7_2751
; %bb.2750:
	s_wait_xcnt 0x0
	v_cvt_f32_f64_e32 v2, v[0:1]
	s_mov_b32 s0, 0
	s_mov_b32 s6, -1
	s_delay_alu instid0(VALU_DEP_1) | instskip(SKIP_1) | instid1(VALU_DEP_2)
	v_bfe_u32 v3, v2, 16, 1
	v_cmp_o_f32_e32 vcc_lo, v2, v2
	v_add3_u32 v3, v2, v3, 0x7fff
	s_delay_alu instid0(VALU_DEP_1) | instskip(NEXT) | instid1(VALU_DEP_1)
	v_lshrrev_b32_e32 v3, 16, v3
	v_cndmask_b32_e32 v2, 0x7fc0, v3, vcc_lo
	global_store_b16 v[14:15], v2, off
.LBB7_2751:
	s_mov_b32 s3, 0
.LBB7_2752:
	s_delay_alu instid0(SALU_CYCLE_1)
	s_and_b32 vcc_lo, exec_lo, s3
	s_mov_b32 s3, 0
	s_cbranch_vccz .LBB7_2754
; %bb.2753:
	s_cmp_lg_u32 s2, 11
	s_mov_b32 s3, -1
	s_cselect_b32 s0, -1, 0
.LBB7_2754:
	s_delay_alu instid0(SALU_CYCLE_1)
	s_and_b32 vcc_lo, exec_lo, s0
	s_cbranch_vccnz .LBB7_3162
; %bb.2755:
	s_and_not1_b32 vcc_lo, exec_lo, s3
	s_cbranch_vccnz .LBB7_2757
.LBB7_2756:
	v_cmp_neq_f64_e32 vcc_lo, 0, v[0:1]
	s_mov_b32 s6, -1
	s_wait_xcnt 0x0
	v_cndmask_b32_e64 v2, 0, 1, vcc_lo
	global_store_b8 v[14:15], v2, off
.LBB7_2757:
	s_mov_b32 s0, 0
	s_branch .LBB7_2759
.LBB7_2758:
	s_mov_b32 s0, -1
	s_mov_b32 s6, 0
.LBB7_2759:
	s_and_b32 vcc_lo, exec_lo, s0
	s_cbranch_vccz .LBB7_2798
; %bb.2760:
	s_and_b32 s0, 0xffff, s1
	s_mov_b32 s2, -1
	s_cmp_lt_i32 s0, 5
	s_cbranch_scc1 .LBB7_2781
; %bb.2761:
	s_cmp_lt_i32 s0, 8
	s_cbranch_scc1 .LBB7_2771
; %bb.2762:
	;; [unrolled: 3-line block ×3, first 2 shown]
	s_cmp_gt_i32 s0, 9
	s_cbranch_scc0 .LBB7_2765
; %bb.2764:
	s_wait_xcnt 0x0
	v_mov_b32_e32 v2, 0
	s_mov_b32 s2, 0
	s_delay_alu instid0(VALU_DEP_1)
	v_mov_b32_e32 v3, v2
	global_store_b128 v[14:15], v[0:3], off
.LBB7_2765:
	s_and_not1_b32 vcc_lo, exec_lo, s2
	s_cbranch_vccnz .LBB7_2767
; %bb.2766:
	s_wait_xcnt 0x0
	v_cvt_f32_f64_e32 v2, v[0:1]
	v_mov_b32_e32 v3, 0
	global_store_b64 v[14:15], v[2:3], off
.LBB7_2767:
	s_mov_b32 s2, 0
.LBB7_2768:
	s_delay_alu instid0(SALU_CYCLE_1)
	s_and_not1_b32 vcc_lo, exec_lo, s2
	s_cbranch_vccnz .LBB7_2770
; %bb.2769:
	s_wait_xcnt 0x0
	v_and_or_b32 v2, 0x1ff, v1, v0
	v_lshrrev_b32_e32 v3, 8, v1
	v_bfe_u32 v5, v1, 20, 11
	s_delay_alu instid0(VALU_DEP_3) | instskip(NEXT) | instid1(VALU_DEP_2)
	v_cmp_ne_u32_e32 vcc_lo, 0, v2
	v_sub_nc_u32_e32 v7, 0x3f1, v5
	v_add_nc_u32_e32 v5, 0xfffffc10, v5
	v_cndmask_b32_e64 v2, 0, 1, vcc_lo
	s_delay_alu instid0(VALU_DEP_1) | instskip(NEXT) | instid1(VALU_DEP_4)
	v_and_or_b32 v2, 0xffe, v3, v2
	v_med3_i32 v3, v7, 0, 13
	s_delay_alu instid0(VALU_DEP_2) | instskip(NEXT) | instid1(VALU_DEP_1)
	v_or_b32_e32 v7, 0x1000, v2
	v_lshrrev_b32_e32 v9, v3, v7
	s_delay_alu instid0(VALU_DEP_1) | instskip(NEXT) | instid1(VALU_DEP_1)
	v_lshlrev_b32_e32 v3, v3, v9
	v_cmp_ne_u32_e32 vcc_lo, v3, v7
	v_lshl_or_b32 v7, v5, 12, v2
	v_cndmask_b32_e64 v3, 0, 1, vcc_lo
	v_cmp_gt_i32_e32 vcc_lo, 1, v5
	s_delay_alu instid0(VALU_DEP_2) | instskip(NEXT) | instid1(VALU_DEP_1)
	v_or_b32_e32 v3, v9, v3
	v_cndmask_b32_e32 v3, v7, v3, vcc_lo
	s_delay_alu instid0(VALU_DEP_1) | instskip(NEXT) | instid1(VALU_DEP_1)
	v_and_b32_e32 v7, 7, v3
	v_cmp_lt_i32_e32 vcc_lo, 5, v7
	v_cndmask_b32_e64 v9, 0, 1, vcc_lo
	v_cmp_eq_u32_e32 vcc_lo, 3, v7
	v_cndmask_b32_e64 v7, 0, 1, vcc_lo
	v_cmp_ne_u32_e32 vcc_lo, 0, v2
	s_delay_alu instid0(VALU_DEP_2) | instskip(SKIP_1) | instid1(VALU_DEP_1)
	v_dual_lshrrev_b32 v3, 2, v3 :: v_dual_bitop2_b32 v7, v7, v9 bitop3:0x54
	v_mov_b32_e32 v9, 0x7e00
	v_dual_cndmask_b32 v2, 0x7c00, v9 :: v_dual_add_nc_u32 v3, v3, v7
	v_cmp_gt_i32_e32 vcc_lo, 31, v5
	v_lshrrev_b32_e32 v7, 16, v1
	s_delay_alu instid0(VALU_DEP_3) | instskip(SKIP_1) | instid1(VALU_DEP_2)
	v_cndmask_b32_e32 v3, 0x7c00, v3, vcc_lo
	v_cmp_eq_u32_e32 vcc_lo, 0x40f, v5
	v_cndmask_b32_e32 v2, v3, v2, vcc_lo
	s_delay_alu instid0(VALU_DEP_4) | instskip(NEXT) | instid1(VALU_DEP_1)
	v_and_b32_e32 v3, 0x8000, v7
	v_bitop3_b32 v2, v3, 0xffff, v2 bitop3:0xc8
	global_store_b32 v[14:15], v2, off
.LBB7_2770:
	s_mov_b32 s2, 0
.LBB7_2771:
	s_delay_alu instid0(SALU_CYCLE_1)
	s_and_not1_b32 vcc_lo, exec_lo, s2
	s_cbranch_vccnz .LBB7_2780
; %bb.2772:
	s_cmp_lt_i32 s0, 6
	s_mov_b32 s2, -1
	s_cbranch_scc1 .LBB7_2778
; %bb.2773:
	s_cmp_gt_i32 s0, 6
	s_cbranch_scc0 .LBB7_2775
; %bb.2774:
	s_mov_b32 s2, 0
	global_store_b64 v[14:15], v[0:1], off
.LBB7_2775:
	s_and_not1_b32 vcc_lo, exec_lo, s2
	s_cbranch_vccnz .LBB7_2777
; %bb.2776:
	s_wait_xcnt 0x0
	v_cvt_f32_f64_e32 v2, v[0:1]
	global_store_b32 v[14:15], v2, off
.LBB7_2777:
	s_mov_b32 s2, 0
.LBB7_2778:
	s_delay_alu instid0(SALU_CYCLE_1)
	s_and_not1_b32 vcc_lo, exec_lo, s2
	s_cbranch_vccnz .LBB7_2780
; %bb.2779:
	s_wait_xcnt 0x0
	v_and_or_b32 v2, 0x1ff, v1, v0
	v_lshrrev_b32_e32 v3, 8, v1
	v_bfe_u32 v5, v1, 20, 11
	s_delay_alu instid0(VALU_DEP_3) | instskip(NEXT) | instid1(VALU_DEP_2)
	v_cmp_ne_u32_e32 vcc_lo, 0, v2
	v_sub_nc_u32_e32 v7, 0x3f1, v5
	v_add_nc_u32_e32 v5, 0xfffffc10, v5
	v_cndmask_b32_e64 v2, 0, 1, vcc_lo
	s_delay_alu instid0(VALU_DEP_1) | instskip(NEXT) | instid1(VALU_DEP_4)
	v_and_or_b32 v2, 0xffe, v3, v2
	v_med3_i32 v3, v7, 0, 13
	s_delay_alu instid0(VALU_DEP_2) | instskip(NEXT) | instid1(VALU_DEP_1)
	v_or_b32_e32 v7, 0x1000, v2
	v_lshrrev_b32_e32 v9, v3, v7
	s_delay_alu instid0(VALU_DEP_1) | instskip(NEXT) | instid1(VALU_DEP_1)
	v_lshlrev_b32_e32 v3, v3, v9
	v_cmp_ne_u32_e32 vcc_lo, v3, v7
	v_lshl_or_b32 v7, v5, 12, v2
	v_cndmask_b32_e64 v3, 0, 1, vcc_lo
	v_cmp_gt_i32_e32 vcc_lo, 1, v5
	s_delay_alu instid0(VALU_DEP_2) | instskip(NEXT) | instid1(VALU_DEP_1)
	v_or_b32_e32 v3, v9, v3
	v_cndmask_b32_e32 v3, v7, v3, vcc_lo
	s_delay_alu instid0(VALU_DEP_1) | instskip(NEXT) | instid1(VALU_DEP_1)
	v_and_b32_e32 v7, 7, v3
	v_cmp_lt_i32_e32 vcc_lo, 5, v7
	v_cndmask_b32_e64 v9, 0, 1, vcc_lo
	v_cmp_eq_u32_e32 vcc_lo, 3, v7
	v_cndmask_b32_e64 v7, 0, 1, vcc_lo
	v_cmp_ne_u32_e32 vcc_lo, 0, v2
	s_delay_alu instid0(VALU_DEP_2) | instskip(SKIP_1) | instid1(VALU_DEP_1)
	v_dual_lshrrev_b32 v3, 2, v3 :: v_dual_bitop2_b32 v7, v7, v9 bitop3:0x54
	v_mov_b32_e32 v9, 0x7e00
	v_dual_cndmask_b32 v2, 0x7c00, v9 :: v_dual_add_nc_u32 v3, v3, v7
	v_cmp_gt_i32_e32 vcc_lo, 31, v5
	s_delay_alu instid0(VALU_DEP_2) | instskip(SKIP_1) | instid1(VALU_DEP_2)
	v_cndmask_b32_e32 v3, 0x7c00, v3, vcc_lo
	v_cmp_eq_u32_e32 vcc_lo, 0x40f, v5
	v_dual_cndmask_b32 v2, v3, v2 :: v_dual_lshrrev_b32 v3, 16, v1
	s_delay_alu instid0(VALU_DEP_1)
	v_and_or_b32 v2, 0x8000, v3, v2
	global_store_b16 v[14:15], v2, off
.LBB7_2780:
	s_mov_b32 s2, 0
.LBB7_2781:
	s_delay_alu instid0(SALU_CYCLE_1)
	s_and_not1_b32 vcc_lo, exec_lo, s2
	s_cbranch_vccnz .LBB7_2797
; %bb.2782:
	s_cmp_lt_i32 s0, 2
	s_mov_b32 s2, -1
	s_cbranch_scc1 .LBB7_2792
; %bb.2783:
	s_cmp_lt_i32 s0, 3
	s_cbranch_scc1 .LBB7_2789
; %bb.2784:
	s_cmp_gt_i32 s0, 3
	s_cbranch_scc0 .LBB7_2786
; %bb.2785:
	s_wait_xcnt 0x0
	v_trunc_f64_e32 v[2:3], v[0:1]
	s_mov_b32 s2, 0
	s_delay_alu instid0(VALU_DEP_1) | instskip(NEXT) | instid1(VALU_DEP_1)
	v_ldexp_f64 v[24:25], v[2:3], 0xffffffe0
	v_floor_f64_e32 v[24:25], v[24:25]
	s_delay_alu instid0(VALU_DEP_1) | instskip(SKIP_1) | instid1(VALU_DEP_2)
	v_fmamk_f64 v[2:3], v[24:25], 0xc1f00000, v[2:3]
	v_cvt_i32_f64_e32 v25, v[24:25]
	v_cvt_u32_f64_e32 v24, v[2:3]
	global_store_b64 v[14:15], v[24:25], off
.LBB7_2786:
	s_and_not1_b32 vcc_lo, exec_lo, s2
	s_cbranch_vccnz .LBB7_2788
; %bb.2787:
	s_wait_xcnt 0x0
	v_cvt_i32_f64_e32 v2, v[0:1]
	global_store_b32 v[14:15], v2, off
.LBB7_2788:
	s_mov_b32 s2, 0
.LBB7_2789:
	s_delay_alu instid0(SALU_CYCLE_1)
	s_and_not1_b32 vcc_lo, exec_lo, s2
	s_cbranch_vccnz .LBB7_2791
; %bb.2790:
	s_wait_xcnt 0x0
	v_cvt_i32_f64_e32 v2, v[0:1]
	global_store_b16 v[14:15], v2, off
.LBB7_2791:
	s_mov_b32 s2, 0
.LBB7_2792:
	s_delay_alu instid0(SALU_CYCLE_1)
	s_and_not1_b32 vcc_lo, exec_lo, s2
	s_cbranch_vccnz .LBB7_2797
; %bb.2793:
	s_cmp_gt_i32 s0, 0
	s_mov_b32 s0, -1
	s_cbranch_scc0 .LBB7_2795
; %bb.2794:
	s_wait_xcnt 0x0
	v_cvt_i32_f64_e32 v2, v[0:1]
	s_mov_b32 s0, 0
	global_store_b8 v[14:15], v2, off
.LBB7_2795:
	s_and_not1_b32 vcc_lo, exec_lo, s0
	s_cbranch_vccnz .LBB7_2797
; %bb.2796:
	s_wait_xcnt 0x0
	v_trunc_f64_e32 v[0:1], v[0:1]
	s_delay_alu instid0(VALU_DEP_1) | instskip(NEXT) | instid1(VALU_DEP_1)
	v_ldexp_f64 v[2:3], v[0:1], 0xffffffe0
	v_floor_f64_e32 v[2:3], v[2:3]
	s_delay_alu instid0(VALU_DEP_1) | instskip(NEXT) | instid1(VALU_DEP_1)
	v_fmamk_f64 v[0:1], v[2:3], 0xc1f00000, v[0:1]
	v_cvt_u32_f64_e32 v0, v[0:1]
	global_store_b8 v[14:15], v0, off
.LBB7_2797:
	s_mov_b32 s6, -1
.LBB7_2798:
	s_delay_alu instid0(SALU_CYCLE_1)
	s_and_not1_b32 vcc_lo, exec_lo, s6
	s_cbranch_vccnz .LBB7_3113
; %bb.2799:
	s_wait_xcnt 0x0
	v_dual_mul_f64 v[0:1], v[12:13], v[20:21] :: v_dual_mov_b32 v9, 0
	v_cmp_lt_f64_e32 vcc_lo, 0, v[12:13]
	s_and_b32 s2, 0xffff, s1
	s_delay_alu instid0(SALU_CYCLE_1) | instskip(NEXT) | instid1(VALU_DEP_2)
	s_cmp_lt_i32 s2, 11
	v_add_nc_u64_e32 v[8:9], s[4:5], v[8:9]
	s_delay_alu instid0(VALU_DEP_3)
	v_dual_cndmask_b32 v1, v1, v13 :: v_dual_cndmask_b32 v0, v0, v12
	s_cbranch_scc1 .LBB7_2877
; %bb.2800:
	s_mov_b32 s7, -1
	s_mov_b32 s3, 0
	s_cmp_gt_i32 s2, 25
	s_mov_b32 s6, 0
	s_mov_b32 s0, 0
	s_cbranch_scc0 .LBB7_2833
; %bb.2801:
	s_cmp_gt_i32 s2, 28
	s_cbranch_scc0 .LBB7_2816
; %bb.2802:
	s_cmp_gt_i32 s2, 43
	;; [unrolled: 3-line block ×3, first 2 shown]
	s_cbranch_scc0 .LBB7_2806
; %bb.2804:
	s_mov_b32 s0, -1
	s_mov_b32 s7, 0
	s_cmp_eq_u32 s2, 46
	s_cbranch_scc0 .LBB7_2806
; %bb.2805:
	v_cvt_f32_f64_e32 v2, v[0:1]
	s_mov_b32 s0, 0
	s_mov_b32 s6, -1
	s_delay_alu instid0(VALU_DEP_1) | instskip(SKIP_1) | instid1(VALU_DEP_2)
	v_bfe_u32 v3, v2, 16, 1
	v_cmp_o_f32_e32 vcc_lo, v2, v2
	v_add3_u32 v3, v2, v3, 0x7fff
	s_delay_alu instid0(VALU_DEP_1) | instskip(NEXT) | instid1(VALU_DEP_1)
	v_lshrrev_b32_e32 v3, 16, v3
	v_cndmask_b32_e32 v2, 0x7fc0, v3, vcc_lo
	global_store_b32 v[8:9], v2, off
.LBB7_2806:
	s_and_b32 vcc_lo, exec_lo, s7
	s_cbranch_vccz .LBB7_2811
; %bb.2807:
	s_cmp_eq_u32 s2, 44
	s_mov_b32 s0, -1
	s_cbranch_scc0 .LBB7_2811
; %bb.2808:
	s_wait_xcnt 0x0
	v_cvt_f32_f64_e32 v2, v[0:1]
	v_mov_b32_e32 v3, 0xff
	s_mov_b32 s6, exec_lo
	s_delay_alu instid0(VALU_DEP_2) | instskip(NEXT) | instid1(VALU_DEP_1)
	v_bfe_u32 v5, v2, 23, 8
	v_cmpx_ne_u32_e32 0xff, v5
	s_cbranch_execz .LBB7_2810
; %bb.2809:
	v_and_b32_e32 v3, 0x400000, v2
	v_and_or_b32 v5, 0x3fffff, v2, v5
	v_lshrrev_b32_e32 v2, 23, v2
	s_delay_alu instid0(VALU_DEP_3) | instskip(NEXT) | instid1(VALU_DEP_3)
	v_cmp_ne_u32_e32 vcc_lo, 0, v3
	v_cmp_ne_u32_e64 s0, 0, v5
	s_and_b32 s0, vcc_lo, s0
	s_delay_alu instid0(SALU_CYCLE_1) | instskip(NEXT) | instid1(VALU_DEP_1)
	v_cndmask_b32_e64 v3, 0, 1, s0
	v_add_nc_u32_e32 v3, v2, v3
.LBB7_2810:
	s_or_b32 exec_lo, exec_lo, s6
	s_mov_b32 s0, 0
	s_mov_b32 s6, -1
	global_store_b8 v[8:9], v3, off
.LBB7_2811:
	s_mov_b32 s7, 0
.LBB7_2812:
	s_delay_alu instid0(SALU_CYCLE_1)
	s_and_b32 vcc_lo, exec_lo, s7
	s_cbranch_vccz .LBB7_2815
; %bb.2813:
	s_cmp_eq_u32 s2, 29
	s_mov_b32 s0, -1
	s_cbranch_scc0 .LBB7_2815
; %bb.2814:
	s_wait_xcnt 0x0
	v_trunc_f64_e32 v[2:3], v[0:1]
	s_mov_b32 s0, 0
	s_mov_b32 s6, -1
	s_delay_alu instid0(VALU_DEP_1) | instskip(NEXT) | instid1(VALU_DEP_1)
	v_ldexp_f64 v[12:13], v[2:3], 0xffffffe0
	v_floor_f64_e32 v[12:13], v[12:13]
	s_delay_alu instid0(VALU_DEP_1) | instskip(SKIP_1) | instid1(VALU_DEP_2)
	v_fmamk_f64 v[2:3], v[12:13], 0xc1f00000, v[2:3]
	v_cvt_u32_f64_e32 v13, v[12:13]
	v_cvt_u32_f64_e32 v12, v[2:3]
	global_store_b64 v[8:9], v[12:13], off
.LBB7_2815:
	s_mov_b32 s7, 0
.LBB7_2816:
	s_delay_alu instid0(SALU_CYCLE_1)
	s_and_b32 vcc_lo, exec_lo, s7
	s_cbranch_vccz .LBB7_2832
; %bb.2817:
	s_cmp_lt_i32 s2, 27
	s_mov_b32 s6, -1
	s_cbranch_scc1 .LBB7_2823
; %bb.2818:
	s_cmp_gt_i32 s2, 27
	s_cbranch_scc0 .LBB7_2820
; %bb.2819:
	s_wait_xcnt 0x0
	v_cvt_u32_f64_e32 v2, v[0:1]
	s_mov_b32 s6, 0
	global_store_b32 v[8:9], v2, off
.LBB7_2820:
	s_and_not1_b32 vcc_lo, exec_lo, s6
	s_cbranch_vccnz .LBB7_2822
; %bb.2821:
	s_wait_xcnt 0x0
	v_cvt_u32_f64_e32 v2, v[0:1]
	global_store_b16 v[8:9], v2, off
.LBB7_2822:
	s_mov_b32 s6, 0
.LBB7_2823:
	s_delay_alu instid0(SALU_CYCLE_1)
	s_and_not1_b32 vcc_lo, exec_lo, s6
	s_cbranch_vccnz .LBB7_2831
; %bb.2824:
	s_wait_xcnt 0x0
	v_cvt_f32_f64_e32 v2, v[0:1]
	v_mov_b32_e32 v5, 0x80
	s_mov_b32 s6, exec_lo
	s_delay_alu instid0(VALU_DEP_2) | instskip(NEXT) | instid1(VALU_DEP_1)
	v_and_b32_e32 v3, 0x7fffffff, v2
	v_cmpx_gt_u32_e32 0x43800000, v3
	s_cbranch_execz .LBB7_2830
; %bb.2825:
	v_cmp_lt_u32_e32 vcc_lo, 0x3bffffff, v3
	s_mov_b32 s7, 0
                                        ; implicit-def: $vgpr3
	s_and_saveexec_b32 s11, vcc_lo
	s_delay_alu instid0(SALU_CYCLE_1)
	s_xor_b32 s11, exec_lo, s11
	s_cbranch_execz .LBB7_3165
; %bb.2826:
	v_bfe_u32 v3, v2, 20, 1
	s_mov_b32 s7, exec_lo
	s_delay_alu instid0(VALU_DEP_1) | instskip(NEXT) | instid1(VALU_DEP_1)
	v_add3_u32 v3, v2, v3, 0x487ffff
	v_lshrrev_b32_e32 v3, 20, v3
	s_and_not1_saveexec_b32 s11, s11
	s_cbranch_execnz .LBB7_3166
.LBB7_2827:
	s_or_b32 exec_lo, exec_lo, s11
	v_mov_b32_e32 v5, 0
	s_and_saveexec_b32 s11, s7
.LBB7_2828:
	v_lshrrev_b32_e32 v2, 24, v2
	s_delay_alu instid0(VALU_DEP_1)
	v_and_or_b32 v5, 0x80, v2, v3
.LBB7_2829:
	s_or_b32 exec_lo, exec_lo, s11
.LBB7_2830:
	s_delay_alu instid0(SALU_CYCLE_1)
	s_or_b32 exec_lo, exec_lo, s6
	global_store_b8 v[8:9], v5, off
.LBB7_2831:
	s_mov_b32 s6, -1
.LBB7_2832:
	s_mov_b32 s7, 0
.LBB7_2833:
	s_delay_alu instid0(SALU_CYCLE_1)
	s_and_b32 vcc_lo, exec_lo, s7
	s_cbranch_vccz .LBB7_2873
; %bb.2834:
	s_cmp_gt_i32 s2, 22
	s_mov_b32 s3, -1
	s_cbranch_scc0 .LBB7_2866
; %bb.2835:
	s_cmp_lt_i32 s2, 24
	s_cbranch_scc1 .LBB7_2855
; %bb.2836:
	s_cmp_gt_i32 s2, 24
	s_cbranch_scc0 .LBB7_2844
; %bb.2837:
	s_wait_xcnt 0x0
	v_cvt_f32_f64_e32 v2, v[0:1]
	v_mov_b32_e32 v5, 0x80
	s_mov_b32 s3, exec_lo
	s_delay_alu instid0(VALU_DEP_2) | instskip(NEXT) | instid1(VALU_DEP_1)
	v_and_b32_e32 v3, 0x7fffffff, v2
	v_cmpx_gt_u32_e32 0x47800000, v3
	s_cbranch_execz .LBB7_2843
; %bb.2838:
	v_cmp_lt_u32_e32 vcc_lo, 0x37ffffff, v3
	s_mov_b32 s6, 0
                                        ; implicit-def: $vgpr3
	s_and_saveexec_b32 s7, vcc_lo
	s_delay_alu instid0(SALU_CYCLE_1)
	s_xor_b32 s7, exec_lo, s7
	s_cbranch_execz .LBB7_3168
; %bb.2839:
	v_bfe_u32 v3, v2, 21, 1
	s_mov_b32 s6, exec_lo
	s_delay_alu instid0(VALU_DEP_1) | instskip(NEXT) | instid1(VALU_DEP_1)
	v_add3_u32 v3, v2, v3, 0x88fffff
	v_lshrrev_b32_e32 v3, 21, v3
	s_and_not1_saveexec_b32 s7, s7
	s_cbranch_execnz .LBB7_3169
.LBB7_2840:
	s_or_b32 exec_lo, exec_lo, s7
	v_mov_b32_e32 v5, 0
	s_and_saveexec_b32 s7, s6
.LBB7_2841:
	v_lshrrev_b32_e32 v2, 24, v2
	s_delay_alu instid0(VALU_DEP_1)
	v_and_or_b32 v5, 0x80, v2, v3
.LBB7_2842:
	s_or_b32 exec_lo, exec_lo, s7
.LBB7_2843:
	s_delay_alu instid0(SALU_CYCLE_1)
	s_or_b32 exec_lo, exec_lo, s3
	s_mov_b32 s3, 0
	global_store_b8 v[8:9], v5, off
.LBB7_2844:
	s_and_b32 vcc_lo, exec_lo, s3
	s_cbranch_vccz .LBB7_2854
; %bb.2845:
	s_wait_xcnt 0x0
	v_cvt_f32_f64_e32 v2, v[0:1]
	s_mov_b32 s3, exec_lo
                                        ; implicit-def: $vgpr3
	s_delay_alu instid0(VALU_DEP_1) | instskip(NEXT) | instid1(VALU_DEP_1)
	v_and_b32_e32 v5, 0x7fffffff, v2
	v_cmpx_gt_u32_e32 0x43f00000, v5
	s_xor_b32 s3, exec_lo, s3
	s_cbranch_execz .LBB7_2851
; %bb.2846:
	s_mov_b32 s6, exec_lo
                                        ; implicit-def: $vgpr3
	v_cmpx_lt_u32_e32 0x3c7fffff, v5
	s_xor_b32 s6, exec_lo, s6
; %bb.2847:
	v_bfe_u32 v3, v2, 20, 1
	s_delay_alu instid0(VALU_DEP_1) | instskip(NEXT) | instid1(VALU_DEP_1)
	v_add3_u32 v3, v2, v3, 0x407ffff
	v_and_b32_e32 v5, 0xff00000, v3
	v_lshrrev_b32_e32 v3, 20, v3
	s_delay_alu instid0(VALU_DEP_2) | instskip(NEXT) | instid1(VALU_DEP_2)
	v_cmp_ne_u32_e32 vcc_lo, 0x7f00000, v5
	v_cndmask_b32_e32 v3, 0x7e, v3, vcc_lo
; %bb.2848:
	s_and_not1_saveexec_b32 s6, s6
; %bb.2849:
	v_add_f32_e64 v3, 0x46800000, |v2|
; %bb.2850:
	s_or_b32 exec_lo, exec_lo, s6
                                        ; implicit-def: $vgpr5
.LBB7_2851:
	s_and_not1_saveexec_b32 s3, s3
; %bb.2852:
	v_mov_b32_e32 v3, 0x7f
	v_cmp_lt_u32_e32 vcc_lo, 0x7f800000, v5
	s_delay_alu instid0(VALU_DEP_2)
	v_cndmask_b32_e32 v3, 0x7e, v3, vcc_lo
; %bb.2853:
	s_or_b32 exec_lo, exec_lo, s3
	v_lshrrev_b32_e32 v2, 24, v2
	s_delay_alu instid0(VALU_DEP_1)
	v_and_or_b32 v2, 0x80, v2, v3
	global_store_b8 v[8:9], v2, off
.LBB7_2854:
	s_mov_b32 s3, 0
.LBB7_2855:
	s_delay_alu instid0(SALU_CYCLE_1)
	s_and_not1_b32 vcc_lo, exec_lo, s3
	s_cbranch_vccnz .LBB7_2865
; %bb.2856:
	s_wait_xcnt 0x0
	v_cvt_f32_f64_e32 v2, v[0:1]
	s_mov_b32 s3, exec_lo
                                        ; implicit-def: $vgpr3
	s_delay_alu instid0(VALU_DEP_1) | instskip(NEXT) | instid1(VALU_DEP_1)
	v_and_b32_e32 v5, 0x7fffffff, v2
	v_cmpx_gt_u32_e32 0x47800000, v5
	s_xor_b32 s3, exec_lo, s3
	s_cbranch_execz .LBB7_2862
; %bb.2857:
	s_mov_b32 s6, exec_lo
                                        ; implicit-def: $vgpr3
	v_cmpx_lt_u32_e32 0x387fffff, v5
	s_xor_b32 s6, exec_lo, s6
; %bb.2858:
	v_bfe_u32 v3, v2, 21, 1
	s_delay_alu instid0(VALU_DEP_1) | instskip(NEXT) | instid1(VALU_DEP_1)
	v_add3_u32 v3, v2, v3, 0x80fffff
	v_lshrrev_b32_e32 v3, 21, v3
; %bb.2859:
	s_and_not1_saveexec_b32 s6, s6
; %bb.2860:
	v_add_f32_e64 v3, 0x43000000, |v2|
; %bb.2861:
	s_or_b32 exec_lo, exec_lo, s6
                                        ; implicit-def: $vgpr5
.LBB7_2862:
	s_and_not1_saveexec_b32 s3, s3
; %bb.2863:
	v_mov_b32_e32 v3, 0x7f
	v_cmp_lt_u32_e32 vcc_lo, 0x7f800000, v5
	s_delay_alu instid0(VALU_DEP_2)
	v_cndmask_b32_e32 v3, 0x7c, v3, vcc_lo
; %bb.2864:
	s_or_b32 exec_lo, exec_lo, s3
	v_lshrrev_b32_e32 v2, 24, v2
	s_delay_alu instid0(VALU_DEP_1)
	v_and_or_b32 v2, 0x80, v2, v3
	global_store_b8 v[8:9], v2, off
.LBB7_2865:
	s_mov_b32 s3, 0
	s_mov_b32 s6, -1
.LBB7_2866:
	s_and_not1_b32 vcc_lo, exec_lo, s3
	s_mov_b32 s3, 0
	s_cbranch_vccnz .LBB7_2873
; %bb.2867:
	s_cmp_gt_i32 s2, 14
	s_mov_b32 s3, -1
	s_cbranch_scc0 .LBB7_2871
; %bb.2868:
	s_cmp_eq_u32 s2, 15
	s_mov_b32 s0, -1
	s_cbranch_scc0 .LBB7_2870
; %bb.2869:
	s_wait_xcnt 0x0
	v_cvt_f32_f64_e32 v2, v[0:1]
	s_mov_b32 s0, 0
	s_mov_b32 s6, -1
	s_delay_alu instid0(VALU_DEP_1) | instskip(SKIP_1) | instid1(VALU_DEP_2)
	v_bfe_u32 v3, v2, 16, 1
	v_cmp_o_f32_e32 vcc_lo, v2, v2
	v_add3_u32 v3, v2, v3, 0x7fff
	s_delay_alu instid0(VALU_DEP_1) | instskip(NEXT) | instid1(VALU_DEP_1)
	v_lshrrev_b32_e32 v3, 16, v3
	v_cndmask_b32_e32 v2, 0x7fc0, v3, vcc_lo
	global_store_b16 v[8:9], v2, off
.LBB7_2870:
	s_mov_b32 s3, 0
.LBB7_2871:
	s_delay_alu instid0(SALU_CYCLE_1)
	s_and_b32 vcc_lo, exec_lo, s3
	s_mov_b32 s3, 0
	s_cbranch_vccz .LBB7_2873
; %bb.2872:
	s_cmp_lg_u32 s2, 11
	s_mov_b32 s3, -1
	s_cselect_b32 s0, -1, 0
.LBB7_2873:
	s_delay_alu instid0(SALU_CYCLE_1)
	s_and_b32 vcc_lo, exec_lo, s0
	s_cbranch_vccnz .LBB7_3167
; %bb.2874:
	s_and_not1_b32 vcc_lo, exec_lo, s3
	s_cbranch_vccnz .LBB7_2876
.LBB7_2875:
	v_cmp_neq_f64_e32 vcc_lo, 0, v[0:1]
	s_mov_b32 s6, -1
	s_wait_xcnt 0x0
	v_cndmask_b32_e64 v2, 0, 1, vcc_lo
	global_store_b8 v[8:9], v2, off
.LBB7_2876:
	s_mov_b32 s0, 0
	s_branch .LBB7_2878
.LBB7_2877:
	s_mov_b32 s0, -1
	s_mov_b32 s6, 0
.LBB7_2878:
	s_and_b32 vcc_lo, exec_lo, s0
	s_cbranch_vccz .LBB7_2917
; %bb.2879:
	s_cmp_lt_i32 s2, 5
	s_mov_b32 s0, -1
	s_cbranch_scc1 .LBB7_2900
; %bb.2880:
	s_cmp_lt_i32 s2, 8
	s_cbranch_scc1 .LBB7_2890
; %bb.2881:
	s_cmp_lt_i32 s2, 9
	s_cbranch_scc1 .LBB7_2887
; %bb.2882:
	s_cmp_gt_i32 s2, 9
	s_cbranch_scc0 .LBB7_2884
; %bb.2883:
	s_wait_xcnt 0x0
	v_mov_b32_e32 v2, 0
	s_mov_b32 s0, 0
	s_delay_alu instid0(VALU_DEP_1)
	v_mov_b32_e32 v3, v2
	global_store_b128 v[8:9], v[0:3], off
.LBB7_2884:
	s_and_not1_b32 vcc_lo, exec_lo, s0
	s_cbranch_vccnz .LBB7_2886
; %bb.2885:
	s_wait_xcnt 0x0
	v_cvt_f32_f64_e32 v2, v[0:1]
	v_mov_b32_e32 v3, 0
	global_store_b64 v[8:9], v[2:3], off
.LBB7_2886:
	s_mov_b32 s0, 0
.LBB7_2887:
	s_delay_alu instid0(SALU_CYCLE_1)
	s_and_not1_b32 vcc_lo, exec_lo, s0
	s_cbranch_vccnz .LBB7_2889
; %bb.2888:
	s_wait_xcnt 0x0
	v_and_or_b32 v2, 0x1ff, v1, v0
	v_lshrrev_b32_e32 v3, 8, v1
	v_bfe_u32 v5, v1, 20, 11
	s_delay_alu instid0(VALU_DEP_3) | instskip(NEXT) | instid1(VALU_DEP_2)
	v_cmp_ne_u32_e32 vcc_lo, 0, v2
	v_sub_nc_u32_e32 v7, 0x3f1, v5
	v_add_nc_u32_e32 v5, 0xfffffc10, v5
	v_cndmask_b32_e64 v2, 0, 1, vcc_lo
	s_delay_alu instid0(VALU_DEP_1) | instskip(NEXT) | instid1(VALU_DEP_4)
	v_and_or_b32 v2, 0xffe, v3, v2
	v_med3_i32 v3, v7, 0, 13
	s_delay_alu instid0(VALU_DEP_2) | instskip(NEXT) | instid1(VALU_DEP_1)
	v_or_b32_e32 v7, 0x1000, v2
	v_lshrrev_b32_e32 v12, v3, v7
	s_delay_alu instid0(VALU_DEP_1) | instskip(NEXT) | instid1(VALU_DEP_1)
	v_lshlrev_b32_e32 v3, v3, v12
	v_cmp_ne_u32_e32 vcc_lo, v3, v7
	v_lshl_or_b32 v7, v5, 12, v2
	v_cndmask_b32_e64 v3, 0, 1, vcc_lo
	v_cmp_gt_i32_e32 vcc_lo, 1, v5
	s_delay_alu instid0(VALU_DEP_2) | instskip(NEXT) | instid1(VALU_DEP_1)
	v_or_b32_e32 v3, v12, v3
	v_cndmask_b32_e32 v3, v7, v3, vcc_lo
	s_delay_alu instid0(VALU_DEP_1) | instskip(NEXT) | instid1(VALU_DEP_1)
	v_dual_lshrrev_b32 v3, 2, v3 :: v_dual_bitop2_b32 v7, 7, v3 bitop3:0x40
	v_cmp_lt_i32_e32 vcc_lo, 5, v7
	v_cndmask_b32_e64 v12, 0, 1, vcc_lo
	v_cmp_eq_u32_e32 vcc_lo, 3, v7
	v_cndmask_b32_e64 v7, 0, 1, vcc_lo
	v_cmp_ne_u32_e32 vcc_lo, 0, v2
	s_delay_alu instid0(VALU_DEP_2) | instskip(NEXT) | instid1(VALU_DEP_1)
	v_or_b32_e32 v7, v7, v12
	v_dual_mov_b32 v12, 0x7e00 :: v_dual_add_nc_u32 v3, v3, v7
	s_delay_alu instid0(VALU_DEP_1) | instskip(SKIP_2) | instid1(VALU_DEP_4)
	v_cndmask_b32_e32 v2, 0x7c00, v12, vcc_lo
	v_cmp_gt_i32_e32 vcc_lo, 31, v5
	v_lshrrev_b32_e32 v7, 16, v1
	v_cndmask_b32_e32 v3, 0x7c00, v3, vcc_lo
	v_cmp_eq_u32_e32 vcc_lo, 0x40f, v5
	s_delay_alu instid0(VALU_DEP_2) | instskip(NEXT) | instid1(VALU_DEP_4)
	v_cndmask_b32_e32 v2, v3, v2, vcc_lo
	v_and_b32_e32 v3, 0x8000, v7
	s_delay_alu instid0(VALU_DEP_1)
	v_bitop3_b32 v2, v3, 0xffff, v2 bitop3:0xc8
	global_store_b32 v[8:9], v2, off
.LBB7_2889:
	s_mov_b32 s0, 0
.LBB7_2890:
	s_delay_alu instid0(SALU_CYCLE_1)
	s_and_not1_b32 vcc_lo, exec_lo, s0
	s_cbranch_vccnz .LBB7_2899
; %bb.2891:
	s_cmp_lt_i32 s2, 6
	s_mov_b32 s0, -1
	s_cbranch_scc1 .LBB7_2897
; %bb.2892:
	s_cmp_gt_i32 s2, 6
	s_cbranch_scc0 .LBB7_2894
; %bb.2893:
	s_mov_b32 s0, 0
	global_store_b64 v[8:9], v[0:1], off
.LBB7_2894:
	s_and_not1_b32 vcc_lo, exec_lo, s0
	s_cbranch_vccnz .LBB7_2896
; %bb.2895:
	s_wait_xcnt 0x0
	v_cvt_f32_f64_e32 v2, v[0:1]
	global_store_b32 v[8:9], v2, off
.LBB7_2896:
	s_mov_b32 s0, 0
.LBB7_2897:
	s_delay_alu instid0(SALU_CYCLE_1)
	s_and_not1_b32 vcc_lo, exec_lo, s0
	s_cbranch_vccnz .LBB7_2899
; %bb.2898:
	s_wait_xcnt 0x0
	v_and_or_b32 v2, 0x1ff, v1, v0
	v_lshrrev_b32_e32 v3, 8, v1
	v_bfe_u32 v5, v1, 20, 11
	s_delay_alu instid0(VALU_DEP_3) | instskip(NEXT) | instid1(VALU_DEP_2)
	v_cmp_ne_u32_e32 vcc_lo, 0, v2
	v_sub_nc_u32_e32 v7, 0x3f1, v5
	v_add_nc_u32_e32 v5, 0xfffffc10, v5
	v_cndmask_b32_e64 v2, 0, 1, vcc_lo
	s_delay_alu instid0(VALU_DEP_1) | instskip(NEXT) | instid1(VALU_DEP_4)
	v_and_or_b32 v2, 0xffe, v3, v2
	v_med3_i32 v3, v7, 0, 13
	s_delay_alu instid0(VALU_DEP_2) | instskip(NEXT) | instid1(VALU_DEP_1)
	v_or_b32_e32 v7, 0x1000, v2
	v_lshrrev_b32_e32 v12, v3, v7
	s_delay_alu instid0(VALU_DEP_1) | instskip(NEXT) | instid1(VALU_DEP_1)
	v_lshlrev_b32_e32 v3, v3, v12
	v_cmp_ne_u32_e32 vcc_lo, v3, v7
	v_lshl_or_b32 v7, v5, 12, v2
	v_cndmask_b32_e64 v3, 0, 1, vcc_lo
	v_cmp_gt_i32_e32 vcc_lo, 1, v5
	s_delay_alu instid0(VALU_DEP_2) | instskip(NEXT) | instid1(VALU_DEP_1)
	v_or_b32_e32 v3, v12, v3
	v_cndmask_b32_e32 v3, v7, v3, vcc_lo
	s_delay_alu instid0(VALU_DEP_1) | instskip(NEXT) | instid1(VALU_DEP_1)
	v_dual_lshrrev_b32 v3, 2, v3 :: v_dual_bitop2_b32 v7, 7, v3 bitop3:0x40
	v_cmp_lt_i32_e32 vcc_lo, 5, v7
	v_cndmask_b32_e64 v12, 0, 1, vcc_lo
	v_cmp_eq_u32_e32 vcc_lo, 3, v7
	v_cndmask_b32_e64 v7, 0, 1, vcc_lo
	v_cmp_ne_u32_e32 vcc_lo, 0, v2
	s_delay_alu instid0(VALU_DEP_2) | instskip(NEXT) | instid1(VALU_DEP_1)
	v_or_b32_e32 v7, v7, v12
	v_dual_mov_b32 v12, 0x7e00 :: v_dual_add_nc_u32 v3, v3, v7
	s_delay_alu instid0(VALU_DEP_1) | instskip(SKIP_1) | instid1(VALU_DEP_3)
	v_cndmask_b32_e32 v2, 0x7c00, v12, vcc_lo
	v_cmp_gt_i32_e32 vcc_lo, 31, v5
	v_cndmask_b32_e32 v3, 0x7c00, v3, vcc_lo
	v_cmp_eq_u32_e32 vcc_lo, 0x40f, v5
	s_delay_alu instid0(VALU_DEP_2) | instskip(NEXT) | instid1(VALU_DEP_1)
	v_dual_cndmask_b32 v2, v3, v2 :: v_dual_lshrrev_b32 v3, 16, v1
	v_and_or_b32 v2, 0x8000, v3, v2
	global_store_b16 v[8:9], v2, off
.LBB7_2899:
	s_mov_b32 s0, 0
.LBB7_2900:
	s_delay_alu instid0(SALU_CYCLE_1)
	s_and_not1_b32 vcc_lo, exec_lo, s0
	s_cbranch_vccnz .LBB7_2916
; %bb.2901:
	s_cmp_lt_i32 s2, 2
	s_mov_b32 s0, -1
	s_cbranch_scc1 .LBB7_2911
; %bb.2902:
	s_cmp_lt_i32 s2, 3
	s_cbranch_scc1 .LBB7_2908
; %bb.2903:
	s_cmp_gt_i32 s2, 3
	s_cbranch_scc0 .LBB7_2905
; %bb.2904:
	s_wait_xcnt 0x0
	v_trunc_f64_e32 v[2:3], v[0:1]
	s_mov_b32 s0, 0
	s_delay_alu instid0(VALU_DEP_1) | instskip(NEXT) | instid1(VALU_DEP_1)
	v_ldexp_f64 v[12:13], v[2:3], 0xffffffe0
	v_floor_f64_e32 v[12:13], v[12:13]
	s_delay_alu instid0(VALU_DEP_1) | instskip(SKIP_1) | instid1(VALU_DEP_2)
	v_fmamk_f64 v[2:3], v[12:13], 0xc1f00000, v[2:3]
	v_cvt_i32_f64_e32 v13, v[12:13]
	v_cvt_u32_f64_e32 v12, v[2:3]
	global_store_b64 v[8:9], v[12:13], off
.LBB7_2905:
	s_and_not1_b32 vcc_lo, exec_lo, s0
	s_cbranch_vccnz .LBB7_2907
; %bb.2906:
	s_wait_xcnt 0x0
	v_cvt_i32_f64_e32 v2, v[0:1]
	global_store_b32 v[8:9], v2, off
.LBB7_2907:
	s_mov_b32 s0, 0
.LBB7_2908:
	s_delay_alu instid0(SALU_CYCLE_1)
	s_and_not1_b32 vcc_lo, exec_lo, s0
	s_cbranch_vccnz .LBB7_2910
; %bb.2909:
	s_wait_xcnt 0x0
	v_cvt_i32_f64_e32 v2, v[0:1]
	global_store_b16 v[8:9], v2, off
.LBB7_2910:
	s_mov_b32 s0, 0
.LBB7_2911:
	s_delay_alu instid0(SALU_CYCLE_1)
	s_and_not1_b32 vcc_lo, exec_lo, s0
	s_cbranch_vccnz .LBB7_2916
; %bb.2912:
	s_cmp_gt_i32 s2, 0
	s_mov_b32 s0, -1
	s_cbranch_scc0 .LBB7_2914
; %bb.2913:
	s_wait_xcnt 0x0
	v_cvt_i32_f64_e32 v2, v[0:1]
	s_mov_b32 s0, 0
	global_store_b8 v[8:9], v2, off
.LBB7_2914:
	s_and_not1_b32 vcc_lo, exec_lo, s0
	s_cbranch_vccnz .LBB7_2916
; %bb.2915:
	s_wait_xcnt 0x0
	v_trunc_f64_e32 v[0:1], v[0:1]
	s_delay_alu instid0(VALU_DEP_1) | instskip(NEXT) | instid1(VALU_DEP_1)
	v_ldexp_f64 v[2:3], v[0:1], 0xffffffe0
	v_floor_f64_e32 v[2:3], v[2:3]
	s_delay_alu instid0(VALU_DEP_1) | instskip(NEXT) | instid1(VALU_DEP_1)
	v_fmamk_f64 v[0:1], v[2:3], 0xc1f00000, v[0:1]
	v_cvt_u32_f64_e32 v0, v[0:1]
	global_store_b8 v[8:9], v0, off
.LBB7_2916:
	s_mov_b32 s6, -1
.LBB7_2917:
	s_delay_alu instid0(SALU_CYCLE_1)
	s_and_not1_b32 vcc_lo, exec_lo, s6
	s_cbranch_vccnz .LBB7_3113
; %bb.2918:
	s_wait_xcnt 0x0
	v_dual_mul_f64 v[0:1], v[18:19], v[22:23] :: v_dual_mov_b32 v7, 0
	v_cmp_lt_f64_e32 vcc_lo, 0, v[18:19]
	s_cmp_lt_i32 s2, 11
	s_delay_alu instid0(VALU_DEP_2) | instskip(NEXT) | instid1(VALU_DEP_3)
	v_add_nc_u64_e32 v[6:7], s[4:5], v[6:7]
	v_dual_cndmask_b32 v1, v1, v19 :: v_dual_cndmask_b32 v0, v0, v18
	s_cbranch_scc1 .LBB7_2996
; %bb.2919:
	s_mov_b32 s7, -1
	s_mov_b32 s3, 0
	s_cmp_gt_i32 s2, 25
	s_mov_b32 s6, 0
	s_mov_b32 s0, 0
	s_cbranch_scc0 .LBB7_2952
; %bb.2920:
	s_cmp_gt_i32 s2, 28
	s_cbranch_scc0 .LBB7_2935
; %bb.2921:
	s_cmp_gt_i32 s2, 43
	;; [unrolled: 3-line block ×3, first 2 shown]
	s_cbranch_scc0 .LBB7_2925
; %bb.2923:
	s_mov_b32 s0, -1
	s_mov_b32 s7, 0
	s_cmp_eq_u32 s2, 46
	s_cbranch_scc0 .LBB7_2925
; %bb.2924:
	v_cvt_f32_f64_e32 v2, v[0:1]
	s_mov_b32 s0, 0
	s_mov_b32 s6, -1
	s_delay_alu instid0(VALU_DEP_1) | instskip(SKIP_1) | instid1(VALU_DEP_2)
	v_bfe_u32 v3, v2, 16, 1
	v_cmp_o_f32_e32 vcc_lo, v2, v2
	v_add3_u32 v3, v2, v3, 0x7fff
	s_delay_alu instid0(VALU_DEP_1) | instskip(NEXT) | instid1(VALU_DEP_1)
	v_lshrrev_b32_e32 v3, 16, v3
	v_cndmask_b32_e32 v2, 0x7fc0, v3, vcc_lo
	global_store_b32 v[6:7], v2, off
.LBB7_2925:
	s_and_b32 vcc_lo, exec_lo, s7
	s_cbranch_vccz .LBB7_2930
; %bb.2926:
	s_cmp_eq_u32 s2, 44
	s_mov_b32 s0, -1
	s_cbranch_scc0 .LBB7_2930
; %bb.2927:
	s_wait_xcnt 0x0
	v_cvt_f32_f64_e32 v2, v[0:1]
	v_mov_b32_e32 v3, 0xff
	s_mov_b32 s6, exec_lo
	s_delay_alu instid0(VALU_DEP_2) | instskip(NEXT) | instid1(VALU_DEP_1)
	v_bfe_u32 v5, v2, 23, 8
	v_cmpx_ne_u32_e32 0xff, v5
	s_cbranch_execz .LBB7_2929
; %bb.2928:
	v_and_b32_e32 v3, 0x400000, v2
	v_and_or_b32 v5, 0x3fffff, v2, v5
	v_lshrrev_b32_e32 v2, 23, v2
	s_delay_alu instid0(VALU_DEP_3) | instskip(NEXT) | instid1(VALU_DEP_3)
	v_cmp_ne_u32_e32 vcc_lo, 0, v3
	v_cmp_ne_u32_e64 s0, 0, v5
	s_and_b32 s0, vcc_lo, s0
	s_delay_alu instid0(SALU_CYCLE_1) | instskip(NEXT) | instid1(VALU_DEP_1)
	v_cndmask_b32_e64 v3, 0, 1, s0
	v_add_nc_u32_e32 v3, v2, v3
.LBB7_2929:
	s_or_b32 exec_lo, exec_lo, s6
	s_mov_b32 s0, 0
	s_mov_b32 s6, -1
	global_store_b8 v[6:7], v3, off
.LBB7_2930:
	s_mov_b32 s7, 0
.LBB7_2931:
	s_delay_alu instid0(SALU_CYCLE_1)
	s_and_b32 vcc_lo, exec_lo, s7
	s_cbranch_vccz .LBB7_2934
; %bb.2932:
	s_cmp_eq_u32 s2, 29
	s_mov_b32 s0, -1
	s_cbranch_scc0 .LBB7_2934
; %bb.2933:
	s_wait_xcnt 0x0
	v_trunc_f64_e32 v[2:3], v[0:1]
	s_mov_b32 s0, 0
	s_mov_b32 s6, -1
	s_delay_alu instid0(VALU_DEP_1) | instskip(NEXT) | instid1(VALU_DEP_1)
	v_ldexp_f64 v[8:9], v[2:3], 0xffffffe0
	v_floor_f64_e32 v[8:9], v[8:9]
	s_delay_alu instid0(VALU_DEP_1) | instskip(SKIP_1) | instid1(VALU_DEP_2)
	v_fmamk_f64 v[2:3], v[8:9], 0xc1f00000, v[2:3]
	v_cvt_u32_f64_e32 v9, v[8:9]
	v_cvt_u32_f64_e32 v8, v[2:3]
	global_store_b64 v[6:7], v[8:9], off
.LBB7_2934:
	s_mov_b32 s7, 0
.LBB7_2935:
	s_delay_alu instid0(SALU_CYCLE_1)
	s_and_b32 vcc_lo, exec_lo, s7
	s_cbranch_vccz .LBB7_2951
; %bb.2936:
	s_cmp_lt_i32 s2, 27
	s_mov_b32 s6, -1
	s_cbranch_scc1 .LBB7_2942
; %bb.2937:
	s_cmp_gt_i32 s2, 27
	s_cbranch_scc0 .LBB7_2939
; %bb.2938:
	s_wait_xcnt 0x0
	v_cvt_u32_f64_e32 v2, v[0:1]
	s_mov_b32 s6, 0
	global_store_b32 v[6:7], v2, off
.LBB7_2939:
	s_and_not1_b32 vcc_lo, exec_lo, s6
	s_cbranch_vccnz .LBB7_2941
; %bb.2940:
	s_wait_xcnt 0x0
	v_cvt_u32_f64_e32 v2, v[0:1]
	global_store_b16 v[6:7], v2, off
.LBB7_2941:
	s_mov_b32 s6, 0
.LBB7_2942:
	s_delay_alu instid0(SALU_CYCLE_1)
	s_and_not1_b32 vcc_lo, exec_lo, s6
	s_cbranch_vccnz .LBB7_2950
; %bb.2943:
	s_wait_xcnt 0x0
	v_cvt_f32_f64_e32 v2, v[0:1]
	v_mov_b32_e32 v5, 0x80
	s_mov_b32 s6, exec_lo
	s_delay_alu instid0(VALU_DEP_2) | instskip(NEXT) | instid1(VALU_DEP_1)
	v_and_b32_e32 v3, 0x7fffffff, v2
	v_cmpx_gt_u32_e32 0x43800000, v3
	s_cbranch_execz .LBB7_2949
; %bb.2944:
	v_cmp_lt_u32_e32 vcc_lo, 0x3bffffff, v3
	s_mov_b32 s7, 0
                                        ; implicit-def: $vgpr3
	s_and_saveexec_b32 s11, vcc_lo
	s_delay_alu instid0(SALU_CYCLE_1)
	s_xor_b32 s11, exec_lo, s11
	s_cbranch_execz .LBB7_3170
; %bb.2945:
	v_bfe_u32 v3, v2, 20, 1
	s_mov_b32 s7, exec_lo
	s_delay_alu instid0(VALU_DEP_1) | instskip(NEXT) | instid1(VALU_DEP_1)
	v_add3_u32 v3, v2, v3, 0x487ffff
	v_lshrrev_b32_e32 v3, 20, v3
	s_and_not1_saveexec_b32 s11, s11
	s_cbranch_execnz .LBB7_3171
.LBB7_2946:
	s_or_b32 exec_lo, exec_lo, s11
	v_mov_b32_e32 v5, 0
	s_and_saveexec_b32 s11, s7
.LBB7_2947:
	v_lshrrev_b32_e32 v2, 24, v2
	s_delay_alu instid0(VALU_DEP_1)
	v_and_or_b32 v5, 0x80, v2, v3
.LBB7_2948:
	s_or_b32 exec_lo, exec_lo, s11
.LBB7_2949:
	s_delay_alu instid0(SALU_CYCLE_1)
	s_or_b32 exec_lo, exec_lo, s6
	global_store_b8 v[6:7], v5, off
.LBB7_2950:
	s_mov_b32 s6, -1
.LBB7_2951:
	s_mov_b32 s7, 0
.LBB7_2952:
	s_delay_alu instid0(SALU_CYCLE_1)
	s_and_b32 vcc_lo, exec_lo, s7
	s_cbranch_vccz .LBB7_2992
; %bb.2953:
	s_cmp_gt_i32 s2, 22
	s_mov_b32 s3, -1
	s_cbranch_scc0 .LBB7_2985
; %bb.2954:
	s_cmp_lt_i32 s2, 24
	s_cbranch_scc1 .LBB7_2974
; %bb.2955:
	s_cmp_gt_i32 s2, 24
	s_cbranch_scc0 .LBB7_2963
; %bb.2956:
	s_wait_xcnt 0x0
	v_cvt_f32_f64_e32 v2, v[0:1]
	v_mov_b32_e32 v5, 0x80
	s_mov_b32 s3, exec_lo
	s_delay_alu instid0(VALU_DEP_2) | instskip(NEXT) | instid1(VALU_DEP_1)
	v_and_b32_e32 v3, 0x7fffffff, v2
	v_cmpx_gt_u32_e32 0x47800000, v3
	s_cbranch_execz .LBB7_2962
; %bb.2957:
	v_cmp_lt_u32_e32 vcc_lo, 0x37ffffff, v3
	s_mov_b32 s6, 0
                                        ; implicit-def: $vgpr3
	s_and_saveexec_b32 s7, vcc_lo
	s_delay_alu instid0(SALU_CYCLE_1)
	s_xor_b32 s7, exec_lo, s7
	s_cbranch_execz .LBB7_3173
; %bb.2958:
	v_bfe_u32 v3, v2, 21, 1
	s_mov_b32 s6, exec_lo
	s_delay_alu instid0(VALU_DEP_1) | instskip(NEXT) | instid1(VALU_DEP_1)
	v_add3_u32 v3, v2, v3, 0x88fffff
	v_lshrrev_b32_e32 v3, 21, v3
	s_and_not1_saveexec_b32 s7, s7
	s_cbranch_execnz .LBB7_3174
.LBB7_2959:
	s_or_b32 exec_lo, exec_lo, s7
	v_mov_b32_e32 v5, 0
	s_and_saveexec_b32 s7, s6
.LBB7_2960:
	v_lshrrev_b32_e32 v2, 24, v2
	s_delay_alu instid0(VALU_DEP_1)
	v_and_or_b32 v5, 0x80, v2, v3
.LBB7_2961:
	s_or_b32 exec_lo, exec_lo, s7
.LBB7_2962:
	s_delay_alu instid0(SALU_CYCLE_1)
	s_or_b32 exec_lo, exec_lo, s3
	s_mov_b32 s3, 0
	global_store_b8 v[6:7], v5, off
.LBB7_2963:
	s_and_b32 vcc_lo, exec_lo, s3
	s_cbranch_vccz .LBB7_2973
; %bb.2964:
	s_wait_xcnt 0x0
	v_cvt_f32_f64_e32 v2, v[0:1]
	s_mov_b32 s3, exec_lo
                                        ; implicit-def: $vgpr3
	s_delay_alu instid0(VALU_DEP_1) | instskip(NEXT) | instid1(VALU_DEP_1)
	v_and_b32_e32 v5, 0x7fffffff, v2
	v_cmpx_gt_u32_e32 0x43f00000, v5
	s_xor_b32 s3, exec_lo, s3
	s_cbranch_execz .LBB7_2970
; %bb.2965:
	s_mov_b32 s6, exec_lo
                                        ; implicit-def: $vgpr3
	v_cmpx_lt_u32_e32 0x3c7fffff, v5
	s_xor_b32 s6, exec_lo, s6
; %bb.2966:
	v_bfe_u32 v3, v2, 20, 1
	s_delay_alu instid0(VALU_DEP_1) | instskip(NEXT) | instid1(VALU_DEP_1)
	v_add3_u32 v3, v2, v3, 0x407ffff
	v_and_b32_e32 v5, 0xff00000, v3
	v_lshrrev_b32_e32 v3, 20, v3
	s_delay_alu instid0(VALU_DEP_2) | instskip(NEXT) | instid1(VALU_DEP_2)
	v_cmp_ne_u32_e32 vcc_lo, 0x7f00000, v5
	v_cndmask_b32_e32 v3, 0x7e, v3, vcc_lo
; %bb.2967:
	s_and_not1_saveexec_b32 s6, s6
; %bb.2968:
	v_add_f32_e64 v3, 0x46800000, |v2|
; %bb.2969:
	s_or_b32 exec_lo, exec_lo, s6
                                        ; implicit-def: $vgpr5
.LBB7_2970:
	s_and_not1_saveexec_b32 s3, s3
; %bb.2971:
	v_mov_b32_e32 v3, 0x7f
	v_cmp_lt_u32_e32 vcc_lo, 0x7f800000, v5
	s_delay_alu instid0(VALU_DEP_2)
	v_cndmask_b32_e32 v3, 0x7e, v3, vcc_lo
; %bb.2972:
	s_or_b32 exec_lo, exec_lo, s3
	v_lshrrev_b32_e32 v2, 24, v2
	s_delay_alu instid0(VALU_DEP_1)
	v_and_or_b32 v2, 0x80, v2, v3
	global_store_b8 v[6:7], v2, off
.LBB7_2973:
	s_mov_b32 s3, 0
.LBB7_2974:
	s_delay_alu instid0(SALU_CYCLE_1)
	s_and_not1_b32 vcc_lo, exec_lo, s3
	s_cbranch_vccnz .LBB7_2984
; %bb.2975:
	s_wait_xcnt 0x0
	v_cvt_f32_f64_e32 v2, v[0:1]
	s_mov_b32 s3, exec_lo
                                        ; implicit-def: $vgpr3
	s_delay_alu instid0(VALU_DEP_1) | instskip(NEXT) | instid1(VALU_DEP_1)
	v_and_b32_e32 v5, 0x7fffffff, v2
	v_cmpx_gt_u32_e32 0x47800000, v5
	s_xor_b32 s3, exec_lo, s3
	s_cbranch_execz .LBB7_2981
; %bb.2976:
	s_mov_b32 s6, exec_lo
                                        ; implicit-def: $vgpr3
	v_cmpx_lt_u32_e32 0x387fffff, v5
	s_xor_b32 s6, exec_lo, s6
; %bb.2977:
	v_bfe_u32 v3, v2, 21, 1
	s_delay_alu instid0(VALU_DEP_1) | instskip(NEXT) | instid1(VALU_DEP_1)
	v_add3_u32 v3, v2, v3, 0x80fffff
	v_lshrrev_b32_e32 v3, 21, v3
; %bb.2978:
	s_and_not1_saveexec_b32 s6, s6
; %bb.2979:
	v_add_f32_e64 v3, 0x43000000, |v2|
; %bb.2980:
	s_or_b32 exec_lo, exec_lo, s6
                                        ; implicit-def: $vgpr5
.LBB7_2981:
	s_and_not1_saveexec_b32 s3, s3
; %bb.2982:
	v_mov_b32_e32 v3, 0x7f
	v_cmp_lt_u32_e32 vcc_lo, 0x7f800000, v5
	s_delay_alu instid0(VALU_DEP_2)
	v_cndmask_b32_e32 v3, 0x7c, v3, vcc_lo
; %bb.2983:
	s_or_b32 exec_lo, exec_lo, s3
	v_lshrrev_b32_e32 v2, 24, v2
	s_delay_alu instid0(VALU_DEP_1)
	v_and_or_b32 v2, 0x80, v2, v3
	global_store_b8 v[6:7], v2, off
.LBB7_2984:
	s_mov_b32 s3, 0
	s_mov_b32 s6, -1
.LBB7_2985:
	s_and_not1_b32 vcc_lo, exec_lo, s3
	s_mov_b32 s3, 0
	s_cbranch_vccnz .LBB7_2992
; %bb.2986:
	s_cmp_gt_i32 s2, 14
	s_mov_b32 s3, -1
	s_cbranch_scc0 .LBB7_2990
; %bb.2987:
	s_cmp_eq_u32 s2, 15
	s_mov_b32 s0, -1
	s_cbranch_scc0 .LBB7_2989
; %bb.2988:
	s_wait_xcnt 0x0
	v_cvt_f32_f64_e32 v2, v[0:1]
	s_mov_b32 s0, 0
	s_mov_b32 s6, -1
	s_delay_alu instid0(VALU_DEP_1) | instskip(SKIP_1) | instid1(VALU_DEP_2)
	v_bfe_u32 v3, v2, 16, 1
	v_cmp_o_f32_e32 vcc_lo, v2, v2
	v_add3_u32 v3, v2, v3, 0x7fff
	s_delay_alu instid0(VALU_DEP_1) | instskip(NEXT) | instid1(VALU_DEP_1)
	v_lshrrev_b32_e32 v3, 16, v3
	v_cndmask_b32_e32 v2, 0x7fc0, v3, vcc_lo
	global_store_b16 v[6:7], v2, off
.LBB7_2989:
	s_mov_b32 s3, 0
.LBB7_2990:
	s_delay_alu instid0(SALU_CYCLE_1)
	s_and_b32 vcc_lo, exec_lo, s3
	s_mov_b32 s3, 0
	s_cbranch_vccz .LBB7_2992
; %bb.2991:
	s_cmp_lg_u32 s2, 11
	s_mov_b32 s3, -1
	s_cselect_b32 s0, -1, 0
.LBB7_2992:
	s_delay_alu instid0(SALU_CYCLE_1)
	s_and_b32 vcc_lo, exec_lo, s0
	s_cbranch_vccnz .LBB7_3172
; %bb.2993:
	s_and_not1_b32 vcc_lo, exec_lo, s3
	s_cbranch_vccnz .LBB7_2995
.LBB7_2994:
	v_cmp_neq_f64_e32 vcc_lo, 0, v[0:1]
	s_mov_b32 s6, -1
	s_wait_xcnt 0x0
	v_cndmask_b32_e64 v2, 0, 1, vcc_lo
	global_store_b8 v[6:7], v2, off
.LBB7_2995:
	s_mov_b32 s0, 0
	s_branch .LBB7_2997
.LBB7_2996:
	s_mov_b32 s0, -1
	s_mov_b32 s6, 0
.LBB7_2997:
	s_and_b32 vcc_lo, exec_lo, s0
	s_cbranch_vccz .LBB7_3036
; %bb.2998:
	s_cmp_lt_i32 s2, 5
	s_mov_b32 s0, -1
	s_cbranch_scc1 .LBB7_3019
; %bb.2999:
	s_cmp_lt_i32 s2, 8
	s_cbranch_scc1 .LBB7_3009
; %bb.3000:
	s_cmp_lt_i32 s2, 9
	s_cbranch_scc1 .LBB7_3006
; %bb.3001:
	s_cmp_gt_i32 s2, 9
	s_cbranch_scc0 .LBB7_3003
; %bb.3002:
	s_wait_xcnt 0x0
	v_mov_b32_e32 v2, 0
	s_mov_b32 s0, 0
	s_delay_alu instid0(VALU_DEP_1)
	v_mov_b32_e32 v3, v2
	global_store_b128 v[6:7], v[0:3], off
.LBB7_3003:
	s_and_not1_b32 vcc_lo, exec_lo, s0
	s_cbranch_vccnz .LBB7_3005
; %bb.3004:
	s_wait_xcnt 0x0
	v_cvt_f32_f64_e32 v2, v[0:1]
	v_mov_b32_e32 v3, 0
	global_store_b64 v[6:7], v[2:3], off
.LBB7_3005:
	s_mov_b32 s0, 0
.LBB7_3006:
	s_delay_alu instid0(SALU_CYCLE_1)
	s_and_not1_b32 vcc_lo, exec_lo, s0
	s_cbranch_vccnz .LBB7_3008
; %bb.3007:
	s_wait_xcnt 0x0
	v_and_or_b32 v2, 0x1ff, v1, v0
	v_lshrrev_b32_e32 v3, 8, v1
	v_bfe_u32 v5, v1, 20, 11
	s_delay_alu instid0(VALU_DEP_3) | instskip(NEXT) | instid1(VALU_DEP_2)
	v_cmp_ne_u32_e32 vcc_lo, 0, v2
	v_sub_nc_u32_e32 v8, 0x3f1, v5
	v_add_nc_u32_e32 v5, 0xfffffc10, v5
	v_cndmask_b32_e64 v2, 0, 1, vcc_lo
	s_delay_alu instid0(VALU_DEP_1) | instskip(NEXT) | instid1(VALU_DEP_4)
	v_and_or_b32 v2, 0xffe, v3, v2
	v_med3_i32 v3, v8, 0, 13
	s_delay_alu instid0(VALU_DEP_2) | instskip(NEXT) | instid1(VALU_DEP_1)
	v_or_b32_e32 v8, 0x1000, v2
	v_lshrrev_b32_e32 v9, v3, v8
	s_delay_alu instid0(VALU_DEP_1) | instskip(NEXT) | instid1(VALU_DEP_1)
	v_lshlrev_b32_e32 v3, v3, v9
	v_cmp_ne_u32_e32 vcc_lo, v3, v8
	v_lshl_or_b32 v8, v5, 12, v2
	v_cndmask_b32_e64 v3, 0, 1, vcc_lo
	v_cmp_gt_i32_e32 vcc_lo, 1, v5
	s_delay_alu instid0(VALU_DEP_2) | instskip(NEXT) | instid1(VALU_DEP_1)
	v_or_b32_e32 v3, v9, v3
	v_cndmask_b32_e32 v3, v8, v3, vcc_lo
	s_delay_alu instid0(VALU_DEP_1) | instskip(NEXT) | instid1(VALU_DEP_1)
	v_dual_lshrrev_b32 v3, 2, v3 :: v_dual_bitop2_b32 v8, 7, v3 bitop3:0x40
	v_cmp_lt_i32_e32 vcc_lo, 5, v8
	v_cndmask_b32_e64 v9, 0, 1, vcc_lo
	v_cmp_eq_u32_e32 vcc_lo, 3, v8
	v_cndmask_b32_e64 v8, 0, 1, vcc_lo
	v_cmp_ne_u32_e32 vcc_lo, 0, v2
	s_delay_alu instid0(VALU_DEP_2) | instskip(SKIP_1) | instid1(VALU_DEP_1)
	v_or_b32_e32 v8, v8, v9
	v_mov_b32_e32 v9, 0x7e00
	v_dual_cndmask_b32 v2, 0x7c00, v9 :: v_dual_add_nc_u32 v3, v3, v8
	v_cmp_gt_i32_e32 vcc_lo, 31, v5
	s_delay_alu instid0(VALU_DEP_2) | instskip(SKIP_1) | instid1(VALU_DEP_2)
	v_dual_cndmask_b32 v3, 0x7c00, v3 :: v_dual_lshrrev_b32 v8, 16, v1
	v_cmp_eq_u32_e32 vcc_lo, 0x40f, v5
	v_cndmask_b32_e32 v2, v3, v2, vcc_lo
	s_delay_alu instid0(VALU_DEP_3) | instskip(NEXT) | instid1(VALU_DEP_1)
	v_and_b32_e32 v3, 0x8000, v8
	v_bitop3_b32 v2, v3, 0xffff, v2 bitop3:0xc8
	global_store_b32 v[6:7], v2, off
.LBB7_3008:
	s_mov_b32 s0, 0
.LBB7_3009:
	s_delay_alu instid0(SALU_CYCLE_1)
	s_and_not1_b32 vcc_lo, exec_lo, s0
	s_cbranch_vccnz .LBB7_3018
; %bb.3010:
	s_cmp_lt_i32 s2, 6
	s_mov_b32 s0, -1
	s_cbranch_scc1 .LBB7_3016
; %bb.3011:
	s_cmp_gt_i32 s2, 6
	s_cbranch_scc0 .LBB7_3013
; %bb.3012:
	s_mov_b32 s0, 0
	global_store_b64 v[6:7], v[0:1], off
.LBB7_3013:
	s_and_not1_b32 vcc_lo, exec_lo, s0
	s_cbranch_vccnz .LBB7_3015
; %bb.3014:
	s_wait_xcnt 0x0
	v_cvt_f32_f64_e32 v2, v[0:1]
	global_store_b32 v[6:7], v2, off
.LBB7_3015:
	s_mov_b32 s0, 0
.LBB7_3016:
	s_delay_alu instid0(SALU_CYCLE_1)
	s_and_not1_b32 vcc_lo, exec_lo, s0
	s_cbranch_vccnz .LBB7_3018
; %bb.3017:
	s_wait_xcnt 0x0
	v_and_or_b32 v2, 0x1ff, v1, v0
	v_lshrrev_b32_e32 v3, 8, v1
	v_bfe_u32 v5, v1, 20, 11
	s_delay_alu instid0(VALU_DEP_3) | instskip(NEXT) | instid1(VALU_DEP_2)
	v_cmp_ne_u32_e32 vcc_lo, 0, v2
	v_sub_nc_u32_e32 v8, 0x3f1, v5
	v_add_nc_u32_e32 v5, 0xfffffc10, v5
	v_cndmask_b32_e64 v2, 0, 1, vcc_lo
	s_delay_alu instid0(VALU_DEP_1) | instskip(NEXT) | instid1(VALU_DEP_4)
	v_and_or_b32 v2, 0xffe, v3, v2
	v_med3_i32 v3, v8, 0, 13
	s_delay_alu instid0(VALU_DEP_2) | instskip(NEXT) | instid1(VALU_DEP_1)
	v_or_b32_e32 v8, 0x1000, v2
	v_lshrrev_b32_e32 v9, v3, v8
	s_delay_alu instid0(VALU_DEP_1) | instskip(NEXT) | instid1(VALU_DEP_1)
	v_lshlrev_b32_e32 v3, v3, v9
	v_cmp_ne_u32_e32 vcc_lo, v3, v8
	v_lshl_or_b32 v8, v5, 12, v2
	v_cndmask_b32_e64 v3, 0, 1, vcc_lo
	v_cmp_gt_i32_e32 vcc_lo, 1, v5
	s_delay_alu instid0(VALU_DEP_2) | instskip(NEXT) | instid1(VALU_DEP_1)
	v_or_b32_e32 v3, v9, v3
	v_cndmask_b32_e32 v3, v8, v3, vcc_lo
	s_delay_alu instid0(VALU_DEP_1) | instskip(NEXT) | instid1(VALU_DEP_1)
	v_dual_lshrrev_b32 v3, 2, v3 :: v_dual_bitop2_b32 v8, 7, v3 bitop3:0x40
	v_cmp_lt_i32_e32 vcc_lo, 5, v8
	v_cndmask_b32_e64 v9, 0, 1, vcc_lo
	v_cmp_eq_u32_e32 vcc_lo, 3, v8
	v_cndmask_b32_e64 v8, 0, 1, vcc_lo
	v_cmp_ne_u32_e32 vcc_lo, 0, v2
	s_delay_alu instid0(VALU_DEP_2) | instskip(SKIP_1) | instid1(VALU_DEP_1)
	v_or_b32_e32 v8, v8, v9
	v_mov_b32_e32 v9, 0x7e00
	v_dual_cndmask_b32 v2, 0x7c00, v9 :: v_dual_add_nc_u32 v3, v3, v8
	v_cmp_gt_i32_e32 vcc_lo, 31, v5
	s_delay_alu instid0(VALU_DEP_2) | instskip(SKIP_1) | instid1(VALU_DEP_2)
	v_cndmask_b32_e32 v3, 0x7c00, v3, vcc_lo
	v_cmp_eq_u32_e32 vcc_lo, 0x40f, v5
	v_dual_cndmask_b32 v2, v3, v2 :: v_dual_lshrrev_b32 v3, 16, v1
	s_delay_alu instid0(VALU_DEP_1)
	v_and_or_b32 v2, 0x8000, v3, v2
	global_store_b16 v[6:7], v2, off
.LBB7_3018:
	s_mov_b32 s0, 0
.LBB7_3019:
	s_delay_alu instid0(SALU_CYCLE_1)
	s_and_not1_b32 vcc_lo, exec_lo, s0
	s_cbranch_vccnz .LBB7_3035
; %bb.3020:
	s_cmp_lt_i32 s2, 2
	s_mov_b32 s0, -1
	s_cbranch_scc1 .LBB7_3030
; %bb.3021:
	s_cmp_lt_i32 s2, 3
	s_cbranch_scc1 .LBB7_3027
; %bb.3022:
	s_cmp_gt_i32 s2, 3
	s_cbranch_scc0 .LBB7_3024
; %bb.3023:
	s_wait_xcnt 0x0
	v_trunc_f64_e32 v[2:3], v[0:1]
	s_mov_b32 s0, 0
	s_delay_alu instid0(VALU_DEP_1) | instskip(NEXT) | instid1(VALU_DEP_1)
	v_ldexp_f64 v[8:9], v[2:3], 0xffffffe0
	v_floor_f64_e32 v[8:9], v[8:9]
	s_delay_alu instid0(VALU_DEP_1) | instskip(SKIP_1) | instid1(VALU_DEP_2)
	v_fmamk_f64 v[2:3], v[8:9], 0xc1f00000, v[2:3]
	v_cvt_i32_f64_e32 v9, v[8:9]
	v_cvt_u32_f64_e32 v8, v[2:3]
	global_store_b64 v[6:7], v[8:9], off
.LBB7_3024:
	s_and_not1_b32 vcc_lo, exec_lo, s0
	s_cbranch_vccnz .LBB7_3026
; %bb.3025:
	s_wait_xcnt 0x0
	v_cvt_i32_f64_e32 v2, v[0:1]
	global_store_b32 v[6:7], v2, off
.LBB7_3026:
	s_mov_b32 s0, 0
.LBB7_3027:
	s_delay_alu instid0(SALU_CYCLE_1)
	s_and_not1_b32 vcc_lo, exec_lo, s0
	s_cbranch_vccnz .LBB7_3029
; %bb.3028:
	s_wait_xcnt 0x0
	v_cvt_i32_f64_e32 v2, v[0:1]
	global_store_b16 v[6:7], v2, off
.LBB7_3029:
	s_mov_b32 s0, 0
.LBB7_3030:
	s_delay_alu instid0(SALU_CYCLE_1)
	s_and_not1_b32 vcc_lo, exec_lo, s0
	s_cbranch_vccnz .LBB7_3035
; %bb.3031:
	s_cmp_gt_i32 s2, 0
	s_mov_b32 s0, -1
	s_cbranch_scc0 .LBB7_3033
; %bb.3032:
	s_wait_xcnt 0x0
	v_cvt_i32_f64_e32 v2, v[0:1]
	s_mov_b32 s0, 0
	global_store_b8 v[6:7], v2, off
.LBB7_3033:
	s_and_not1_b32 vcc_lo, exec_lo, s0
	s_cbranch_vccnz .LBB7_3035
; %bb.3034:
	s_wait_xcnt 0x0
	v_trunc_f64_e32 v[0:1], v[0:1]
	s_delay_alu instid0(VALU_DEP_1) | instskip(NEXT) | instid1(VALU_DEP_1)
	v_ldexp_f64 v[2:3], v[0:1], 0xffffffe0
	v_floor_f64_e32 v[2:3], v[2:3]
	s_delay_alu instid0(VALU_DEP_1) | instskip(NEXT) | instid1(VALU_DEP_1)
	v_fmamk_f64 v[0:1], v[2:3], 0xc1f00000, v[0:1]
	v_cvt_u32_f64_e32 v0, v[0:1]
	global_store_b8 v[6:7], v0, off
.LBB7_3035:
	s_mov_b32 s6, -1
.LBB7_3036:
	s_delay_alu instid0(SALU_CYCLE_1)
	s_and_not1_b32 vcc_lo, exec_lo, s6
	s_cbranch_vccnz .LBB7_3113
; %bb.3037:
	s_wait_xcnt 0x0
	v_dual_mul_f64 v[0:1], v[16:17], v[10:11] :: v_dual_mov_b32 v5, 0
	v_cmp_lt_f64_e32 vcc_lo, 0, v[16:17]
	s_cmp_lt_i32 s2, 11
	s_delay_alu instid0(VALU_DEP_2) | instskip(NEXT) | instid1(VALU_DEP_3)
	v_add_nc_u64_e32 v[6:7], s[4:5], v[4:5]
	v_dual_cndmask_b32 v1, v1, v17 :: v_dual_cndmask_b32 v0, v0, v16
	s_cbranch_scc1 .LBB7_3158
; %bb.3038:
	s_mov_b32 s4, -1
	s_mov_b32 s3, 0
	s_cmp_gt_i32 s2, 25
	s_mov_b32 s0, 0
	s_cbranch_scc0 .LBB7_3071
; %bb.3039:
	s_cmp_gt_i32 s2, 28
	s_cbranch_scc0 .LBB7_3055
; %bb.3040:
	s_cmp_gt_i32 s2, 43
	;; [unrolled: 3-line block ×3, first 2 shown]
	s_cbranch_scc0 .LBB7_3045
; %bb.3042:
	s_cmp_eq_u32 s2, 46
	s_mov_b32 s0, -1
	s_cbranch_scc0 .LBB7_3044
; %bb.3043:
	v_cvt_f32_f64_e32 v2, v[0:1]
	s_mov_b32 s0, 0
	s_delay_alu instid0(VALU_DEP_1) | instskip(SKIP_1) | instid1(VALU_DEP_2)
	v_bfe_u32 v3, v2, 16, 1
	v_cmp_o_f32_e32 vcc_lo, v2, v2
	v_add3_u32 v3, v2, v3, 0x7fff
	s_delay_alu instid0(VALU_DEP_1) | instskip(NEXT) | instid1(VALU_DEP_1)
	v_lshrrev_b32_e32 v3, 16, v3
	v_cndmask_b32_e32 v2, 0x7fc0, v3, vcc_lo
	global_store_b32 v[6:7], v2, off
.LBB7_3044:
	s_mov_b32 s4, 0
.LBB7_3045:
	s_delay_alu instid0(SALU_CYCLE_1)
	s_and_b32 vcc_lo, exec_lo, s4
	s_cbranch_vccz .LBB7_3050
; %bb.3046:
	s_cmp_eq_u32 s2, 44
	s_mov_b32 s0, -1
	s_cbranch_scc0 .LBB7_3050
; %bb.3047:
	s_wait_xcnt 0x0
	v_cvt_f32_f64_e32 v2, v[0:1]
	v_mov_b32_e32 v3, 0xff
	s_mov_b32 s4, exec_lo
	s_delay_alu instid0(VALU_DEP_2) | instskip(NEXT) | instid1(VALU_DEP_1)
	v_bfe_u32 v4, v2, 23, 8
	v_cmpx_ne_u32_e32 0xff, v4
	s_cbranch_execz .LBB7_3049
; %bb.3048:
	v_and_b32_e32 v3, 0x400000, v2
	v_and_or_b32 v4, 0x3fffff, v2, v4
	v_lshrrev_b32_e32 v2, 23, v2
	s_delay_alu instid0(VALU_DEP_3) | instskip(NEXT) | instid1(VALU_DEP_3)
	v_cmp_ne_u32_e32 vcc_lo, 0, v3
	v_cmp_ne_u32_e64 s0, 0, v4
	s_and_b32 s0, vcc_lo, s0
	s_delay_alu instid0(SALU_CYCLE_1) | instskip(NEXT) | instid1(VALU_DEP_1)
	v_cndmask_b32_e64 v3, 0, 1, s0
	v_add_nc_u32_e32 v3, v2, v3
.LBB7_3049:
	s_or_b32 exec_lo, exec_lo, s4
	s_mov_b32 s0, 0
	global_store_b8 v[6:7], v3, off
.LBB7_3050:
	s_mov_b32 s4, 0
.LBB7_3051:
	s_delay_alu instid0(SALU_CYCLE_1)
	s_and_b32 vcc_lo, exec_lo, s4
	s_cbranch_vccz .LBB7_3054
; %bb.3052:
	s_cmp_eq_u32 s2, 29
	s_mov_b32 s0, -1
	s_cbranch_scc0 .LBB7_3054
; %bb.3053:
	s_wait_xcnt 0x0
	v_trunc_f64_e32 v[2:3], v[0:1]
	s_mov_b32 s0, 0
	s_delay_alu instid0(VALU_DEP_1) | instskip(NEXT) | instid1(VALU_DEP_1)
	v_ldexp_f64 v[4:5], v[2:3], 0xffffffe0
	v_floor_f64_e32 v[4:5], v[4:5]
	s_delay_alu instid0(VALU_DEP_1) | instskip(SKIP_1) | instid1(VALU_DEP_2)
	v_fmamk_f64 v[2:3], v[4:5], 0xc1f00000, v[2:3]
	v_cvt_u32_f64_e32 v5, v[4:5]
	v_cvt_u32_f64_e32 v4, v[2:3]
	global_store_b64 v[6:7], v[4:5], off
.LBB7_3054:
	s_mov_b32 s4, 0
.LBB7_3055:
	s_delay_alu instid0(SALU_CYCLE_1)
	s_and_b32 vcc_lo, exec_lo, s4
	s_cbranch_vccz .LBB7_3070
; %bb.3056:
	s_cmp_lt_i32 s2, 27
	s_mov_b32 s4, -1
	s_cbranch_scc1 .LBB7_3062
; %bb.3057:
	s_wait_xcnt 0x0
	v_cvt_u32_f64_e32 v2, v[0:1]
	s_cmp_gt_i32 s2, 27
	s_cbranch_scc0 .LBB7_3059
; %bb.3058:
	s_mov_b32 s4, 0
	global_store_b32 v[6:7], v2, off
.LBB7_3059:
	s_and_not1_b32 vcc_lo, exec_lo, s4
	s_cbranch_vccnz .LBB7_3061
; %bb.3060:
	global_store_b16 v[6:7], v2, off
.LBB7_3061:
	s_mov_b32 s4, 0
.LBB7_3062:
	s_delay_alu instid0(SALU_CYCLE_1)
	s_and_not1_b32 vcc_lo, exec_lo, s4
	s_cbranch_vccnz .LBB7_3070
; %bb.3063:
	s_wait_xcnt 0x0
	v_cvt_f32_f64_e32 v2, v[0:1]
	v_mov_b32_e32 v4, 0x80
	s_mov_b32 s4, exec_lo
	s_delay_alu instid0(VALU_DEP_2) | instskip(NEXT) | instid1(VALU_DEP_1)
	v_and_b32_e32 v3, 0x7fffffff, v2
	v_cmpx_gt_u32_e32 0x43800000, v3
	s_cbranch_execz .LBB7_3069
; %bb.3064:
	v_cmp_lt_u32_e32 vcc_lo, 0x3bffffff, v3
	s_mov_b32 s5, 0
                                        ; implicit-def: $vgpr3
	s_and_saveexec_b32 s6, vcc_lo
	s_delay_alu instid0(SALU_CYCLE_1)
	s_xor_b32 s6, exec_lo, s6
	s_cbranch_execz .LBB7_3175
; %bb.3065:
	v_bfe_u32 v3, v2, 20, 1
	s_mov_b32 s5, exec_lo
	s_delay_alu instid0(VALU_DEP_1) | instskip(NEXT) | instid1(VALU_DEP_1)
	v_add3_u32 v3, v2, v3, 0x487ffff
	v_lshrrev_b32_e32 v3, 20, v3
	s_and_not1_saveexec_b32 s6, s6
	s_cbranch_execnz .LBB7_3176
.LBB7_3066:
	s_or_b32 exec_lo, exec_lo, s6
	v_mov_b32_e32 v4, 0
	s_and_saveexec_b32 s6, s5
.LBB7_3067:
	v_lshrrev_b32_e32 v2, 24, v2
	s_delay_alu instid0(VALU_DEP_1)
	v_and_or_b32 v4, 0x80, v2, v3
.LBB7_3068:
	s_or_b32 exec_lo, exec_lo, s6
.LBB7_3069:
	s_delay_alu instid0(SALU_CYCLE_1)
	s_or_b32 exec_lo, exec_lo, s4
	global_store_b8 v[6:7], v4, off
.LBB7_3070:
	s_mov_b32 s4, 0
.LBB7_3071:
	s_delay_alu instid0(SALU_CYCLE_1)
	s_and_b32 vcc_lo, exec_lo, s4
	s_cbranch_vccz .LBB7_3111
; %bb.3072:
	s_cmp_gt_i32 s2, 22
	s_mov_b32 s3, -1
	s_cbranch_scc0 .LBB7_3104
; %bb.3073:
	s_cmp_lt_i32 s2, 24
	s_cbranch_scc1 .LBB7_3093
; %bb.3074:
	s_cmp_gt_i32 s2, 24
	s_cbranch_scc0 .LBB7_3082
; %bb.3075:
	s_wait_xcnt 0x0
	v_cvt_f32_f64_e32 v2, v[0:1]
	v_mov_b32_e32 v4, 0x80
	s_mov_b32 s3, exec_lo
	s_delay_alu instid0(VALU_DEP_2) | instskip(NEXT) | instid1(VALU_DEP_1)
	v_and_b32_e32 v3, 0x7fffffff, v2
	v_cmpx_gt_u32_e32 0x47800000, v3
	s_cbranch_execz .LBB7_3081
; %bb.3076:
	v_cmp_lt_u32_e32 vcc_lo, 0x37ffffff, v3
	s_mov_b32 s4, 0
                                        ; implicit-def: $vgpr3
	s_and_saveexec_b32 s5, vcc_lo
	s_delay_alu instid0(SALU_CYCLE_1)
	s_xor_b32 s5, exec_lo, s5
	s_cbranch_execz .LBB7_3178
; %bb.3077:
	v_bfe_u32 v3, v2, 21, 1
	s_mov_b32 s4, exec_lo
	s_delay_alu instid0(VALU_DEP_1) | instskip(NEXT) | instid1(VALU_DEP_1)
	v_add3_u32 v3, v2, v3, 0x88fffff
	v_lshrrev_b32_e32 v3, 21, v3
	s_and_not1_saveexec_b32 s5, s5
	s_cbranch_execnz .LBB7_3179
.LBB7_3078:
	s_or_b32 exec_lo, exec_lo, s5
	v_mov_b32_e32 v4, 0
	s_and_saveexec_b32 s5, s4
.LBB7_3079:
	v_lshrrev_b32_e32 v2, 24, v2
	s_delay_alu instid0(VALU_DEP_1)
	v_and_or_b32 v4, 0x80, v2, v3
.LBB7_3080:
	s_or_b32 exec_lo, exec_lo, s5
.LBB7_3081:
	s_delay_alu instid0(SALU_CYCLE_1)
	s_or_b32 exec_lo, exec_lo, s3
	s_mov_b32 s3, 0
	global_store_b8 v[6:7], v4, off
.LBB7_3082:
	s_and_b32 vcc_lo, exec_lo, s3
	s_cbranch_vccz .LBB7_3092
; %bb.3083:
	s_wait_xcnt 0x0
	v_cvt_f32_f64_e32 v2, v[0:1]
	s_mov_b32 s3, exec_lo
                                        ; implicit-def: $vgpr3
	s_delay_alu instid0(VALU_DEP_1) | instskip(NEXT) | instid1(VALU_DEP_1)
	v_and_b32_e32 v4, 0x7fffffff, v2
	v_cmpx_gt_u32_e32 0x43f00000, v4
	s_xor_b32 s3, exec_lo, s3
	s_cbranch_execz .LBB7_3089
; %bb.3084:
	s_mov_b32 s4, exec_lo
                                        ; implicit-def: $vgpr3
	v_cmpx_lt_u32_e32 0x3c7fffff, v4
	s_xor_b32 s4, exec_lo, s4
; %bb.3085:
	v_bfe_u32 v3, v2, 20, 1
	s_delay_alu instid0(VALU_DEP_1) | instskip(NEXT) | instid1(VALU_DEP_1)
	v_add3_u32 v3, v2, v3, 0x407ffff
	v_and_b32_e32 v4, 0xff00000, v3
	v_lshrrev_b32_e32 v3, 20, v3
	s_delay_alu instid0(VALU_DEP_2) | instskip(NEXT) | instid1(VALU_DEP_2)
	v_cmp_ne_u32_e32 vcc_lo, 0x7f00000, v4
	v_cndmask_b32_e32 v3, 0x7e, v3, vcc_lo
; %bb.3086:
	s_and_not1_saveexec_b32 s4, s4
; %bb.3087:
	v_add_f32_e64 v3, 0x46800000, |v2|
; %bb.3088:
	s_or_b32 exec_lo, exec_lo, s4
                                        ; implicit-def: $vgpr4
.LBB7_3089:
	s_and_not1_saveexec_b32 s3, s3
; %bb.3090:
	v_mov_b32_e32 v3, 0x7f
	v_cmp_lt_u32_e32 vcc_lo, 0x7f800000, v4
	s_delay_alu instid0(VALU_DEP_2)
	v_cndmask_b32_e32 v3, 0x7e, v3, vcc_lo
; %bb.3091:
	s_or_b32 exec_lo, exec_lo, s3
	v_lshrrev_b32_e32 v2, 24, v2
	s_delay_alu instid0(VALU_DEP_1)
	v_and_or_b32 v2, 0x80, v2, v3
	global_store_b8 v[6:7], v2, off
.LBB7_3092:
	s_mov_b32 s3, 0
.LBB7_3093:
	s_delay_alu instid0(SALU_CYCLE_1)
	s_and_not1_b32 vcc_lo, exec_lo, s3
	s_cbranch_vccnz .LBB7_3103
; %bb.3094:
	s_wait_xcnt 0x0
	v_cvt_f32_f64_e32 v2, v[0:1]
	s_mov_b32 s3, exec_lo
                                        ; implicit-def: $vgpr3
	s_delay_alu instid0(VALU_DEP_1) | instskip(NEXT) | instid1(VALU_DEP_1)
	v_and_b32_e32 v4, 0x7fffffff, v2
	v_cmpx_gt_u32_e32 0x47800000, v4
	s_xor_b32 s3, exec_lo, s3
	s_cbranch_execz .LBB7_3100
; %bb.3095:
	s_mov_b32 s4, exec_lo
                                        ; implicit-def: $vgpr3
	v_cmpx_lt_u32_e32 0x387fffff, v4
	s_xor_b32 s4, exec_lo, s4
; %bb.3096:
	v_bfe_u32 v3, v2, 21, 1
	s_delay_alu instid0(VALU_DEP_1) | instskip(NEXT) | instid1(VALU_DEP_1)
	v_add3_u32 v3, v2, v3, 0x80fffff
	v_lshrrev_b32_e32 v3, 21, v3
; %bb.3097:
	s_and_not1_saveexec_b32 s4, s4
; %bb.3098:
	v_add_f32_e64 v3, 0x43000000, |v2|
; %bb.3099:
	s_or_b32 exec_lo, exec_lo, s4
                                        ; implicit-def: $vgpr4
.LBB7_3100:
	s_and_not1_saveexec_b32 s3, s3
; %bb.3101:
	v_mov_b32_e32 v3, 0x7f
	v_cmp_lt_u32_e32 vcc_lo, 0x7f800000, v4
	s_delay_alu instid0(VALU_DEP_2)
	v_cndmask_b32_e32 v3, 0x7c, v3, vcc_lo
; %bb.3102:
	s_or_b32 exec_lo, exec_lo, s3
	v_lshrrev_b32_e32 v2, 24, v2
	s_delay_alu instid0(VALU_DEP_1)
	v_and_or_b32 v2, 0x80, v2, v3
	global_store_b8 v[6:7], v2, off
.LBB7_3103:
	s_mov_b32 s3, 0
.LBB7_3104:
	s_delay_alu instid0(SALU_CYCLE_1)
	s_and_not1_b32 vcc_lo, exec_lo, s3
	s_mov_b32 s3, 0
	s_cbranch_vccnz .LBB7_3111
; %bb.3105:
	s_cmp_gt_i32 s2, 14
	s_mov_b32 s3, -1
	s_cbranch_scc0 .LBB7_3109
; %bb.3106:
	s_cmp_eq_u32 s2, 15
	s_mov_b32 s0, -1
	s_cbranch_scc0 .LBB7_3108
; %bb.3107:
	s_wait_xcnt 0x0
	v_cvt_f32_f64_e32 v2, v[0:1]
	s_mov_b32 s0, 0
	s_delay_alu instid0(VALU_DEP_1) | instskip(SKIP_1) | instid1(VALU_DEP_2)
	v_bfe_u32 v3, v2, 16, 1
	v_cmp_o_f32_e32 vcc_lo, v2, v2
	v_add3_u32 v3, v2, v3, 0x7fff
	s_delay_alu instid0(VALU_DEP_1) | instskip(NEXT) | instid1(VALU_DEP_1)
	v_lshrrev_b32_e32 v3, 16, v3
	v_cndmask_b32_e32 v2, 0x7fc0, v3, vcc_lo
	global_store_b16 v[6:7], v2, off
.LBB7_3108:
	s_mov_b32 s3, 0
.LBB7_3109:
	s_delay_alu instid0(SALU_CYCLE_1)
	s_and_b32 vcc_lo, exec_lo, s3
	s_mov_b32 s3, 0
	s_cbranch_vccz .LBB7_3111
; %bb.3110:
	s_cmp_lg_u32 s2, 11
	s_mov_b32 s3, -1
	s_cselect_b32 s0, -1, 0
.LBB7_3111:
	s_delay_alu instid0(SALU_CYCLE_1)
	s_and_b32 vcc_lo, exec_lo, s0
	s_cbranch_vccnz .LBB7_3177
.LBB7_3112:
	s_mov_b32 s0, 0
	s_branch .LBB7_3114
.LBB7_3113:
	s_mov_b32 s0, 0
	s_wait_xcnt 0x0
	s_mov_b32 s3, 0
                                        ; implicit-def: $vgpr6_vgpr7
                                        ; implicit-def: $sgpr1
                                        ; implicit-def: $vgpr0_vgpr1
.LBB7_3114:
	s_and_not1_b32 s2, s8, exec_lo
	s_and_b32 s4, s10, exec_lo
	s_and_b32 s0, s0, exec_lo
	;; [unrolled: 1-line block ×3, first 2 shown]
	s_or_b32 s8, s2, s4
.LBB7_3115:
	s_wait_xcnt 0x0
	s_or_b32 exec_lo, exec_lo, s9
	s_and_saveexec_b32 s2, s8
	s_cbranch_execz .LBB7_3118
; %bb.3116:
	; divergent unreachable
	s_or_b32 exec_lo, exec_lo, s2
	s_and_saveexec_b32 s2, s28
	s_delay_alu instid0(SALU_CYCLE_1)
	s_xor_b32 s2, exec_lo, s2
	s_cbranch_execnz .LBB7_3119
.LBB7_3117:
	s_or_b32 exec_lo, exec_lo, s2
	s_and_saveexec_b32 s2, s0
	s_cbranch_execnz .LBB7_3120
	s_branch .LBB7_3157
.LBB7_3118:
	s_or_b32 exec_lo, exec_lo, s2
	s_and_saveexec_b32 s2, s28
	s_delay_alu instid0(SALU_CYCLE_1)
	s_xor_b32 s2, exec_lo, s2
	s_cbranch_execz .LBB7_3117
.LBB7_3119:
	v_cmp_neq_f64_e32 vcc_lo, 0, v[0:1]
	s_wait_loadcnt 0x0
	v_cndmask_b32_e64 v2, 0, 1, vcc_lo
	global_store_b8 v[6:7], v2, off
	s_wait_xcnt 0x0
	s_or_b32 exec_lo, exec_lo, s2
	s_and_saveexec_b32 s2, s0
	s_cbranch_execz .LBB7_3157
.LBB7_3120:
	s_sext_i32_i16 s2, s1
	s_mov_b32 s0, -1
	s_cmp_lt_i32 s2, 5
	s_cbranch_scc1 .LBB7_3141
; %bb.3121:
	s_cmp_lt_i32 s2, 8
	s_cbranch_scc1 .LBB7_3131
; %bb.3122:
	;; [unrolled: 3-line block ×3, first 2 shown]
	s_cmp_gt_i32 s2, 9
	s_cbranch_scc0 .LBB7_3125
; %bb.3124:
	s_wait_loadcnt 0x0
	v_mov_b32_e32 v2, 0
	s_mov_b32 s0, 0
	s_delay_alu instid0(VALU_DEP_1)
	v_mov_b32_e32 v3, v2
	global_store_b128 v[6:7], v[0:3], off
.LBB7_3125:
	s_and_not1_b32 vcc_lo, exec_lo, s0
	s_cbranch_vccnz .LBB7_3127
; %bb.3126:
	s_wait_loadcnt 0x0
	v_cvt_f32_f64_e32 v2, v[0:1]
	v_mov_b32_e32 v3, 0
	global_store_b64 v[6:7], v[2:3], off
.LBB7_3127:
	s_mov_b32 s0, 0
.LBB7_3128:
	s_delay_alu instid0(SALU_CYCLE_1)
	s_and_not1_b32 vcc_lo, exec_lo, s0
	s_cbranch_vccnz .LBB7_3130
; %bb.3129:
	s_wait_loadcnt 0x0
	v_and_or_b32 v2, 0x1ff, v1, v0
	v_lshrrev_b32_e32 v3, 8, v1
	v_bfe_u32 v4, v1, 20, 11
	s_delay_alu instid0(VALU_DEP_3) | instskip(NEXT) | instid1(VALU_DEP_2)
	v_cmp_ne_u32_e32 vcc_lo, 0, v2
	v_sub_nc_u32_e32 v5, 0x3f1, v4
	v_add_nc_u32_e32 v4, 0xfffffc10, v4
	v_cndmask_b32_e64 v2, 0, 1, vcc_lo
	s_delay_alu instid0(VALU_DEP_1) | instskip(NEXT) | instid1(VALU_DEP_4)
	v_and_or_b32 v2, 0xffe, v3, v2
	v_med3_i32 v3, v5, 0, 13
	s_delay_alu instid0(VALU_DEP_2) | instskip(NEXT) | instid1(VALU_DEP_1)
	v_or_b32_e32 v5, 0x1000, v2
	v_lshrrev_b32_e32 v8, v3, v5
	s_delay_alu instid0(VALU_DEP_1) | instskip(NEXT) | instid1(VALU_DEP_1)
	v_lshlrev_b32_e32 v3, v3, v8
	v_cmp_ne_u32_e32 vcc_lo, v3, v5
	v_lshl_or_b32 v5, v4, 12, v2
	v_cndmask_b32_e64 v3, 0, 1, vcc_lo
	v_cmp_gt_i32_e32 vcc_lo, 1, v4
	s_delay_alu instid0(VALU_DEP_2) | instskip(NEXT) | instid1(VALU_DEP_1)
	v_or_b32_e32 v3, v8, v3
	v_cndmask_b32_e32 v3, v5, v3, vcc_lo
	s_delay_alu instid0(VALU_DEP_1) | instskip(NEXT) | instid1(VALU_DEP_1)
	v_dual_lshrrev_b32 v3, 2, v3 :: v_dual_bitop2_b32 v5, 7, v3 bitop3:0x40
	v_cmp_lt_i32_e32 vcc_lo, 5, v5
	v_cndmask_b32_e64 v8, 0, 1, vcc_lo
	v_cmp_eq_u32_e32 vcc_lo, 3, v5
	v_cndmask_b32_e64 v5, 0, 1, vcc_lo
	v_cmp_ne_u32_e32 vcc_lo, 0, v2
	s_delay_alu instid0(VALU_DEP_2) | instskip(NEXT) | instid1(VALU_DEP_1)
	v_or_b32_e32 v5, v5, v8
	v_dual_mov_b32 v8, 0x7e00 :: v_dual_add_nc_u32 v3, v3, v5
	s_delay_alu instid0(VALU_DEP_1) | instskip(SKIP_2) | instid1(VALU_DEP_4)
	v_cndmask_b32_e32 v2, 0x7c00, v8, vcc_lo
	v_cmp_gt_i32_e32 vcc_lo, 31, v4
	v_lshrrev_b32_e32 v5, 16, v1
	v_cndmask_b32_e32 v3, 0x7c00, v3, vcc_lo
	v_cmp_eq_u32_e32 vcc_lo, 0x40f, v4
	s_delay_alu instid0(VALU_DEP_2) | instskip(NEXT) | instid1(VALU_DEP_4)
	v_cndmask_b32_e32 v2, v3, v2, vcc_lo
	v_and_b32_e32 v3, 0x8000, v5
	s_delay_alu instid0(VALU_DEP_1)
	v_bitop3_b32 v2, v3, 0xffff, v2 bitop3:0xc8
	global_store_b32 v[6:7], v2, off
.LBB7_3130:
	s_mov_b32 s0, 0
.LBB7_3131:
	s_delay_alu instid0(SALU_CYCLE_1)
	s_and_not1_b32 vcc_lo, exec_lo, s0
	s_cbranch_vccnz .LBB7_3140
; %bb.3132:
	s_sext_i32_i16 s2, s1
	s_mov_b32 s0, -1
	s_cmp_lt_i32 s2, 6
	s_cbranch_scc1 .LBB7_3138
; %bb.3133:
	s_cmp_gt_i32 s2, 6
	s_cbranch_scc0 .LBB7_3135
; %bb.3134:
	s_mov_b32 s0, 0
	s_wait_loadcnt 0x0
	global_store_b64 v[6:7], v[0:1], off
.LBB7_3135:
	s_and_not1_b32 vcc_lo, exec_lo, s0
	s_cbranch_vccnz .LBB7_3137
; %bb.3136:
	s_wait_loadcnt 0x0
	v_cvt_f32_f64_e32 v2, v[0:1]
	global_store_b32 v[6:7], v2, off
.LBB7_3137:
	s_mov_b32 s0, 0
.LBB7_3138:
	s_delay_alu instid0(SALU_CYCLE_1)
	s_and_not1_b32 vcc_lo, exec_lo, s0
	s_cbranch_vccnz .LBB7_3140
; %bb.3139:
	s_wait_loadcnt 0x0
	v_and_or_b32 v2, 0x1ff, v1, v0
	v_lshrrev_b32_e32 v3, 8, v1
	v_bfe_u32 v4, v1, 20, 11
	s_delay_alu instid0(VALU_DEP_3) | instskip(NEXT) | instid1(VALU_DEP_2)
	v_cmp_ne_u32_e32 vcc_lo, 0, v2
	v_sub_nc_u32_e32 v5, 0x3f1, v4
	v_add_nc_u32_e32 v4, 0xfffffc10, v4
	v_cndmask_b32_e64 v2, 0, 1, vcc_lo
	s_delay_alu instid0(VALU_DEP_1) | instskip(NEXT) | instid1(VALU_DEP_4)
	v_and_or_b32 v2, 0xffe, v3, v2
	v_med3_i32 v3, v5, 0, 13
	s_delay_alu instid0(VALU_DEP_2) | instskip(NEXT) | instid1(VALU_DEP_1)
	v_or_b32_e32 v5, 0x1000, v2
	v_lshrrev_b32_e32 v8, v3, v5
	s_delay_alu instid0(VALU_DEP_1) | instskip(NEXT) | instid1(VALU_DEP_1)
	v_lshlrev_b32_e32 v3, v3, v8
	v_cmp_ne_u32_e32 vcc_lo, v3, v5
	v_lshl_or_b32 v5, v4, 12, v2
	v_cndmask_b32_e64 v3, 0, 1, vcc_lo
	v_cmp_gt_i32_e32 vcc_lo, 1, v4
	s_delay_alu instid0(VALU_DEP_2) | instskip(NEXT) | instid1(VALU_DEP_1)
	v_or_b32_e32 v3, v8, v3
	v_cndmask_b32_e32 v3, v5, v3, vcc_lo
	s_delay_alu instid0(VALU_DEP_1) | instskip(NEXT) | instid1(VALU_DEP_1)
	v_dual_lshrrev_b32 v3, 2, v3 :: v_dual_bitop2_b32 v5, 7, v3 bitop3:0x40
	v_cmp_lt_i32_e32 vcc_lo, 5, v5
	v_cndmask_b32_e64 v8, 0, 1, vcc_lo
	v_cmp_eq_u32_e32 vcc_lo, 3, v5
	v_cndmask_b32_e64 v5, 0, 1, vcc_lo
	v_cmp_ne_u32_e32 vcc_lo, 0, v2
	s_delay_alu instid0(VALU_DEP_2) | instskip(NEXT) | instid1(VALU_DEP_1)
	v_or_b32_e32 v5, v5, v8
	v_dual_mov_b32 v8, 0x7e00 :: v_dual_add_nc_u32 v3, v3, v5
	s_delay_alu instid0(VALU_DEP_1) | instskip(SKIP_1) | instid1(VALU_DEP_3)
	v_cndmask_b32_e32 v2, 0x7c00, v8, vcc_lo
	v_cmp_gt_i32_e32 vcc_lo, 31, v4
	v_cndmask_b32_e32 v3, 0x7c00, v3, vcc_lo
	v_cmp_eq_u32_e32 vcc_lo, 0x40f, v4
	s_delay_alu instid0(VALU_DEP_2) | instskip(NEXT) | instid1(VALU_DEP_1)
	v_dual_cndmask_b32 v2, v3, v2 :: v_dual_lshrrev_b32 v3, 16, v1
	v_and_or_b32 v2, 0x8000, v3, v2
	global_store_b16 v[6:7], v2, off
.LBB7_3140:
	s_mov_b32 s0, 0
.LBB7_3141:
	s_delay_alu instid0(SALU_CYCLE_1)
	s_and_not1_b32 vcc_lo, exec_lo, s0
	s_cbranch_vccnz .LBB7_3157
; %bb.3142:
	s_sext_i32_i16 s2, s1
	s_mov_b32 s0, -1
	s_cmp_lt_i32 s2, 2
	s_cbranch_scc1 .LBB7_3152
; %bb.3143:
	s_cmp_lt_i32 s2, 3
	s_cbranch_scc1 .LBB7_3149
; %bb.3144:
	s_cmp_gt_i32 s2, 3
	s_cbranch_scc0 .LBB7_3146
; %bb.3145:
	s_wait_loadcnt 0x0
	v_trunc_f64_e32 v[2:3], v[0:1]
	s_mov_b32 s0, 0
	s_delay_alu instid0(VALU_DEP_1) | instskip(NEXT) | instid1(VALU_DEP_1)
	v_ldexp_f64 v[4:5], v[2:3], 0xffffffe0
	v_floor_f64_e32 v[4:5], v[4:5]
	s_delay_alu instid0(VALU_DEP_1) | instskip(SKIP_1) | instid1(VALU_DEP_2)
	v_fmamk_f64 v[2:3], v[4:5], 0xc1f00000, v[2:3]
	v_cvt_i32_f64_e32 v5, v[4:5]
	v_cvt_u32_f64_e32 v4, v[2:3]
	global_store_b64 v[6:7], v[4:5], off
.LBB7_3146:
	s_and_not1_b32 vcc_lo, exec_lo, s0
	s_cbranch_vccnz .LBB7_3148
; %bb.3147:
	s_wait_loadcnt 0x0
	v_cvt_i32_f64_e32 v2, v[0:1]
	global_store_b32 v[6:7], v2, off
.LBB7_3148:
	s_mov_b32 s0, 0
.LBB7_3149:
	s_delay_alu instid0(SALU_CYCLE_1)
	s_and_not1_b32 vcc_lo, exec_lo, s0
	s_cbranch_vccnz .LBB7_3151
; %bb.3150:
	s_wait_loadcnt 0x0
	v_cvt_i32_f64_e32 v2, v[0:1]
	global_store_b16 v[6:7], v2, off
.LBB7_3151:
	s_mov_b32 s0, 0
.LBB7_3152:
	s_delay_alu instid0(SALU_CYCLE_1)
	s_and_not1_b32 vcc_lo, exec_lo, s0
	s_cbranch_vccnz .LBB7_3157
; %bb.3153:
	s_sext_i32_i16 s0, s1
	s_delay_alu instid0(SALU_CYCLE_1)
	s_cmp_gt_i32 s0, 0
	s_mov_b32 s0, -1
	s_cbranch_scc0 .LBB7_3155
; %bb.3154:
	s_wait_loadcnt 0x0
	v_cvt_i32_f64_e32 v2, v[0:1]
	s_mov_b32 s0, 0
	global_store_b8 v[6:7], v2, off
.LBB7_3155:
	s_and_not1_b32 vcc_lo, exec_lo, s0
	s_cbranch_vccnz .LBB7_3157
; %bb.3156:
	s_wait_xcnt 0x0
	v_trunc_f64_e32 v[0:1], v[0:1]
	s_wait_loadcnt 0x0
	s_delay_alu instid0(VALU_DEP_1) | instskip(NEXT) | instid1(VALU_DEP_1)
	v_ldexp_f64 v[2:3], v[0:1], 0xffffffe0
	v_floor_f64_e32 v[2:3], v[2:3]
	s_delay_alu instid0(VALU_DEP_1) | instskip(NEXT) | instid1(VALU_DEP_1)
	v_fmamk_f64 v[0:1], v[2:3], 0xc1f00000, v[0:1]
	v_cvt_u32_f64_e32 v0, v[0:1]
	global_store_b8 v[6:7], v0, off
	s_endpgm
.LBB7_3157:
	s_endpgm
.LBB7_3158:
	s_mov_b32 s3, 0
	s_mov_b32 s0, -1
	s_branch .LBB7_3114
.LBB7_3159:
	s_or_b32 s10, s10, exec_lo
	s_trap 2
	s_cbranch_execz .LBB7_2628
	s_branch .LBB7_2629
.LBB7_3160:
	s_and_not1_saveexec_b32 s11, s11
	s_cbranch_execz .LBB7_2708
.LBB7_3161:
	v_add_f32_e64 v3, 0x46000000, |v2|
	s_and_not1_b32 s7, s7, exec_lo
	s_delay_alu instid0(VALU_DEP_1) | instskip(NEXT) | instid1(VALU_DEP_1)
	v_and_b32_e32 v3, 0xff, v3
	v_cmp_ne_u32_e32 vcc_lo, 0, v3
	s_and_b32 s12, vcc_lo, exec_lo
	s_delay_alu instid0(SALU_CYCLE_1)
	s_or_b32 s7, s7, s12
	s_or_b32 exec_lo, exec_lo, s11
	v_mov_b32_e32 v5, 0
	s_and_saveexec_b32 s11, s7
	s_cbranch_execnz .LBB7_2709
	s_branch .LBB7_2710
.LBB7_3162:
	s_or_b32 s10, s10, exec_lo
	s_trap 2
	s_cbranch_execz .LBB7_2756
	s_branch .LBB7_2757
.LBB7_3163:
	s_and_not1_saveexec_b32 s7, s7
	s_cbranch_execz .LBB7_2721
.LBB7_3164:
	v_add_f32_e64 v3, 0x42800000, |v2|
	s_and_not1_b32 s6, s6, exec_lo
	s_delay_alu instid0(VALU_DEP_1) | instskip(NEXT) | instid1(VALU_DEP_1)
	v_and_b32_e32 v3, 0xff, v3
	v_cmp_ne_u32_e32 vcc_lo, 0, v3
	s_and_b32 s11, vcc_lo, exec_lo
	s_delay_alu instid0(SALU_CYCLE_1)
	s_or_b32 s6, s6, s11
	s_or_b32 exec_lo, exec_lo, s7
	v_mov_b32_e32 v5, 0
	s_and_saveexec_b32 s7, s6
	s_cbranch_execnz .LBB7_2722
	s_branch .LBB7_2723
.LBB7_3165:
	s_and_not1_saveexec_b32 s11, s11
	s_cbranch_execz .LBB7_2827
.LBB7_3166:
	v_add_f32_e64 v3, 0x46000000, |v2|
	s_and_not1_b32 s7, s7, exec_lo
	s_delay_alu instid0(VALU_DEP_1) | instskip(NEXT) | instid1(VALU_DEP_1)
	v_and_b32_e32 v3, 0xff, v3
	v_cmp_ne_u32_e32 vcc_lo, 0, v3
	s_and_b32 s12, vcc_lo, exec_lo
	s_delay_alu instid0(SALU_CYCLE_1)
	s_or_b32 s7, s7, s12
	s_or_b32 exec_lo, exec_lo, s11
	v_mov_b32_e32 v5, 0
	s_and_saveexec_b32 s11, s7
	s_cbranch_execnz .LBB7_2828
	s_branch .LBB7_2829
.LBB7_3167:
	s_or_b32 s10, s10, exec_lo
	s_trap 2
	s_cbranch_execz .LBB7_2875
	s_branch .LBB7_2876
.LBB7_3168:
	s_and_not1_saveexec_b32 s7, s7
	s_cbranch_execz .LBB7_2840
.LBB7_3169:
	v_add_f32_e64 v3, 0x42800000, |v2|
	s_and_not1_b32 s6, s6, exec_lo
	s_delay_alu instid0(VALU_DEP_1) | instskip(NEXT) | instid1(VALU_DEP_1)
	v_and_b32_e32 v3, 0xff, v3
	v_cmp_ne_u32_e32 vcc_lo, 0, v3
	s_and_b32 s11, vcc_lo, exec_lo
	s_delay_alu instid0(SALU_CYCLE_1)
	s_or_b32 s6, s6, s11
	s_or_b32 exec_lo, exec_lo, s7
	v_mov_b32_e32 v5, 0
	s_and_saveexec_b32 s7, s6
	s_cbranch_execnz .LBB7_2841
	s_branch .LBB7_2842
.LBB7_3170:
	s_and_not1_saveexec_b32 s11, s11
	s_cbranch_execz .LBB7_2946
.LBB7_3171:
	v_add_f32_e64 v3, 0x46000000, |v2|
	s_and_not1_b32 s7, s7, exec_lo
	s_delay_alu instid0(VALU_DEP_1) | instskip(NEXT) | instid1(VALU_DEP_1)
	v_and_b32_e32 v3, 0xff, v3
	v_cmp_ne_u32_e32 vcc_lo, 0, v3
	s_and_b32 s12, vcc_lo, exec_lo
	s_delay_alu instid0(SALU_CYCLE_1)
	s_or_b32 s7, s7, s12
	s_or_b32 exec_lo, exec_lo, s11
	v_mov_b32_e32 v5, 0
	s_and_saveexec_b32 s11, s7
	s_cbranch_execnz .LBB7_2947
	s_branch .LBB7_2948
.LBB7_3172:
	s_or_b32 s10, s10, exec_lo
	s_trap 2
	s_cbranch_execz .LBB7_2994
	s_branch .LBB7_2995
.LBB7_3173:
	s_and_not1_saveexec_b32 s7, s7
	s_cbranch_execz .LBB7_2959
.LBB7_3174:
	v_add_f32_e64 v3, 0x42800000, |v2|
	s_and_not1_b32 s6, s6, exec_lo
	s_delay_alu instid0(VALU_DEP_1) | instskip(NEXT) | instid1(VALU_DEP_1)
	v_and_b32_e32 v3, 0xff, v3
	v_cmp_ne_u32_e32 vcc_lo, 0, v3
	s_and_b32 s11, vcc_lo, exec_lo
	s_delay_alu instid0(SALU_CYCLE_1)
	s_or_b32 s6, s6, s11
	s_or_b32 exec_lo, exec_lo, s7
	v_mov_b32_e32 v5, 0
	s_and_saveexec_b32 s7, s6
	s_cbranch_execnz .LBB7_2960
	s_branch .LBB7_2961
.LBB7_3175:
	s_and_not1_saveexec_b32 s6, s6
	s_cbranch_execz .LBB7_3066
.LBB7_3176:
	v_add_f32_e64 v3, 0x46000000, |v2|
	s_and_not1_b32 s5, s5, exec_lo
	s_delay_alu instid0(VALU_DEP_1) | instskip(NEXT) | instid1(VALU_DEP_1)
	v_and_b32_e32 v3, 0xff, v3
	v_cmp_ne_u32_e32 vcc_lo, 0, v3
	s_and_b32 s7, vcc_lo, exec_lo
	s_delay_alu instid0(SALU_CYCLE_1)
	s_or_b32 s5, s5, s7
	s_or_b32 exec_lo, exec_lo, s6
	v_mov_b32_e32 v4, 0
	s_and_saveexec_b32 s6, s5
	s_cbranch_execnz .LBB7_3067
	s_branch .LBB7_3068
.LBB7_3177:
	s_mov_b32 s3, 0
	s_or_b32 s10, s10, exec_lo
	s_trap 2
	s_branch .LBB7_3112
.LBB7_3178:
	s_and_not1_saveexec_b32 s5, s5
	s_cbranch_execz .LBB7_3078
.LBB7_3179:
	v_add_f32_e64 v3, 0x42800000, |v2|
	s_and_not1_b32 s4, s4, exec_lo
	s_delay_alu instid0(VALU_DEP_1) | instskip(NEXT) | instid1(VALU_DEP_1)
	v_and_b32_e32 v3, 0xff, v3
	v_cmp_ne_u32_e32 vcc_lo, 0, v3
	s_and_b32 s6, vcc_lo, exec_lo
	s_delay_alu instid0(SALU_CYCLE_1)
	s_or_b32 s4, s4, s6
	s_or_b32 exec_lo, exec_lo, s5
	v_mov_b32_e32 v4, 0
	s_and_saveexec_b32 s5, s4
	s_cbranch_execnz .LBB7_3079
	s_branch .LBB7_3080
	.section	.rodata,"a",@progbits
	.p2align	6, 0x0
	.amdhsa_kernel _ZN2at6native32elementwise_kernel_manual_unrollILi128ELi4EZNS0_15gpu_kernel_implIZZZNS0_12prelu_kernelERNS_14TensorIteratorEENKUlvE_clEvENKUlvE_clEvEUlddE_EEvRNS_18TensorIteratorBaseERKT_EUlibE0_EEviT1_
		.amdhsa_group_segment_fixed_size 0
		.amdhsa_private_segment_fixed_size 0
		.amdhsa_kernarg_size 432
		.amdhsa_user_sgpr_count 2
		.amdhsa_user_sgpr_dispatch_ptr 0
		.amdhsa_user_sgpr_queue_ptr 0
		.amdhsa_user_sgpr_kernarg_segment_ptr 1
		.amdhsa_user_sgpr_dispatch_id 0
		.amdhsa_user_sgpr_kernarg_preload_length 0
		.amdhsa_user_sgpr_kernarg_preload_offset 0
		.amdhsa_user_sgpr_private_segment_size 0
		.amdhsa_wavefront_size32 1
		.amdhsa_uses_dynamic_stack 0
		.amdhsa_enable_private_segment 0
		.amdhsa_system_sgpr_workgroup_id_x 1
		.amdhsa_system_sgpr_workgroup_id_y 0
		.amdhsa_system_sgpr_workgroup_id_z 0
		.amdhsa_system_sgpr_workgroup_info 0
		.amdhsa_system_vgpr_workitem_id 0
		.amdhsa_next_free_vgpr 28
		.amdhsa_next_free_sgpr 60
		.amdhsa_named_barrier_count 0
		.amdhsa_reserve_vcc 1
		.amdhsa_float_round_mode_32 0
		.amdhsa_float_round_mode_16_64 0
		.amdhsa_float_denorm_mode_32 3
		.amdhsa_float_denorm_mode_16_64 3
		.amdhsa_fp16_overflow 0
		.amdhsa_memory_ordered 1
		.amdhsa_forward_progress 1
		.amdhsa_inst_pref_size 255
		.amdhsa_round_robin_scheduling 0
		.amdhsa_exception_fp_ieee_invalid_op 0
		.amdhsa_exception_fp_denorm_src 0
		.amdhsa_exception_fp_ieee_div_zero 0
		.amdhsa_exception_fp_ieee_overflow 0
		.amdhsa_exception_fp_ieee_underflow 0
		.amdhsa_exception_fp_ieee_inexact 0
		.amdhsa_exception_int_div_zero 0
	.end_amdhsa_kernel
	.section	.text._ZN2at6native32elementwise_kernel_manual_unrollILi128ELi4EZNS0_15gpu_kernel_implIZZZNS0_12prelu_kernelERNS_14TensorIteratorEENKUlvE_clEvENKUlvE_clEvEUlddE_EEvRNS_18TensorIteratorBaseERKT_EUlibE0_EEviT1_,"axG",@progbits,_ZN2at6native32elementwise_kernel_manual_unrollILi128ELi4EZNS0_15gpu_kernel_implIZZZNS0_12prelu_kernelERNS_14TensorIteratorEENKUlvE_clEvENKUlvE_clEvEUlddE_EEvRNS_18TensorIteratorBaseERKT_EUlibE0_EEviT1_,comdat
.Lfunc_end7:
	.size	_ZN2at6native32elementwise_kernel_manual_unrollILi128ELi4EZNS0_15gpu_kernel_implIZZZNS0_12prelu_kernelERNS_14TensorIteratorEENKUlvE_clEvENKUlvE_clEvEUlddE_EEvRNS_18TensorIteratorBaseERKT_EUlibE0_EEviT1_, .Lfunc_end7-_ZN2at6native32elementwise_kernel_manual_unrollILi128ELi4EZNS0_15gpu_kernel_implIZZZNS0_12prelu_kernelERNS_14TensorIteratorEENKUlvE_clEvENKUlvE_clEvEUlddE_EEvRNS_18TensorIteratorBaseERKT_EUlibE0_EEviT1_
                                        ; -- End function
	.set _ZN2at6native32elementwise_kernel_manual_unrollILi128ELi4EZNS0_15gpu_kernel_implIZZZNS0_12prelu_kernelERNS_14TensorIteratorEENKUlvE_clEvENKUlvE_clEvEUlddE_EEvRNS_18TensorIteratorBaseERKT_EUlibE0_EEviT1_.num_vgpr, 28
	.set _ZN2at6native32elementwise_kernel_manual_unrollILi128ELi4EZNS0_15gpu_kernel_implIZZZNS0_12prelu_kernelERNS_14TensorIteratorEENKUlvE_clEvENKUlvE_clEvEUlddE_EEvRNS_18TensorIteratorBaseERKT_EUlibE0_EEviT1_.num_agpr, 0
	.set _ZN2at6native32elementwise_kernel_manual_unrollILi128ELi4EZNS0_15gpu_kernel_implIZZZNS0_12prelu_kernelERNS_14TensorIteratorEENKUlvE_clEvENKUlvE_clEvEUlddE_EEvRNS_18TensorIteratorBaseERKT_EUlibE0_EEviT1_.numbered_sgpr, 60
	.set _ZN2at6native32elementwise_kernel_manual_unrollILi128ELi4EZNS0_15gpu_kernel_implIZZZNS0_12prelu_kernelERNS_14TensorIteratorEENKUlvE_clEvENKUlvE_clEvEUlddE_EEvRNS_18TensorIteratorBaseERKT_EUlibE0_EEviT1_.num_named_barrier, 0
	.set _ZN2at6native32elementwise_kernel_manual_unrollILi128ELi4EZNS0_15gpu_kernel_implIZZZNS0_12prelu_kernelERNS_14TensorIteratorEENKUlvE_clEvENKUlvE_clEvEUlddE_EEvRNS_18TensorIteratorBaseERKT_EUlibE0_EEviT1_.private_seg_size, 0
	.set _ZN2at6native32elementwise_kernel_manual_unrollILi128ELi4EZNS0_15gpu_kernel_implIZZZNS0_12prelu_kernelERNS_14TensorIteratorEENKUlvE_clEvENKUlvE_clEvEUlddE_EEvRNS_18TensorIteratorBaseERKT_EUlibE0_EEviT1_.uses_vcc, 1
	.set _ZN2at6native32elementwise_kernel_manual_unrollILi128ELi4EZNS0_15gpu_kernel_implIZZZNS0_12prelu_kernelERNS_14TensorIteratorEENKUlvE_clEvENKUlvE_clEvEUlddE_EEvRNS_18TensorIteratorBaseERKT_EUlibE0_EEviT1_.uses_flat_scratch, 0
	.set _ZN2at6native32elementwise_kernel_manual_unrollILi128ELi4EZNS0_15gpu_kernel_implIZZZNS0_12prelu_kernelERNS_14TensorIteratorEENKUlvE_clEvENKUlvE_clEvEUlddE_EEvRNS_18TensorIteratorBaseERKT_EUlibE0_EEviT1_.has_dyn_sized_stack, 0
	.set _ZN2at6native32elementwise_kernel_manual_unrollILi128ELi4EZNS0_15gpu_kernel_implIZZZNS0_12prelu_kernelERNS_14TensorIteratorEENKUlvE_clEvENKUlvE_clEvEUlddE_EEvRNS_18TensorIteratorBaseERKT_EUlibE0_EEviT1_.has_recursion, 0
	.set _ZN2at6native32elementwise_kernel_manual_unrollILi128ELi4EZNS0_15gpu_kernel_implIZZZNS0_12prelu_kernelERNS_14TensorIteratorEENKUlvE_clEvENKUlvE_clEvEUlddE_EEvRNS_18TensorIteratorBaseERKT_EUlibE0_EEviT1_.has_indirect_call, 0
	.section	.AMDGPU.csdata,"",@progbits
; Kernel info:
; codeLenInByte = 64892
; TotalNumSgprs: 62
; NumVgprs: 28
; ScratchSize: 0
; MemoryBound: 1
; FloatMode: 240
; IeeeMode: 1
; LDSByteSize: 0 bytes/workgroup (compile time only)
; SGPRBlocks: 0
; VGPRBlocks: 1
; NumSGPRsForWavesPerEU: 62
; NumVGPRsForWavesPerEU: 28
; NamedBarCnt: 0
; Occupancy: 16
; WaveLimiterHint : 1
; COMPUTE_PGM_RSRC2:SCRATCH_EN: 0
; COMPUTE_PGM_RSRC2:USER_SGPR: 2
; COMPUTE_PGM_RSRC2:TRAP_HANDLER: 0
; COMPUTE_PGM_RSRC2:TGID_X_EN: 1
; COMPUTE_PGM_RSRC2:TGID_Y_EN: 0
; COMPUTE_PGM_RSRC2:TGID_Z_EN: 0
; COMPUTE_PGM_RSRC2:TIDIG_COMP_CNT: 0
	.section	.text._ZN2at6native29vectorized_elementwise_kernelILi16EZZZNS0_12prelu_kernelERNS_14TensorIteratorEENKUlvE_clEvENKUlvE0_clEvEUlffE_St5arrayIPcLm3EEEEviT0_T1_,"axG",@progbits,_ZN2at6native29vectorized_elementwise_kernelILi16EZZZNS0_12prelu_kernelERNS_14TensorIteratorEENKUlvE_clEvENKUlvE0_clEvEUlffE_St5arrayIPcLm3EEEEviT0_T1_,comdat
	.globl	_ZN2at6native29vectorized_elementwise_kernelILi16EZZZNS0_12prelu_kernelERNS_14TensorIteratorEENKUlvE_clEvENKUlvE0_clEvEUlffE_St5arrayIPcLm3EEEEviT0_T1_ ; -- Begin function _ZN2at6native29vectorized_elementwise_kernelILi16EZZZNS0_12prelu_kernelERNS_14TensorIteratorEENKUlvE_clEvENKUlvE0_clEvEUlffE_St5arrayIPcLm3EEEEviT0_T1_
	.p2align	8
	.type	_ZN2at6native29vectorized_elementwise_kernelILi16EZZZNS0_12prelu_kernelERNS_14TensorIteratorEENKUlvE_clEvENKUlvE0_clEvEUlffE_St5arrayIPcLm3EEEEviT0_T1_,@function
_ZN2at6native29vectorized_elementwise_kernelILi16EZZZNS0_12prelu_kernelERNS_14TensorIteratorEENKUlvE_clEvENKUlvE0_clEvEUlffE_St5arrayIPcLm3EEEEviT0_T1_: ; @_ZN2at6native29vectorized_elementwise_kernelILi16EZZZNS0_12prelu_kernelERNS_14TensorIteratorEENKUlvE_clEvENKUlvE0_clEvEUlffE_St5arrayIPcLm3EEEEviT0_T1_
; %bb.0:
	s_clause 0x2
	s_load_b32 s3, s[0:1], 0x0
	s_load_b128 s[4:7], s[0:1], 0x8
	s_load_b64 s[8:9], s[0:1], 0x18
	s_wait_xcnt 0x0
	s_bfe_u32 s0, ttmp6, 0x4000c
	s_and_b32 s1, ttmp6, 15
	s_add_co_i32 s0, s0, 1
	s_getreg_b32 s2, hwreg(HW_REG_IB_STS2, 6, 4)
	s_mul_i32 s0, ttmp9, s0
	s_delay_alu instid0(SALU_CYCLE_1) | instskip(SKIP_2) | instid1(SALU_CYCLE_1)
	s_add_co_i32 s1, s1, s0
	s_cmp_eq_u32 s2, 0
	s_cselect_b32 s0, ttmp9, s1
	s_lshl_b32 s2, s0, 10
	s_mov_b32 s0, -1
	s_wait_kmcnt 0x0
	s_sub_co_i32 s1, s3, s2
	s_delay_alu instid0(SALU_CYCLE_1)
	s_cmp_gt_i32 s1, 0x3ff
	s_cbranch_scc0 .LBB8_2
; %bb.1:
	s_ashr_i32 s3, s2, 31
	s_mov_b32 s0, 0
	s_lshl_b64 s[10:11], s[2:3], 2
	s_delay_alu instid0(SALU_CYCLE_1)
	s_add_nc_u64 s[12:13], s[6:7], s[10:11]
	s_add_nc_u64 s[14:15], s[8:9], s[10:11]
	s_clause 0x1
	global_load_b128 v[2:5], v0, s[12:13] scale_offset
	global_load_b128 v[6:9], v0, s[14:15] scale_offset
	s_add_nc_u64 s[10:11], s[4:5], s[10:11]
	s_wait_loadcnt 0x1
	v_cmp_lt_f32_e32 vcc_lo, 0, v3
	s_wait_loadcnt 0x0
	v_pk_mul_f32 v[6:7], v[2:3], v[6:7]
	v_pk_mul_f32 v[8:9], v[4:5], v[8:9]
	s_delay_alu instid0(VALU_DEP_2) | instskip(SKIP_1) | instid1(VALU_DEP_4)
	v_cndmask_b32_e32 v3, v7, v3, vcc_lo
	v_cmp_lt_f32_e32 vcc_lo, 0, v2
	v_cndmask_b32_e32 v2, v6, v2, vcc_lo
	v_cmp_lt_f32_e32 vcc_lo, 0, v5
	;; [unrolled: 2-line block ×3, first 2 shown]
	v_cndmask_b32_e32 v4, v8, v4, vcc_lo
	global_store_b128 v0, v[2:5], s[10:11] scale_offset
.LBB8_2:
	s_and_not1_b32 vcc_lo, exec_lo, s0
	s_cbranch_vccnz .LBB8_16
; %bb.3:
	v_cmp_gt_i32_e32 vcc_lo, s1, v0
	s_wait_xcnt 0x0
	v_dual_mov_b32 v3, 0 :: v_dual_bitop2_b32 v1, s2, v0 bitop3:0x54
	v_or_b32_e32 v2, 0x100, v0
	v_dual_mov_b32 v4, 0 :: v_dual_mov_b32 v5, 0
	v_mov_b32_e32 v8, v0
	s_and_saveexec_b32 s0, vcc_lo
	s_cbranch_execz .LBB8_5
; %bb.4:
	s_clause 0x1
	global_load_b32 v4, v1, s[6:7] scale_offset
	global_load_b32 v5, v1, s[8:9] scale_offset
	v_or_b32_e32 v8, 0x100, v0
.LBB8_5:
	s_wait_xcnt 0x0
	s_or_b32 exec_lo, exec_lo, s0
	v_mov_b32_e32 v7, 0
	s_mov_b32 s3, exec_lo
	v_cmpx_gt_i32_e64 s1, v8
	s_cbranch_execz .LBB8_7
; %bb.6:
	v_add_nc_u32_e32 v6, s2, v8
	v_add_nc_u32_e32 v8, 0x100, v8
	s_clause 0x1
	global_load_b32 v3, v6, s[6:7] scale_offset
	global_load_b32 v7, v6, s[8:9] scale_offset
.LBB8_7:
	s_wait_xcnt 0x0
	s_or_b32 exec_lo, exec_lo, s3
	v_dual_mov_b32 v6, 0 :: v_dual_mov_b32 v9, 0
	v_mov_b32_e32 v10, 0
	s_mov_b32 s3, exec_lo
	v_cmpx_gt_i32_e64 s1, v8
	s_cbranch_execz .LBB8_9
; %bb.8:
	v_add_nc_u32_e32 v11, s2, v8
	v_add_nc_u32_e32 v8, 0x100, v8
	s_clause 0x1
	global_load_b32 v9, v11, s[6:7] scale_offset
	global_load_b32 v10, v11, s[8:9] scale_offset
.LBB8_9:
	s_wait_xcnt 0x0
	s_or_b32 exec_lo, exec_lo, s3
	v_mov_b32_e32 v11, 0
	s_mov_b32 s3, exec_lo
	v_cmpx_gt_i32_e64 s1, v8
	s_cbranch_execz .LBB8_11
; %bb.10:
	v_add_nc_u32_e32 v8, s2, v8
	s_clause 0x1
	global_load_b32 v6, v8, s[6:7] scale_offset
	global_load_b32 v11, v8, s[8:9] scale_offset
.LBB8_11:
	s_wait_xcnt 0x0
	s_or_b32 exec_lo, exec_lo, s3
	s_wait_loadcnt 0x0
	v_dual_mul_f32 v5, v4, v5 :: v_dual_mul_f32 v7, v3, v7
	v_cmp_lt_f32_e64 s0, 0, v4
	v_or_b32_e32 v8, 0x200, v0
	s_delay_alu instid0(VALU_DEP_2) | instskip(SKIP_2) | instid1(VALU_DEP_2)
	v_cndmask_b32_e64 v4, v5, v4, s0
	v_cmp_lt_f32_e64 s0, 0, v3
	v_dual_mul_f32 v5, v9, v10 :: v_dual_mul_f32 v10, v6, v11
	v_cndmask_b32_e64 v3, v7, v3, s0
	v_cmp_lt_f32_e64 s0, 0, v9
	s_delay_alu instid0(VALU_DEP_1) | instskip(SKIP_2) | instid1(VALU_DEP_2)
	v_dual_cndmask_b32 v7, 0, v4, vcc_lo :: v_dual_cndmask_b32 v4, v5, v9, s0
	v_cmp_lt_f32_e64 s0, 0, v6
	v_or_b32_e32 v9, 0x300, v0
	v_cndmask_b32_e64 v6, v10, v6, s0
	v_cmp_gt_i32_e64 s0, s1, v2
	s_delay_alu instid0(VALU_DEP_1) | instskip(SKIP_1) | instid1(VALU_DEP_1)
	v_cndmask_b32_e64 v5, 0, v3, s0
	v_cmp_gt_i32_e64 s0, s1, v8
	v_cndmask_b32_e64 v4, 0, v4, s0
	v_cmp_gt_i32_e64 s0, s1, v9
	s_delay_alu instid0(VALU_DEP_1)
	v_cndmask_b32_e64 v3, 0, v6, s0
	s_and_saveexec_b32 s0, vcc_lo
	s_cbranch_execnz .LBB8_17
; %bb.12:
	s_or_b32 exec_lo, exec_lo, s0
	s_delay_alu instid0(SALU_CYCLE_1)
	s_mov_b32 s0, exec_lo
	v_cmpx_gt_i32_e64 s1, v0
	s_cbranch_execnz .LBB8_18
.LBB8_13:
	s_or_b32 exec_lo, exec_lo, s0
	s_delay_alu instid0(SALU_CYCLE_1)
	s_mov_b32 s0, exec_lo
	v_cmpx_gt_i32_e64 s1, v0
	s_cbranch_execnz .LBB8_19
.LBB8_14:
	s_or_b32 exec_lo, exec_lo, s0
	s_delay_alu instid0(SALU_CYCLE_1)
	s_mov_b32 s0, exec_lo
	v_cmpx_gt_i32_e64 s1, v0
	s_cbranch_execz .LBB8_16
.LBB8_15:
	v_add_nc_u32_e32 v0, s2, v0
	global_store_b32 v0, v3, s[4:5] scale_offset
.LBB8_16:
	s_endpgm
.LBB8_17:
	v_mov_b32_e32 v0, v2
	global_store_b32 v1, v7, s[4:5] scale_offset
	s_wait_xcnt 0x0
	s_or_b32 exec_lo, exec_lo, s0
	s_delay_alu instid0(SALU_CYCLE_1)
	s_mov_b32 s0, exec_lo
	v_cmpx_gt_i32_e64 s1, v0
	s_cbranch_execz .LBB8_13
.LBB8_18:
	v_add_nc_u32_e32 v1, s2, v0
	v_add_nc_u32_e32 v0, 0x100, v0
	global_store_b32 v1, v5, s[4:5] scale_offset
	s_wait_xcnt 0x0
	s_or_b32 exec_lo, exec_lo, s0
	s_delay_alu instid0(SALU_CYCLE_1)
	s_mov_b32 s0, exec_lo
	v_cmpx_gt_i32_e64 s1, v0
	s_cbranch_execz .LBB8_14
.LBB8_19:
	v_add_nc_u32_e32 v1, s2, v0
	v_add_nc_u32_e32 v0, 0x100, v0
	global_store_b32 v1, v4, s[4:5] scale_offset
	s_wait_xcnt 0x0
	s_or_b32 exec_lo, exec_lo, s0
	s_delay_alu instid0(SALU_CYCLE_1)
	s_mov_b32 s0, exec_lo
	v_cmpx_gt_i32_e64 s1, v0
	s_cbranch_execnz .LBB8_15
	s_branch .LBB8_16
	.section	.rodata,"a",@progbits
	.p2align	6, 0x0
	.amdhsa_kernel _ZN2at6native29vectorized_elementwise_kernelILi16EZZZNS0_12prelu_kernelERNS_14TensorIteratorEENKUlvE_clEvENKUlvE0_clEvEUlffE_St5arrayIPcLm3EEEEviT0_T1_
		.amdhsa_group_segment_fixed_size 0
		.amdhsa_private_segment_fixed_size 0
		.amdhsa_kernarg_size 32
		.amdhsa_user_sgpr_count 2
		.amdhsa_user_sgpr_dispatch_ptr 0
		.amdhsa_user_sgpr_queue_ptr 0
		.amdhsa_user_sgpr_kernarg_segment_ptr 1
		.amdhsa_user_sgpr_dispatch_id 0
		.amdhsa_user_sgpr_kernarg_preload_length 0
		.amdhsa_user_sgpr_kernarg_preload_offset 0
		.amdhsa_user_sgpr_private_segment_size 0
		.amdhsa_wavefront_size32 1
		.amdhsa_uses_dynamic_stack 0
		.amdhsa_enable_private_segment 0
		.amdhsa_system_sgpr_workgroup_id_x 1
		.amdhsa_system_sgpr_workgroup_id_y 0
		.amdhsa_system_sgpr_workgroup_id_z 0
		.amdhsa_system_sgpr_workgroup_info 0
		.amdhsa_system_vgpr_workitem_id 0
		.amdhsa_next_free_vgpr 12
		.amdhsa_next_free_sgpr 16
		.amdhsa_named_barrier_count 0
		.amdhsa_reserve_vcc 1
		.amdhsa_float_round_mode_32 0
		.amdhsa_float_round_mode_16_64 0
		.amdhsa_float_denorm_mode_32 3
		.amdhsa_float_denorm_mode_16_64 3
		.amdhsa_fp16_overflow 0
		.amdhsa_memory_ordered 1
		.amdhsa_forward_progress 1
		.amdhsa_inst_pref_size 8
		.amdhsa_round_robin_scheduling 0
		.amdhsa_exception_fp_ieee_invalid_op 0
		.amdhsa_exception_fp_denorm_src 0
		.amdhsa_exception_fp_ieee_div_zero 0
		.amdhsa_exception_fp_ieee_overflow 0
		.amdhsa_exception_fp_ieee_underflow 0
		.amdhsa_exception_fp_ieee_inexact 0
		.amdhsa_exception_int_div_zero 0
	.end_amdhsa_kernel
	.section	.text._ZN2at6native29vectorized_elementwise_kernelILi16EZZZNS0_12prelu_kernelERNS_14TensorIteratorEENKUlvE_clEvENKUlvE0_clEvEUlffE_St5arrayIPcLm3EEEEviT0_T1_,"axG",@progbits,_ZN2at6native29vectorized_elementwise_kernelILi16EZZZNS0_12prelu_kernelERNS_14TensorIteratorEENKUlvE_clEvENKUlvE0_clEvEUlffE_St5arrayIPcLm3EEEEviT0_T1_,comdat
.Lfunc_end8:
	.size	_ZN2at6native29vectorized_elementwise_kernelILi16EZZZNS0_12prelu_kernelERNS_14TensorIteratorEENKUlvE_clEvENKUlvE0_clEvEUlffE_St5arrayIPcLm3EEEEviT0_T1_, .Lfunc_end8-_ZN2at6native29vectorized_elementwise_kernelILi16EZZZNS0_12prelu_kernelERNS_14TensorIteratorEENKUlvE_clEvENKUlvE0_clEvEUlffE_St5arrayIPcLm3EEEEviT0_T1_
                                        ; -- End function
	.set _ZN2at6native29vectorized_elementwise_kernelILi16EZZZNS0_12prelu_kernelERNS_14TensorIteratorEENKUlvE_clEvENKUlvE0_clEvEUlffE_St5arrayIPcLm3EEEEviT0_T1_.num_vgpr, 12
	.set _ZN2at6native29vectorized_elementwise_kernelILi16EZZZNS0_12prelu_kernelERNS_14TensorIteratorEENKUlvE_clEvENKUlvE0_clEvEUlffE_St5arrayIPcLm3EEEEviT0_T1_.num_agpr, 0
	.set _ZN2at6native29vectorized_elementwise_kernelILi16EZZZNS0_12prelu_kernelERNS_14TensorIteratorEENKUlvE_clEvENKUlvE0_clEvEUlffE_St5arrayIPcLm3EEEEviT0_T1_.numbered_sgpr, 16
	.set _ZN2at6native29vectorized_elementwise_kernelILi16EZZZNS0_12prelu_kernelERNS_14TensorIteratorEENKUlvE_clEvENKUlvE0_clEvEUlffE_St5arrayIPcLm3EEEEviT0_T1_.num_named_barrier, 0
	.set _ZN2at6native29vectorized_elementwise_kernelILi16EZZZNS0_12prelu_kernelERNS_14TensorIteratorEENKUlvE_clEvENKUlvE0_clEvEUlffE_St5arrayIPcLm3EEEEviT0_T1_.private_seg_size, 0
	.set _ZN2at6native29vectorized_elementwise_kernelILi16EZZZNS0_12prelu_kernelERNS_14TensorIteratorEENKUlvE_clEvENKUlvE0_clEvEUlffE_St5arrayIPcLm3EEEEviT0_T1_.uses_vcc, 1
	.set _ZN2at6native29vectorized_elementwise_kernelILi16EZZZNS0_12prelu_kernelERNS_14TensorIteratorEENKUlvE_clEvENKUlvE0_clEvEUlffE_St5arrayIPcLm3EEEEviT0_T1_.uses_flat_scratch, 0
	.set _ZN2at6native29vectorized_elementwise_kernelILi16EZZZNS0_12prelu_kernelERNS_14TensorIteratorEENKUlvE_clEvENKUlvE0_clEvEUlffE_St5arrayIPcLm3EEEEviT0_T1_.has_dyn_sized_stack, 0
	.set _ZN2at6native29vectorized_elementwise_kernelILi16EZZZNS0_12prelu_kernelERNS_14TensorIteratorEENKUlvE_clEvENKUlvE0_clEvEUlffE_St5arrayIPcLm3EEEEviT0_T1_.has_recursion, 0
	.set _ZN2at6native29vectorized_elementwise_kernelILi16EZZZNS0_12prelu_kernelERNS_14TensorIteratorEENKUlvE_clEvENKUlvE0_clEvEUlffE_St5arrayIPcLm3EEEEviT0_T1_.has_indirect_call, 0
	.section	.AMDGPU.csdata,"",@progbits
; Kernel info:
; codeLenInByte = 960
; TotalNumSgprs: 18
; NumVgprs: 12
; ScratchSize: 0
; MemoryBound: 0
; FloatMode: 240
; IeeeMode: 1
; LDSByteSize: 0 bytes/workgroup (compile time only)
; SGPRBlocks: 0
; VGPRBlocks: 0
; NumSGPRsForWavesPerEU: 18
; NumVGPRsForWavesPerEU: 12
; NamedBarCnt: 0
; Occupancy: 16
; WaveLimiterHint : 0
; COMPUTE_PGM_RSRC2:SCRATCH_EN: 0
; COMPUTE_PGM_RSRC2:USER_SGPR: 2
; COMPUTE_PGM_RSRC2:TRAP_HANDLER: 0
; COMPUTE_PGM_RSRC2:TGID_X_EN: 1
; COMPUTE_PGM_RSRC2:TGID_Y_EN: 0
; COMPUTE_PGM_RSRC2:TGID_Z_EN: 0
; COMPUTE_PGM_RSRC2:TIDIG_COMP_CNT: 0
	.section	.text._ZN2at6native29vectorized_elementwise_kernelILi8EZZZNS0_12prelu_kernelERNS_14TensorIteratorEENKUlvE_clEvENKUlvE0_clEvEUlffE_St5arrayIPcLm3EEEEviT0_T1_,"axG",@progbits,_ZN2at6native29vectorized_elementwise_kernelILi8EZZZNS0_12prelu_kernelERNS_14TensorIteratorEENKUlvE_clEvENKUlvE0_clEvEUlffE_St5arrayIPcLm3EEEEviT0_T1_,comdat
	.globl	_ZN2at6native29vectorized_elementwise_kernelILi8EZZZNS0_12prelu_kernelERNS_14TensorIteratorEENKUlvE_clEvENKUlvE0_clEvEUlffE_St5arrayIPcLm3EEEEviT0_T1_ ; -- Begin function _ZN2at6native29vectorized_elementwise_kernelILi8EZZZNS0_12prelu_kernelERNS_14TensorIteratorEENKUlvE_clEvENKUlvE0_clEvEUlffE_St5arrayIPcLm3EEEEviT0_T1_
	.p2align	8
	.type	_ZN2at6native29vectorized_elementwise_kernelILi8EZZZNS0_12prelu_kernelERNS_14TensorIteratorEENKUlvE_clEvENKUlvE0_clEvEUlffE_St5arrayIPcLm3EEEEviT0_T1_,@function
_ZN2at6native29vectorized_elementwise_kernelILi8EZZZNS0_12prelu_kernelERNS_14TensorIteratorEENKUlvE_clEvENKUlvE0_clEvEUlffE_St5arrayIPcLm3EEEEviT0_T1_: ; @_ZN2at6native29vectorized_elementwise_kernelILi8EZZZNS0_12prelu_kernelERNS_14TensorIteratorEENKUlvE_clEvENKUlvE0_clEvEUlffE_St5arrayIPcLm3EEEEviT0_T1_
; %bb.0:
	s_clause 0x2
	s_load_b32 s3, s[0:1], 0x0
	s_load_b128 s[4:7], s[0:1], 0x8
	s_load_b64 s[8:9], s[0:1], 0x18
	s_wait_xcnt 0x0
	s_bfe_u32 s0, ttmp6, 0x4000c
	s_and_b32 s1, ttmp6, 15
	s_add_co_i32 s0, s0, 1
	s_getreg_b32 s2, hwreg(HW_REG_IB_STS2, 6, 4)
	s_mul_i32 s0, ttmp9, s0
	s_delay_alu instid0(SALU_CYCLE_1) | instskip(SKIP_2) | instid1(SALU_CYCLE_1)
	s_add_co_i32 s1, s1, s0
	s_cmp_eq_u32 s2, 0
	s_cselect_b32 s0, ttmp9, s1
	s_lshl_b32 s2, s0, 10
	s_mov_b32 s0, -1
	s_wait_kmcnt 0x0
	s_sub_co_i32 s1, s3, s2
	s_delay_alu instid0(SALU_CYCLE_1)
	s_cmp_gt_i32 s1, 0x3ff
	s_cbranch_scc0 .LBB9_2
; %bb.1:
	s_ashr_i32 s3, s2, 31
	s_mov_b32 s0, 0
	s_lshl_b64 s[10:11], s[2:3], 2
	s_delay_alu instid0(SALU_CYCLE_1)
	s_add_nc_u64 s[12:13], s[6:7], s[10:11]
	s_add_nc_u64 s[14:15], s[8:9], s[10:11]
	s_clause 0x1
	global_load_b128 v[2:5], v0, s[12:13] scale_offset
	global_load_b128 v[6:9], v0, s[14:15] scale_offset
	s_add_nc_u64 s[10:11], s[4:5], s[10:11]
	s_wait_loadcnt 0x1
	v_cmp_lt_f32_e32 vcc_lo, 0, v3
	s_wait_loadcnt 0x0
	v_pk_mul_f32 v[6:7], v[2:3], v[6:7]
	v_pk_mul_f32 v[8:9], v[4:5], v[8:9]
	s_delay_alu instid0(VALU_DEP_2) | instskip(SKIP_1) | instid1(VALU_DEP_4)
	v_cndmask_b32_e32 v3, v7, v3, vcc_lo
	v_cmp_lt_f32_e32 vcc_lo, 0, v2
	v_cndmask_b32_e32 v2, v6, v2, vcc_lo
	v_cmp_lt_f32_e32 vcc_lo, 0, v5
	;; [unrolled: 2-line block ×3, first 2 shown]
	v_cndmask_b32_e32 v4, v8, v4, vcc_lo
	global_store_b128 v0, v[2:5], s[10:11] scale_offset
.LBB9_2:
	s_and_not1_b32 vcc_lo, exec_lo, s0
	s_cbranch_vccnz .LBB9_16
; %bb.3:
	v_cmp_gt_i32_e32 vcc_lo, s1, v0
	s_wait_xcnt 0x0
	v_dual_mov_b32 v3, 0 :: v_dual_bitop2_b32 v1, s2, v0 bitop3:0x54
	v_or_b32_e32 v2, 0x100, v0
	v_dual_mov_b32 v4, 0 :: v_dual_mov_b32 v5, 0
	v_mov_b32_e32 v8, v0
	s_and_saveexec_b32 s0, vcc_lo
	s_cbranch_execz .LBB9_5
; %bb.4:
	s_clause 0x1
	global_load_b32 v4, v1, s[6:7] scale_offset
	global_load_b32 v5, v1, s[8:9] scale_offset
	v_or_b32_e32 v8, 0x100, v0
.LBB9_5:
	s_wait_xcnt 0x0
	s_or_b32 exec_lo, exec_lo, s0
	v_mov_b32_e32 v7, 0
	s_mov_b32 s3, exec_lo
	v_cmpx_gt_i32_e64 s1, v8
	s_cbranch_execz .LBB9_7
; %bb.6:
	v_add_nc_u32_e32 v6, s2, v8
	v_add_nc_u32_e32 v8, 0x100, v8
	s_clause 0x1
	global_load_b32 v3, v6, s[6:7] scale_offset
	global_load_b32 v7, v6, s[8:9] scale_offset
.LBB9_7:
	s_wait_xcnt 0x0
	s_or_b32 exec_lo, exec_lo, s3
	v_dual_mov_b32 v6, 0 :: v_dual_mov_b32 v9, 0
	v_mov_b32_e32 v10, 0
	s_mov_b32 s3, exec_lo
	v_cmpx_gt_i32_e64 s1, v8
	s_cbranch_execz .LBB9_9
; %bb.8:
	v_add_nc_u32_e32 v11, s2, v8
	v_add_nc_u32_e32 v8, 0x100, v8
	s_clause 0x1
	global_load_b32 v9, v11, s[6:7] scale_offset
	global_load_b32 v10, v11, s[8:9] scale_offset
.LBB9_9:
	s_wait_xcnt 0x0
	s_or_b32 exec_lo, exec_lo, s3
	v_mov_b32_e32 v11, 0
	s_mov_b32 s3, exec_lo
	v_cmpx_gt_i32_e64 s1, v8
	s_cbranch_execz .LBB9_11
; %bb.10:
	v_add_nc_u32_e32 v8, s2, v8
	s_clause 0x1
	global_load_b32 v6, v8, s[6:7] scale_offset
	global_load_b32 v11, v8, s[8:9] scale_offset
.LBB9_11:
	s_wait_xcnt 0x0
	s_or_b32 exec_lo, exec_lo, s3
	s_wait_loadcnt 0x0
	v_dual_mul_f32 v5, v4, v5 :: v_dual_mul_f32 v7, v3, v7
	v_cmp_lt_f32_e64 s0, 0, v4
	v_or_b32_e32 v8, 0x200, v0
	s_delay_alu instid0(VALU_DEP_2) | instskip(SKIP_2) | instid1(VALU_DEP_2)
	v_cndmask_b32_e64 v4, v5, v4, s0
	v_cmp_lt_f32_e64 s0, 0, v3
	v_dual_mul_f32 v5, v9, v10 :: v_dual_mul_f32 v10, v6, v11
	v_cndmask_b32_e64 v3, v7, v3, s0
	v_cmp_lt_f32_e64 s0, 0, v9
	s_delay_alu instid0(VALU_DEP_1) | instskip(SKIP_2) | instid1(VALU_DEP_2)
	v_dual_cndmask_b32 v7, 0, v4, vcc_lo :: v_dual_cndmask_b32 v4, v5, v9, s0
	v_cmp_lt_f32_e64 s0, 0, v6
	v_or_b32_e32 v9, 0x300, v0
	v_cndmask_b32_e64 v6, v10, v6, s0
	v_cmp_gt_i32_e64 s0, s1, v2
	s_delay_alu instid0(VALU_DEP_1) | instskip(SKIP_1) | instid1(VALU_DEP_1)
	v_cndmask_b32_e64 v5, 0, v3, s0
	v_cmp_gt_i32_e64 s0, s1, v8
	v_cndmask_b32_e64 v4, 0, v4, s0
	v_cmp_gt_i32_e64 s0, s1, v9
	s_delay_alu instid0(VALU_DEP_1)
	v_cndmask_b32_e64 v3, 0, v6, s0
	s_and_saveexec_b32 s0, vcc_lo
	s_cbranch_execnz .LBB9_17
; %bb.12:
	s_or_b32 exec_lo, exec_lo, s0
	s_delay_alu instid0(SALU_CYCLE_1)
	s_mov_b32 s0, exec_lo
	v_cmpx_gt_i32_e64 s1, v0
	s_cbranch_execnz .LBB9_18
.LBB9_13:
	s_or_b32 exec_lo, exec_lo, s0
	s_delay_alu instid0(SALU_CYCLE_1)
	s_mov_b32 s0, exec_lo
	v_cmpx_gt_i32_e64 s1, v0
	s_cbranch_execnz .LBB9_19
.LBB9_14:
	s_or_b32 exec_lo, exec_lo, s0
	s_delay_alu instid0(SALU_CYCLE_1)
	s_mov_b32 s0, exec_lo
	v_cmpx_gt_i32_e64 s1, v0
	s_cbranch_execz .LBB9_16
.LBB9_15:
	v_add_nc_u32_e32 v0, s2, v0
	global_store_b32 v0, v3, s[4:5] scale_offset
.LBB9_16:
	s_endpgm
.LBB9_17:
	v_mov_b32_e32 v0, v2
	global_store_b32 v1, v7, s[4:5] scale_offset
	s_wait_xcnt 0x0
	s_or_b32 exec_lo, exec_lo, s0
	s_delay_alu instid0(SALU_CYCLE_1)
	s_mov_b32 s0, exec_lo
	v_cmpx_gt_i32_e64 s1, v0
	s_cbranch_execz .LBB9_13
.LBB9_18:
	v_add_nc_u32_e32 v1, s2, v0
	v_add_nc_u32_e32 v0, 0x100, v0
	global_store_b32 v1, v5, s[4:5] scale_offset
	s_wait_xcnt 0x0
	s_or_b32 exec_lo, exec_lo, s0
	s_delay_alu instid0(SALU_CYCLE_1)
	s_mov_b32 s0, exec_lo
	v_cmpx_gt_i32_e64 s1, v0
	s_cbranch_execz .LBB9_14
.LBB9_19:
	v_add_nc_u32_e32 v1, s2, v0
	v_add_nc_u32_e32 v0, 0x100, v0
	global_store_b32 v1, v4, s[4:5] scale_offset
	s_wait_xcnt 0x0
	s_or_b32 exec_lo, exec_lo, s0
	s_delay_alu instid0(SALU_CYCLE_1)
	s_mov_b32 s0, exec_lo
	v_cmpx_gt_i32_e64 s1, v0
	s_cbranch_execnz .LBB9_15
	s_branch .LBB9_16
	.section	.rodata,"a",@progbits
	.p2align	6, 0x0
	.amdhsa_kernel _ZN2at6native29vectorized_elementwise_kernelILi8EZZZNS0_12prelu_kernelERNS_14TensorIteratorEENKUlvE_clEvENKUlvE0_clEvEUlffE_St5arrayIPcLm3EEEEviT0_T1_
		.amdhsa_group_segment_fixed_size 0
		.amdhsa_private_segment_fixed_size 0
		.amdhsa_kernarg_size 32
		.amdhsa_user_sgpr_count 2
		.amdhsa_user_sgpr_dispatch_ptr 0
		.amdhsa_user_sgpr_queue_ptr 0
		.amdhsa_user_sgpr_kernarg_segment_ptr 1
		.amdhsa_user_sgpr_dispatch_id 0
		.amdhsa_user_sgpr_kernarg_preload_length 0
		.amdhsa_user_sgpr_kernarg_preload_offset 0
		.amdhsa_user_sgpr_private_segment_size 0
		.amdhsa_wavefront_size32 1
		.amdhsa_uses_dynamic_stack 0
		.amdhsa_enable_private_segment 0
		.amdhsa_system_sgpr_workgroup_id_x 1
		.amdhsa_system_sgpr_workgroup_id_y 0
		.amdhsa_system_sgpr_workgroup_id_z 0
		.amdhsa_system_sgpr_workgroup_info 0
		.amdhsa_system_vgpr_workitem_id 0
		.amdhsa_next_free_vgpr 12
		.amdhsa_next_free_sgpr 16
		.amdhsa_named_barrier_count 0
		.amdhsa_reserve_vcc 1
		.amdhsa_float_round_mode_32 0
		.amdhsa_float_round_mode_16_64 0
		.amdhsa_float_denorm_mode_32 3
		.amdhsa_float_denorm_mode_16_64 3
		.amdhsa_fp16_overflow 0
		.amdhsa_memory_ordered 1
		.amdhsa_forward_progress 1
		.amdhsa_inst_pref_size 8
		.amdhsa_round_robin_scheduling 0
		.amdhsa_exception_fp_ieee_invalid_op 0
		.amdhsa_exception_fp_denorm_src 0
		.amdhsa_exception_fp_ieee_div_zero 0
		.amdhsa_exception_fp_ieee_overflow 0
		.amdhsa_exception_fp_ieee_underflow 0
		.amdhsa_exception_fp_ieee_inexact 0
		.amdhsa_exception_int_div_zero 0
	.end_amdhsa_kernel
	.section	.text._ZN2at6native29vectorized_elementwise_kernelILi8EZZZNS0_12prelu_kernelERNS_14TensorIteratorEENKUlvE_clEvENKUlvE0_clEvEUlffE_St5arrayIPcLm3EEEEviT0_T1_,"axG",@progbits,_ZN2at6native29vectorized_elementwise_kernelILi8EZZZNS0_12prelu_kernelERNS_14TensorIteratorEENKUlvE_clEvENKUlvE0_clEvEUlffE_St5arrayIPcLm3EEEEviT0_T1_,comdat
.Lfunc_end9:
	.size	_ZN2at6native29vectorized_elementwise_kernelILi8EZZZNS0_12prelu_kernelERNS_14TensorIteratorEENKUlvE_clEvENKUlvE0_clEvEUlffE_St5arrayIPcLm3EEEEviT0_T1_, .Lfunc_end9-_ZN2at6native29vectorized_elementwise_kernelILi8EZZZNS0_12prelu_kernelERNS_14TensorIteratorEENKUlvE_clEvENKUlvE0_clEvEUlffE_St5arrayIPcLm3EEEEviT0_T1_
                                        ; -- End function
	.set _ZN2at6native29vectorized_elementwise_kernelILi8EZZZNS0_12prelu_kernelERNS_14TensorIteratorEENKUlvE_clEvENKUlvE0_clEvEUlffE_St5arrayIPcLm3EEEEviT0_T1_.num_vgpr, 12
	.set _ZN2at6native29vectorized_elementwise_kernelILi8EZZZNS0_12prelu_kernelERNS_14TensorIteratorEENKUlvE_clEvENKUlvE0_clEvEUlffE_St5arrayIPcLm3EEEEviT0_T1_.num_agpr, 0
	.set _ZN2at6native29vectorized_elementwise_kernelILi8EZZZNS0_12prelu_kernelERNS_14TensorIteratorEENKUlvE_clEvENKUlvE0_clEvEUlffE_St5arrayIPcLm3EEEEviT0_T1_.numbered_sgpr, 16
	.set _ZN2at6native29vectorized_elementwise_kernelILi8EZZZNS0_12prelu_kernelERNS_14TensorIteratorEENKUlvE_clEvENKUlvE0_clEvEUlffE_St5arrayIPcLm3EEEEviT0_T1_.num_named_barrier, 0
	.set _ZN2at6native29vectorized_elementwise_kernelILi8EZZZNS0_12prelu_kernelERNS_14TensorIteratorEENKUlvE_clEvENKUlvE0_clEvEUlffE_St5arrayIPcLm3EEEEviT0_T1_.private_seg_size, 0
	.set _ZN2at6native29vectorized_elementwise_kernelILi8EZZZNS0_12prelu_kernelERNS_14TensorIteratorEENKUlvE_clEvENKUlvE0_clEvEUlffE_St5arrayIPcLm3EEEEviT0_T1_.uses_vcc, 1
	.set _ZN2at6native29vectorized_elementwise_kernelILi8EZZZNS0_12prelu_kernelERNS_14TensorIteratorEENKUlvE_clEvENKUlvE0_clEvEUlffE_St5arrayIPcLm3EEEEviT0_T1_.uses_flat_scratch, 0
	.set _ZN2at6native29vectorized_elementwise_kernelILi8EZZZNS0_12prelu_kernelERNS_14TensorIteratorEENKUlvE_clEvENKUlvE0_clEvEUlffE_St5arrayIPcLm3EEEEviT0_T1_.has_dyn_sized_stack, 0
	.set _ZN2at6native29vectorized_elementwise_kernelILi8EZZZNS0_12prelu_kernelERNS_14TensorIteratorEENKUlvE_clEvENKUlvE0_clEvEUlffE_St5arrayIPcLm3EEEEviT0_T1_.has_recursion, 0
	.set _ZN2at6native29vectorized_elementwise_kernelILi8EZZZNS0_12prelu_kernelERNS_14TensorIteratorEENKUlvE_clEvENKUlvE0_clEvEUlffE_St5arrayIPcLm3EEEEviT0_T1_.has_indirect_call, 0
	.section	.AMDGPU.csdata,"",@progbits
; Kernel info:
; codeLenInByte = 960
; TotalNumSgprs: 18
; NumVgprs: 12
; ScratchSize: 0
; MemoryBound: 0
; FloatMode: 240
; IeeeMode: 1
; LDSByteSize: 0 bytes/workgroup (compile time only)
; SGPRBlocks: 0
; VGPRBlocks: 0
; NumSGPRsForWavesPerEU: 18
; NumVGPRsForWavesPerEU: 12
; NamedBarCnt: 0
; Occupancy: 16
; WaveLimiterHint : 0
; COMPUTE_PGM_RSRC2:SCRATCH_EN: 0
; COMPUTE_PGM_RSRC2:USER_SGPR: 2
; COMPUTE_PGM_RSRC2:TRAP_HANDLER: 0
; COMPUTE_PGM_RSRC2:TGID_X_EN: 1
; COMPUTE_PGM_RSRC2:TGID_Y_EN: 0
; COMPUTE_PGM_RSRC2:TGID_Z_EN: 0
; COMPUTE_PGM_RSRC2:TIDIG_COMP_CNT: 0
	.section	.text._ZN2at6native29vectorized_elementwise_kernelILi4EZZZNS0_12prelu_kernelERNS_14TensorIteratorEENKUlvE_clEvENKUlvE0_clEvEUlffE_St5arrayIPcLm3EEEEviT0_T1_,"axG",@progbits,_ZN2at6native29vectorized_elementwise_kernelILi4EZZZNS0_12prelu_kernelERNS_14TensorIteratorEENKUlvE_clEvENKUlvE0_clEvEUlffE_St5arrayIPcLm3EEEEviT0_T1_,comdat
	.globl	_ZN2at6native29vectorized_elementwise_kernelILi4EZZZNS0_12prelu_kernelERNS_14TensorIteratorEENKUlvE_clEvENKUlvE0_clEvEUlffE_St5arrayIPcLm3EEEEviT0_T1_ ; -- Begin function _ZN2at6native29vectorized_elementwise_kernelILi4EZZZNS0_12prelu_kernelERNS_14TensorIteratorEENKUlvE_clEvENKUlvE0_clEvEUlffE_St5arrayIPcLm3EEEEviT0_T1_
	.p2align	8
	.type	_ZN2at6native29vectorized_elementwise_kernelILi4EZZZNS0_12prelu_kernelERNS_14TensorIteratorEENKUlvE_clEvENKUlvE0_clEvEUlffE_St5arrayIPcLm3EEEEviT0_T1_,@function
_ZN2at6native29vectorized_elementwise_kernelILi4EZZZNS0_12prelu_kernelERNS_14TensorIteratorEENKUlvE_clEvENKUlvE0_clEvEUlffE_St5arrayIPcLm3EEEEviT0_T1_: ; @_ZN2at6native29vectorized_elementwise_kernelILi4EZZZNS0_12prelu_kernelERNS_14TensorIteratorEENKUlvE_clEvENKUlvE0_clEvEUlffE_St5arrayIPcLm3EEEEviT0_T1_
; %bb.0:
	s_clause 0x2
	s_load_b32 s3, s[0:1], 0x0
	s_load_b128 s[4:7], s[0:1], 0x8
	s_load_b64 s[8:9], s[0:1], 0x18
	s_wait_xcnt 0x0
	s_bfe_u32 s0, ttmp6, 0x4000c
	s_and_b32 s1, ttmp6, 15
	s_add_co_i32 s0, s0, 1
	s_getreg_b32 s2, hwreg(HW_REG_IB_STS2, 6, 4)
	s_mul_i32 s0, ttmp9, s0
	s_delay_alu instid0(SALU_CYCLE_1) | instskip(SKIP_2) | instid1(SALU_CYCLE_1)
	s_add_co_i32 s1, s1, s0
	s_cmp_eq_u32 s2, 0
	s_cselect_b32 s0, ttmp9, s1
	s_lshl_b32 s2, s0, 10
	s_mov_b32 s0, -1
	s_wait_kmcnt 0x0
	s_sub_co_i32 s1, s3, s2
	s_delay_alu instid0(SALU_CYCLE_1)
	s_cmp_gt_i32 s1, 0x3ff
	s_cbranch_scc0 .LBB10_2
; %bb.1:
	s_ashr_i32 s3, s2, 31
	s_mov_b32 s0, 0
	s_lshl_b64 s[10:11], s[2:3], 2
	s_delay_alu instid0(SALU_CYCLE_1)
	s_add_nc_u64 s[12:13], s[6:7], s[10:11]
	s_add_nc_u64 s[14:15], s[8:9], s[10:11]
	s_clause 0x1
	global_load_b128 v[2:5], v0, s[12:13] scale_offset
	global_load_b128 v[6:9], v0, s[14:15] scale_offset
	s_add_nc_u64 s[10:11], s[4:5], s[10:11]
	s_wait_loadcnt 0x1
	v_cmp_lt_f32_e32 vcc_lo, 0, v3
	s_wait_loadcnt 0x0
	v_pk_mul_f32 v[6:7], v[2:3], v[6:7]
	v_pk_mul_f32 v[8:9], v[4:5], v[8:9]
	s_delay_alu instid0(VALU_DEP_2) | instskip(SKIP_1) | instid1(VALU_DEP_4)
	v_cndmask_b32_e32 v3, v7, v3, vcc_lo
	v_cmp_lt_f32_e32 vcc_lo, 0, v2
	v_cndmask_b32_e32 v2, v6, v2, vcc_lo
	v_cmp_lt_f32_e32 vcc_lo, 0, v5
	;; [unrolled: 2-line block ×3, first 2 shown]
	v_cndmask_b32_e32 v4, v8, v4, vcc_lo
	global_store_b128 v0, v[2:5], s[10:11] scale_offset
.LBB10_2:
	s_and_not1_b32 vcc_lo, exec_lo, s0
	s_cbranch_vccnz .LBB10_16
; %bb.3:
	v_cmp_gt_i32_e32 vcc_lo, s1, v0
	s_wait_xcnt 0x0
	v_dual_mov_b32 v3, 0 :: v_dual_bitop2_b32 v1, s2, v0 bitop3:0x54
	v_or_b32_e32 v2, 0x100, v0
	v_dual_mov_b32 v4, 0 :: v_dual_mov_b32 v5, 0
	v_mov_b32_e32 v8, v0
	s_and_saveexec_b32 s0, vcc_lo
	s_cbranch_execz .LBB10_5
; %bb.4:
	s_clause 0x1
	global_load_b32 v4, v1, s[6:7] scale_offset
	global_load_b32 v5, v1, s[8:9] scale_offset
	v_or_b32_e32 v8, 0x100, v0
.LBB10_5:
	s_wait_xcnt 0x0
	s_or_b32 exec_lo, exec_lo, s0
	v_mov_b32_e32 v7, 0
	s_mov_b32 s3, exec_lo
	v_cmpx_gt_i32_e64 s1, v8
	s_cbranch_execz .LBB10_7
; %bb.6:
	v_add_nc_u32_e32 v6, s2, v8
	v_add_nc_u32_e32 v8, 0x100, v8
	s_clause 0x1
	global_load_b32 v3, v6, s[6:7] scale_offset
	global_load_b32 v7, v6, s[8:9] scale_offset
.LBB10_7:
	s_wait_xcnt 0x0
	s_or_b32 exec_lo, exec_lo, s3
	v_dual_mov_b32 v6, 0 :: v_dual_mov_b32 v9, 0
	v_mov_b32_e32 v10, 0
	s_mov_b32 s3, exec_lo
	v_cmpx_gt_i32_e64 s1, v8
	s_cbranch_execz .LBB10_9
; %bb.8:
	v_add_nc_u32_e32 v11, s2, v8
	v_add_nc_u32_e32 v8, 0x100, v8
	s_clause 0x1
	global_load_b32 v9, v11, s[6:7] scale_offset
	global_load_b32 v10, v11, s[8:9] scale_offset
.LBB10_9:
	s_wait_xcnt 0x0
	s_or_b32 exec_lo, exec_lo, s3
	v_mov_b32_e32 v11, 0
	s_mov_b32 s3, exec_lo
	v_cmpx_gt_i32_e64 s1, v8
	s_cbranch_execz .LBB10_11
; %bb.10:
	v_add_nc_u32_e32 v8, s2, v8
	s_clause 0x1
	global_load_b32 v6, v8, s[6:7] scale_offset
	global_load_b32 v11, v8, s[8:9] scale_offset
.LBB10_11:
	s_wait_xcnt 0x0
	s_or_b32 exec_lo, exec_lo, s3
	s_wait_loadcnt 0x0
	v_dual_mul_f32 v5, v4, v5 :: v_dual_mul_f32 v7, v3, v7
	v_cmp_lt_f32_e64 s0, 0, v4
	v_or_b32_e32 v8, 0x200, v0
	s_delay_alu instid0(VALU_DEP_2) | instskip(SKIP_2) | instid1(VALU_DEP_2)
	v_cndmask_b32_e64 v4, v5, v4, s0
	v_cmp_lt_f32_e64 s0, 0, v3
	v_dual_mul_f32 v5, v9, v10 :: v_dual_mul_f32 v10, v6, v11
	v_cndmask_b32_e64 v3, v7, v3, s0
	v_cmp_lt_f32_e64 s0, 0, v9
	s_delay_alu instid0(VALU_DEP_1) | instskip(SKIP_2) | instid1(VALU_DEP_2)
	v_dual_cndmask_b32 v7, 0, v4, vcc_lo :: v_dual_cndmask_b32 v4, v5, v9, s0
	v_cmp_lt_f32_e64 s0, 0, v6
	v_or_b32_e32 v9, 0x300, v0
	v_cndmask_b32_e64 v6, v10, v6, s0
	v_cmp_gt_i32_e64 s0, s1, v2
	s_delay_alu instid0(VALU_DEP_1) | instskip(SKIP_1) | instid1(VALU_DEP_1)
	v_cndmask_b32_e64 v5, 0, v3, s0
	v_cmp_gt_i32_e64 s0, s1, v8
	v_cndmask_b32_e64 v4, 0, v4, s0
	v_cmp_gt_i32_e64 s0, s1, v9
	s_delay_alu instid0(VALU_DEP_1)
	v_cndmask_b32_e64 v3, 0, v6, s0
	s_and_saveexec_b32 s0, vcc_lo
	s_cbranch_execnz .LBB10_17
; %bb.12:
	s_or_b32 exec_lo, exec_lo, s0
	s_delay_alu instid0(SALU_CYCLE_1)
	s_mov_b32 s0, exec_lo
	v_cmpx_gt_i32_e64 s1, v0
	s_cbranch_execnz .LBB10_18
.LBB10_13:
	s_or_b32 exec_lo, exec_lo, s0
	s_delay_alu instid0(SALU_CYCLE_1)
	s_mov_b32 s0, exec_lo
	v_cmpx_gt_i32_e64 s1, v0
	s_cbranch_execnz .LBB10_19
.LBB10_14:
	s_or_b32 exec_lo, exec_lo, s0
	s_delay_alu instid0(SALU_CYCLE_1)
	s_mov_b32 s0, exec_lo
	v_cmpx_gt_i32_e64 s1, v0
	s_cbranch_execz .LBB10_16
.LBB10_15:
	v_add_nc_u32_e32 v0, s2, v0
	global_store_b32 v0, v3, s[4:5] scale_offset
.LBB10_16:
	s_endpgm
.LBB10_17:
	v_mov_b32_e32 v0, v2
	global_store_b32 v1, v7, s[4:5] scale_offset
	s_wait_xcnt 0x0
	s_or_b32 exec_lo, exec_lo, s0
	s_delay_alu instid0(SALU_CYCLE_1)
	s_mov_b32 s0, exec_lo
	v_cmpx_gt_i32_e64 s1, v0
	s_cbranch_execz .LBB10_13
.LBB10_18:
	v_add_nc_u32_e32 v1, s2, v0
	v_add_nc_u32_e32 v0, 0x100, v0
	global_store_b32 v1, v5, s[4:5] scale_offset
	s_wait_xcnt 0x0
	s_or_b32 exec_lo, exec_lo, s0
	s_delay_alu instid0(SALU_CYCLE_1)
	s_mov_b32 s0, exec_lo
	v_cmpx_gt_i32_e64 s1, v0
	s_cbranch_execz .LBB10_14
.LBB10_19:
	v_add_nc_u32_e32 v1, s2, v0
	v_add_nc_u32_e32 v0, 0x100, v0
	global_store_b32 v1, v4, s[4:5] scale_offset
	s_wait_xcnt 0x0
	s_or_b32 exec_lo, exec_lo, s0
	s_delay_alu instid0(SALU_CYCLE_1)
	s_mov_b32 s0, exec_lo
	v_cmpx_gt_i32_e64 s1, v0
	s_cbranch_execnz .LBB10_15
	s_branch .LBB10_16
	.section	.rodata,"a",@progbits
	.p2align	6, 0x0
	.amdhsa_kernel _ZN2at6native29vectorized_elementwise_kernelILi4EZZZNS0_12prelu_kernelERNS_14TensorIteratorEENKUlvE_clEvENKUlvE0_clEvEUlffE_St5arrayIPcLm3EEEEviT0_T1_
		.amdhsa_group_segment_fixed_size 0
		.amdhsa_private_segment_fixed_size 0
		.amdhsa_kernarg_size 32
		.amdhsa_user_sgpr_count 2
		.amdhsa_user_sgpr_dispatch_ptr 0
		.amdhsa_user_sgpr_queue_ptr 0
		.amdhsa_user_sgpr_kernarg_segment_ptr 1
		.amdhsa_user_sgpr_dispatch_id 0
		.amdhsa_user_sgpr_kernarg_preload_length 0
		.amdhsa_user_sgpr_kernarg_preload_offset 0
		.amdhsa_user_sgpr_private_segment_size 0
		.amdhsa_wavefront_size32 1
		.amdhsa_uses_dynamic_stack 0
		.amdhsa_enable_private_segment 0
		.amdhsa_system_sgpr_workgroup_id_x 1
		.amdhsa_system_sgpr_workgroup_id_y 0
		.amdhsa_system_sgpr_workgroup_id_z 0
		.amdhsa_system_sgpr_workgroup_info 0
		.amdhsa_system_vgpr_workitem_id 0
		.amdhsa_next_free_vgpr 12
		.amdhsa_next_free_sgpr 16
		.amdhsa_named_barrier_count 0
		.amdhsa_reserve_vcc 1
		.amdhsa_float_round_mode_32 0
		.amdhsa_float_round_mode_16_64 0
		.amdhsa_float_denorm_mode_32 3
		.amdhsa_float_denorm_mode_16_64 3
		.amdhsa_fp16_overflow 0
		.amdhsa_memory_ordered 1
		.amdhsa_forward_progress 1
		.amdhsa_inst_pref_size 8
		.amdhsa_round_robin_scheduling 0
		.amdhsa_exception_fp_ieee_invalid_op 0
		.amdhsa_exception_fp_denorm_src 0
		.amdhsa_exception_fp_ieee_div_zero 0
		.amdhsa_exception_fp_ieee_overflow 0
		.amdhsa_exception_fp_ieee_underflow 0
		.amdhsa_exception_fp_ieee_inexact 0
		.amdhsa_exception_int_div_zero 0
	.end_amdhsa_kernel
	.section	.text._ZN2at6native29vectorized_elementwise_kernelILi4EZZZNS0_12prelu_kernelERNS_14TensorIteratorEENKUlvE_clEvENKUlvE0_clEvEUlffE_St5arrayIPcLm3EEEEviT0_T1_,"axG",@progbits,_ZN2at6native29vectorized_elementwise_kernelILi4EZZZNS0_12prelu_kernelERNS_14TensorIteratorEENKUlvE_clEvENKUlvE0_clEvEUlffE_St5arrayIPcLm3EEEEviT0_T1_,comdat
.Lfunc_end10:
	.size	_ZN2at6native29vectorized_elementwise_kernelILi4EZZZNS0_12prelu_kernelERNS_14TensorIteratorEENKUlvE_clEvENKUlvE0_clEvEUlffE_St5arrayIPcLm3EEEEviT0_T1_, .Lfunc_end10-_ZN2at6native29vectorized_elementwise_kernelILi4EZZZNS0_12prelu_kernelERNS_14TensorIteratorEENKUlvE_clEvENKUlvE0_clEvEUlffE_St5arrayIPcLm3EEEEviT0_T1_
                                        ; -- End function
	.set _ZN2at6native29vectorized_elementwise_kernelILi4EZZZNS0_12prelu_kernelERNS_14TensorIteratorEENKUlvE_clEvENKUlvE0_clEvEUlffE_St5arrayIPcLm3EEEEviT0_T1_.num_vgpr, 12
	.set _ZN2at6native29vectorized_elementwise_kernelILi4EZZZNS0_12prelu_kernelERNS_14TensorIteratorEENKUlvE_clEvENKUlvE0_clEvEUlffE_St5arrayIPcLm3EEEEviT0_T1_.num_agpr, 0
	.set _ZN2at6native29vectorized_elementwise_kernelILi4EZZZNS0_12prelu_kernelERNS_14TensorIteratorEENKUlvE_clEvENKUlvE0_clEvEUlffE_St5arrayIPcLm3EEEEviT0_T1_.numbered_sgpr, 16
	.set _ZN2at6native29vectorized_elementwise_kernelILi4EZZZNS0_12prelu_kernelERNS_14TensorIteratorEENKUlvE_clEvENKUlvE0_clEvEUlffE_St5arrayIPcLm3EEEEviT0_T1_.num_named_barrier, 0
	.set _ZN2at6native29vectorized_elementwise_kernelILi4EZZZNS0_12prelu_kernelERNS_14TensorIteratorEENKUlvE_clEvENKUlvE0_clEvEUlffE_St5arrayIPcLm3EEEEviT0_T1_.private_seg_size, 0
	.set _ZN2at6native29vectorized_elementwise_kernelILi4EZZZNS0_12prelu_kernelERNS_14TensorIteratorEENKUlvE_clEvENKUlvE0_clEvEUlffE_St5arrayIPcLm3EEEEviT0_T1_.uses_vcc, 1
	.set _ZN2at6native29vectorized_elementwise_kernelILi4EZZZNS0_12prelu_kernelERNS_14TensorIteratorEENKUlvE_clEvENKUlvE0_clEvEUlffE_St5arrayIPcLm3EEEEviT0_T1_.uses_flat_scratch, 0
	.set _ZN2at6native29vectorized_elementwise_kernelILi4EZZZNS0_12prelu_kernelERNS_14TensorIteratorEENKUlvE_clEvENKUlvE0_clEvEUlffE_St5arrayIPcLm3EEEEviT0_T1_.has_dyn_sized_stack, 0
	.set _ZN2at6native29vectorized_elementwise_kernelILi4EZZZNS0_12prelu_kernelERNS_14TensorIteratorEENKUlvE_clEvENKUlvE0_clEvEUlffE_St5arrayIPcLm3EEEEviT0_T1_.has_recursion, 0
	.set _ZN2at6native29vectorized_elementwise_kernelILi4EZZZNS0_12prelu_kernelERNS_14TensorIteratorEENKUlvE_clEvENKUlvE0_clEvEUlffE_St5arrayIPcLm3EEEEviT0_T1_.has_indirect_call, 0
	.section	.AMDGPU.csdata,"",@progbits
; Kernel info:
; codeLenInByte = 960
; TotalNumSgprs: 18
; NumVgprs: 12
; ScratchSize: 0
; MemoryBound: 0
; FloatMode: 240
; IeeeMode: 1
; LDSByteSize: 0 bytes/workgroup (compile time only)
; SGPRBlocks: 0
; VGPRBlocks: 0
; NumSGPRsForWavesPerEU: 18
; NumVGPRsForWavesPerEU: 12
; NamedBarCnt: 0
; Occupancy: 16
; WaveLimiterHint : 0
; COMPUTE_PGM_RSRC2:SCRATCH_EN: 0
; COMPUTE_PGM_RSRC2:USER_SGPR: 2
; COMPUTE_PGM_RSRC2:TRAP_HANDLER: 0
; COMPUTE_PGM_RSRC2:TGID_X_EN: 1
; COMPUTE_PGM_RSRC2:TGID_Y_EN: 0
; COMPUTE_PGM_RSRC2:TGID_Z_EN: 0
; COMPUTE_PGM_RSRC2:TIDIG_COMP_CNT: 0
	.section	.text._ZN2at6native29vectorized_elementwise_kernelILi2EZZZNS0_12prelu_kernelERNS_14TensorIteratorEENKUlvE_clEvENKUlvE0_clEvEUlffE_St5arrayIPcLm3EEEEviT0_T1_,"axG",@progbits,_ZN2at6native29vectorized_elementwise_kernelILi2EZZZNS0_12prelu_kernelERNS_14TensorIteratorEENKUlvE_clEvENKUlvE0_clEvEUlffE_St5arrayIPcLm3EEEEviT0_T1_,comdat
	.globl	_ZN2at6native29vectorized_elementwise_kernelILi2EZZZNS0_12prelu_kernelERNS_14TensorIteratorEENKUlvE_clEvENKUlvE0_clEvEUlffE_St5arrayIPcLm3EEEEviT0_T1_ ; -- Begin function _ZN2at6native29vectorized_elementwise_kernelILi2EZZZNS0_12prelu_kernelERNS_14TensorIteratorEENKUlvE_clEvENKUlvE0_clEvEUlffE_St5arrayIPcLm3EEEEviT0_T1_
	.p2align	8
	.type	_ZN2at6native29vectorized_elementwise_kernelILi2EZZZNS0_12prelu_kernelERNS_14TensorIteratorEENKUlvE_clEvENKUlvE0_clEvEUlffE_St5arrayIPcLm3EEEEviT0_T1_,@function
_ZN2at6native29vectorized_elementwise_kernelILi2EZZZNS0_12prelu_kernelERNS_14TensorIteratorEENKUlvE_clEvENKUlvE0_clEvEUlffE_St5arrayIPcLm3EEEEviT0_T1_: ; @_ZN2at6native29vectorized_elementwise_kernelILi2EZZZNS0_12prelu_kernelERNS_14TensorIteratorEENKUlvE_clEvENKUlvE0_clEvEUlffE_St5arrayIPcLm3EEEEviT0_T1_
; %bb.0:
	s_clause 0x2
	s_load_b32 s3, s[0:1], 0x0
	s_load_b128 s[4:7], s[0:1], 0x8
	s_load_b64 s[8:9], s[0:1], 0x18
	s_wait_xcnt 0x0
	s_bfe_u32 s0, ttmp6, 0x4000c
	s_and_b32 s1, ttmp6, 15
	s_add_co_i32 s0, s0, 1
	s_getreg_b32 s2, hwreg(HW_REG_IB_STS2, 6, 4)
	s_mul_i32 s0, ttmp9, s0
	s_delay_alu instid0(SALU_CYCLE_1) | instskip(SKIP_2) | instid1(SALU_CYCLE_1)
	s_add_co_i32 s1, s1, s0
	s_cmp_eq_u32 s2, 0
	s_cselect_b32 s0, ttmp9, s1
	s_lshl_b32 s2, s0, 10
	s_mov_b32 s0, -1
	s_wait_kmcnt 0x0
	s_sub_co_i32 s1, s3, s2
	s_delay_alu instid0(SALU_CYCLE_1)
	s_cmp_gt_i32 s1, 0x3ff
	s_cbranch_scc0 .LBB11_2
; %bb.1:
	s_ashr_i32 s3, s2, 31
	s_mov_b32 s0, 0
	s_lshl_b64 s[10:11], s[2:3], 2
	s_delay_alu instid0(SALU_CYCLE_1)
	s_add_nc_u64 s[12:13], s[6:7], s[10:11]
	s_add_nc_u64 s[14:15], s[8:9], s[10:11]
	s_clause 0x3
	global_load_b64 v[2:3], v0, s[12:13] scale_offset
	global_load_b64 v[4:5], v0, s[14:15] scale_offset
	global_load_b64 v[6:7], v0, s[14:15] offset:2048 scale_offset
	global_load_b64 v[8:9], v0, s[12:13] offset:2048 scale_offset
	s_add_nc_u64 s[10:11], s[4:5], s[10:11]
	s_wait_loadcnt 0x3
	v_cmp_lt_f32_e32 vcc_lo, 0, v3
	s_wait_loadcnt 0x2
	v_pk_mul_f32 v[4:5], v[2:3], v[4:5]
	s_wait_loadcnt 0x0
	v_pk_mul_f32 v[6:7], v[8:9], v[6:7]
	s_delay_alu instid0(VALU_DEP_2)
	v_cndmask_b32_e32 v3, v5, v3, vcc_lo
	v_cmp_lt_f32_e32 vcc_lo, 0, v2
	v_cndmask_b32_e32 v2, v4, v2, vcc_lo
	v_cmp_lt_f32_e32 vcc_lo, 0, v9
	;; [unrolled: 2-line block ×3, first 2 shown]
	v_cndmask_b32_e32 v4, v6, v8, vcc_lo
	s_clause 0x1
	global_store_b64 v0, v[2:3], s[10:11] scale_offset
	global_store_b64 v0, v[4:5], s[10:11] offset:2048 scale_offset
.LBB11_2:
	s_and_not1_b32 vcc_lo, exec_lo, s0
	s_cbranch_vccnz .LBB11_16
; %bb.3:
	v_cmp_gt_i32_e32 vcc_lo, s1, v0
	s_wait_xcnt 0x1
	v_dual_mov_b32 v3, 0 :: v_dual_bitop2_b32 v1, s2, v0 bitop3:0x54
	v_or_b32_e32 v2, 0x100, v0
	s_wait_xcnt 0x0
	v_dual_mov_b32 v4, 0 :: v_dual_mov_b32 v5, 0
	v_mov_b32_e32 v8, v0
	s_and_saveexec_b32 s0, vcc_lo
	s_cbranch_execz .LBB11_5
; %bb.4:
	s_clause 0x1
	global_load_b32 v4, v1, s[6:7] scale_offset
	global_load_b32 v5, v1, s[8:9] scale_offset
	v_or_b32_e32 v8, 0x100, v0
.LBB11_5:
	s_wait_xcnt 0x0
	s_or_b32 exec_lo, exec_lo, s0
	v_mov_b32_e32 v7, 0
	s_mov_b32 s3, exec_lo
	v_cmpx_gt_i32_e64 s1, v8
	s_cbranch_execz .LBB11_7
; %bb.6:
	v_add_nc_u32_e32 v6, s2, v8
	v_add_nc_u32_e32 v8, 0x100, v8
	s_clause 0x1
	global_load_b32 v3, v6, s[6:7] scale_offset
	global_load_b32 v7, v6, s[8:9] scale_offset
.LBB11_7:
	s_wait_xcnt 0x0
	s_or_b32 exec_lo, exec_lo, s3
	v_dual_mov_b32 v6, 0 :: v_dual_mov_b32 v9, 0
	v_mov_b32_e32 v10, 0
	s_mov_b32 s3, exec_lo
	v_cmpx_gt_i32_e64 s1, v8
	s_cbranch_execz .LBB11_9
; %bb.8:
	v_add_nc_u32_e32 v11, s2, v8
	v_add_nc_u32_e32 v8, 0x100, v8
	s_clause 0x1
	global_load_b32 v9, v11, s[6:7] scale_offset
	global_load_b32 v10, v11, s[8:9] scale_offset
.LBB11_9:
	s_wait_xcnt 0x0
	s_or_b32 exec_lo, exec_lo, s3
	v_mov_b32_e32 v11, 0
	s_mov_b32 s3, exec_lo
	v_cmpx_gt_i32_e64 s1, v8
	s_cbranch_execz .LBB11_11
; %bb.10:
	v_add_nc_u32_e32 v8, s2, v8
	s_clause 0x1
	global_load_b32 v6, v8, s[6:7] scale_offset
	global_load_b32 v11, v8, s[8:9] scale_offset
.LBB11_11:
	s_wait_xcnt 0x0
	s_or_b32 exec_lo, exec_lo, s3
	s_wait_loadcnt 0x0
	v_dual_mul_f32 v5, v4, v5 :: v_dual_mul_f32 v7, v3, v7
	v_cmp_lt_f32_e64 s0, 0, v4
	v_or_b32_e32 v8, 0x200, v0
	s_delay_alu instid0(VALU_DEP_2) | instskip(SKIP_2) | instid1(VALU_DEP_2)
	v_cndmask_b32_e64 v4, v5, v4, s0
	v_cmp_lt_f32_e64 s0, 0, v3
	v_dual_mul_f32 v5, v9, v10 :: v_dual_mul_f32 v10, v6, v11
	v_cndmask_b32_e64 v3, v7, v3, s0
	v_cmp_lt_f32_e64 s0, 0, v9
	s_delay_alu instid0(VALU_DEP_1) | instskip(SKIP_2) | instid1(VALU_DEP_2)
	v_dual_cndmask_b32 v7, 0, v4, vcc_lo :: v_dual_cndmask_b32 v4, v5, v9, s0
	v_cmp_lt_f32_e64 s0, 0, v6
	v_or_b32_e32 v9, 0x300, v0
	v_cndmask_b32_e64 v6, v10, v6, s0
	v_cmp_gt_i32_e64 s0, s1, v2
	s_delay_alu instid0(VALU_DEP_1) | instskip(SKIP_1) | instid1(VALU_DEP_1)
	v_cndmask_b32_e64 v5, 0, v3, s0
	v_cmp_gt_i32_e64 s0, s1, v8
	v_cndmask_b32_e64 v4, 0, v4, s0
	v_cmp_gt_i32_e64 s0, s1, v9
	s_delay_alu instid0(VALU_DEP_1)
	v_cndmask_b32_e64 v3, 0, v6, s0
	s_and_saveexec_b32 s0, vcc_lo
	s_cbranch_execnz .LBB11_17
; %bb.12:
	s_or_b32 exec_lo, exec_lo, s0
	s_delay_alu instid0(SALU_CYCLE_1)
	s_mov_b32 s0, exec_lo
	v_cmpx_gt_i32_e64 s1, v0
	s_cbranch_execnz .LBB11_18
.LBB11_13:
	s_or_b32 exec_lo, exec_lo, s0
	s_delay_alu instid0(SALU_CYCLE_1)
	s_mov_b32 s0, exec_lo
	v_cmpx_gt_i32_e64 s1, v0
	s_cbranch_execnz .LBB11_19
.LBB11_14:
	s_or_b32 exec_lo, exec_lo, s0
	s_delay_alu instid0(SALU_CYCLE_1)
	s_mov_b32 s0, exec_lo
	v_cmpx_gt_i32_e64 s1, v0
	s_cbranch_execz .LBB11_16
.LBB11_15:
	v_add_nc_u32_e32 v0, s2, v0
	global_store_b32 v0, v3, s[4:5] scale_offset
.LBB11_16:
	s_endpgm
.LBB11_17:
	v_mov_b32_e32 v0, v2
	global_store_b32 v1, v7, s[4:5] scale_offset
	s_wait_xcnt 0x0
	s_or_b32 exec_lo, exec_lo, s0
	s_delay_alu instid0(SALU_CYCLE_1)
	s_mov_b32 s0, exec_lo
	v_cmpx_gt_i32_e64 s1, v0
	s_cbranch_execz .LBB11_13
.LBB11_18:
	v_add_nc_u32_e32 v1, s2, v0
	v_add_nc_u32_e32 v0, 0x100, v0
	global_store_b32 v1, v5, s[4:5] scale_offset
	s_wait_xcnt 0x0
	s_or_b32 exec_lo, exec_lo, s0
	s_delay_alu instid0(SALU_CYCLE_1)
	s_mov_b32 s0, exec_lo
	v_cmpx_gt_i32_e64 s1, v0
	s_cbranch_execz .LBB11_14
.LBB11_19:
	v_add_nc_u32_e32 v1, s2, v0
	v_add_nc_u32_e32 v0, 0x100, v0
	global_store_b32 v1, v4, s[4:5] scale_offset
	s_wait_xcnt 0x0
	s_or_b32 exec_lo, exec_lo, s0
	s_delay_alu instid0(SALU_CYCLE_1)
	s_mov_b32 s0, exec_lo
	v_cmpx_gt_i32_e64 s1, v0
	s_cbranch_execnz .LBB11_15
	s_branch .LBB11_16
	.section	.rodata,"a",@progbits
	.p2align	6, 0x0
	.amdhsa_kernel _ZN2at6native29vectorized_elementwise_kernelILi2EZZZNS0_12prelu_kernelERNS_14TensorIteratorEENKUlvE_clEvENKUlvE0_clEvEUlffE_St5arrayIPcLm3EEEEviT0_T1_
		.amdhsa_group_segment_fixed_size 0
		.amdhsa_private_segment_fixed_size 0
		.amdhsa_kernarg_size 32
		.amdhsa_user_sgpr_count 2
		.amdhsa_user_sgpr_dispatch_ptr 0
		.amdhsa_user_sgpr_queue_ptr 0
		.amdhsa_user_sgpr_kernarg_segment_ptr 1
		.amdhsa_user_sgpr_dispatch_id 0
		.amdhsa_user_sgpr_kernarg_preload_length 0
		.amdhsa_user_sgpr_kernarg_preload_offset 0
		.amdhsa_user_sgpr_private_segment_size 0
		.amdhsa_wavefront_size32 1
		.amdhsa_uses_dynamic_stack 0
		.amdhsa_enable_private_segment 0
		.amdhsa_system_sgpr_workgroup_id_x 1
		.amdhsa_system_sgpr_workgroup_id_y 0
		.amdhsa_system_sgpr_workgroup_id_z 0
		.amdhsa_system_sgpr_workgroup_info 0
		.amdhsa_system_vgpr_workitem_id 0
		.amdhsa_next_free_vgpr 12
		.amdhsa_next_free_sgpr 16
		.amdhsa_named_barrier_count 0
		.amdhsa_reserve_vcc 1
		.amdhsa_float_round_mode_32 0
		.amdhsa_float_round_mode_16_64 0
		.amdhsa_float_denorm_mode_32 3
		.amdhsa_float_denorm_mode_16_64 3
		.amdhsa_fp16_overflow 0
		.amdhsa_memory_ordered 1
		.amdhsa_forward_progress 1
		.amdhsa_inst_pref_size 8
		.amdhsa_round_robin_scheduling 0
		.amdhsa_exception_fp_ieee_invalid_op 0
		.amdhsa_exception_fp_denorm_src 0
		.amdhsa_exception_fp_ieee_div_zero 0
		.amdhsa_exception_fp_ieee_overflow 0
		.amdhsa_exception_fp_ieee_underflow 0
		.amdhsa_exception_fp_ieee_inexact 0
		.amdhsa_exception_int_div_zero 0
	.end_amdhsa_kernel
	.section	.text._ZN2at6native29vectorized_elementwise_kernelILi2EZZZNS0_12prelu_kernelERNS_14TensorIteratorEENKUlvE_clEvENKUlvE0_clEvEUlffE_St5arrayIPcLm3EEEEviT0_T1_,"axG",@progbits,_ZN2at6native29vectorized_elementwise_kernelILi2EZZZNS0_12prelu_kernelERNS_14TensorIteratorEENKUlvE_clEvENKUlvE0_clEvEUlffE_St5arrayIPcLm3EEEEviT0_T1_,comdat
.Lfunc_end11:
	.size	_ZN2at6native29vectorized_elementwise_kernelILi2EZZZNS0_12prelu_kernelERNS_14TensorIteratorEENKUlvE_clEvENKUlvE0_clEvEUlffE_St5arrayIPcLm3EEEEviT0_T1_, .Lfunc_end11-_ZN2at6native29vectorized_elementwise_kernelILi2EZZZNS0_12prelu_kernelERNS_14TensorIteratorEENKUlvE_clEvENKUlvE0_clEvEUlffE_St5arrayIPcLm3EEEEviT0_T1_
                                        ; -- End function
	.set _ZN2at6native29vectorized_elementwise_kernelILi2EZZZNS0_12prelu_kernelERNS_14TensorIteratorEENKUlvE_clEvENKUlvE0_clEvEUlffE_St5arrayIPcLm3EEEEviT0_T1_.num_vgpr, 12
	.set _ZN2at6native29vectorized_elementwise_kernelILi2EZZZNS0_12prelu_kernelERNS_14TensorIteratorEENKUlvE_clEvENKUlvE0_clEvEUlffE_St5arrayIPcLm3EEEEviT0_T1_.num_agpr, 0
	.set _ZN2at6native29vectorized_elementwise_kernelILi2EZZZNS0_12prelu_kernelERNS_14TensorIteratorEENKUlvE_clEvENKUlvE0_clEvEUlffE_St5arrayIPcLm3EEEEviT0_T1_.numbered_sgpr, 16
	.set _ZN2at6native29vectorized_elementwise_kernelILi2EZZZNS0_12prelu_kernelERNS_14TensorIteratorEENKUlvE_clEvENKUlvE0_clEvEUlffE_St5arrayIPcLm3EEEEviT0_T1_.num_named_barrier, 0
	.set _ZN2at6native29vectorized_elementwise_kernelILi2EZZZNS0_12prelu_kernelERNS_14TensorIteratorEENKUlvE_clEvENKUlvE0_clEvEUlffE_St5arrayIPcLm3EEEEviT0_T1_.private_seg_size, 0
	.set _ZN2at6native29vectorized_elementwise_kernelILi2EZZZNS0_12prelu_kernelERNS_14TensorIteratorEENKUlvE_clEvENKUlvE0_clEvEUlffE_St5arrayIPcLm3EEEEviT0_T1_.uses_vcc, 1
	.set _ZN2at6native29vectorized_elementwise_kernelILi2EZZZNS0_12prelu_kernelERNS_14TensorIteratorEENKUlvE_clEvENKUlvE0_clEvEUlffE_St5arrayIPcLm3EEEEviT0_T1_.uses_flat_scratch, 0
	.set _ZN2at6native29vectorized_elementwise_kernelILi2EZZZNS0_12prelu_kernelERNS_14TensorIteratorEENKUlvE_clEvENKUlvE0_clEvEUlffE_St5arrayIPcLm3EEEEviT0_T1_.has_dyn_sized_stack, 0
	.set _ZN2at6native29vectorized_elementwise_kernelILi2EZZZNS0_12prelu_kernelERNS_14TensorIteratorEENKUlvE_clEvENKUlvE0_clEvEUlffE_St5arrayIPcLm3EEEEviT0_T1_.has_recursion, 0
	.set _ZN2at6native29vectorized_elementwise_kernelILi2EZZZNS0_12prelu_kernelERNS_14TensorIteratorEENKUlvE_clEvENKUlvE0_clEvEUlffE_St5arrayIPcLm3EEEEviT0_T1_.has_indirect_call, 0
	.section	.AMDGPU.csdata,"",@progbits
; Kernel info:
; codeLenInByte = 1008
; TotalNumSgprs: 18
; NumVgprs: 12
; ScratchSize: 0
; MemoryBound: 0
; FloatMode: 240
; IeeeMode: 1
; LDSByteSize: 0 bytes/workgroup (compile time only)
; SGPRBlocks: 0
; VGPRBlocks: 0
; NumSGPRsForWavesPerEU: 18
; NumVGPRsForWavesPerEU: 12
; NamedBarCnt: 0
; Occupancy: 16
; WaveLimiterHint : 1
; COMPUTE_PGM_RSRC2:SCRATCH_EN: 0
; COMPUTE_PGM_RSRC2:USER_SGPR: 2
; COMPUTE_PGM_RSRC2:TRAP_HANDLER: 0
; COMPUTE_PGM_RSRC2:TGID_X_EN: 1
; COMPUTE_PGM_RSRC2:TGID_Y_EN: 0
; COMPUTE_PGM_RSRC2:TGID_Z_EN: 0
; COMPUTE_PGM_RSRC2:TIDIG_COMP_CNT: 0
	.section	.text._ZN2at6native27unrolled_elementwise_kernelIZZZNS0_12prelu_kernelERNS_14TensorIteratorEENKUlvE_clEvENKUlvE0_clEvEUlffE_St5arrayIPcLm3EELi4E23TrivialOffsetCalculatorILi2EjESA_ILi1EjENS0_6memory15LoadWithoutCastENSD_16StoreWithoutCastEEEviT_T0_T2_T3_T4_T5_,"axG",@progbits,_ZN2at6native27unrolled_elementwise_kernelIZZZNS0_12prelu_kernelERNS_14TensorIteratorEENKUlvE_clEvENKUlvE0_clEvEUlffE_St5arrayIPcLm3EELi4E23TrivialOffsetCalculatorILi2EjESA_ILi1EjENS0_6memory15LoadWithoutCastENSD_16StoreWithoutCastEEEviT_T0_T2_T3_T4_T5_,comdat
	.globl	_ZN2at6native27unrolled_elementwise_kernelIZZZNS0_12prelu_kernelERNS_14TensorIteratorEENKUlvE_clEvENKUlvE0_clEvEUlffE_St5arrayIPcLm3EELi4E23TrivialOffsetCalculatorILi2EjESA_ILi1EjENS0_6memory15LoadWithoutCastENSD_16StoreWithoutCastEEEviT_T0_T2_T3_T4_T5_ ; -- Begin function _ZN2at6native27unrolled_elementwise_kernelIZZZNS0_12prelu_kernelERNS_14TensorIteratorEENKUlvE_clEvENKUlvE0_clEvEUlffE_St5arrayIPcLm3EELi4E23TrivialOffsetCalculatorILi2EjESA_ILi1EjENS0_6memory15LoadWithoutCastENSD_16StoreWithoutCastEEEviT_T0_T2_T3_T4_T5_
	.p2align	8
	.type	_ZN2at6native27unrolled_elementwise_kernelIZZZNS0_12prelu_kernelERNS_14TensorIteratorEENKUlvE_clEvENKUlvE0_clEvEUlffE_St5arrayIPcLm3EELi4E23TrivialOffsetCalculatorILi2EjESA_ILi1EjENS0_6memory15LoadWithoutCastENSD_16StoreWithoutCastEEEviT_T0_T2_T3_T4_T5_,@function
_ZN2at6native27unrolled_elementwise_kernelIZZZNS0_12prelu_kernelERNS_14TensorIteratorEENKUlvE_clEvENKUlvE0_clEvEUlffE_St5arrayIPcLm3EELi4E23TrivialOffsetCalculatorILi2EjESA_ILi1EjENS0_6memory15LoadWithoutCastENSD_16StoreWithoutCastEEEviT_T0_T2_T3_T4_T5_: ; @_ZN2at6native27unrolled_elementwise_kernelIZZZNS0_12prelu_kernelERNS_14TensorIteratorEENKUlvE_clEvENKUlvE0_clEvEUlffE_St5arrayIPcLm3EELi4E23TrivialOffsetCalculatorILi2EjESA_ILi1EjENS0_6memory15LoadWithoutCastENSD_16StoreWithoutCastEEEviT_T0_T2_T3_T4_T5_
; %bb.0:
	s_load_b32 s8, s[0:1], 0x0
	s_bfe_u32 s10, ttmp6, 0x4000c
	s_clause 0x1
	s_load_b128 s[4:7], s[0:1], 0x8
	s_load_b64 s[2:3], s[0:1], 0x18
	s_add_co_i32 s10, s10, 1
	s_and_b32 s9, ttmp6, 15
	s_wait_xcnt 0x0
	s_mul_i32 s1, ttmp9, s10
	s_getreg_b32 s0, hwreg(HW_REG_IB_STS2, 6, 4)
	s_add_co_i32 s9, s9, s1
	s_cmp_eq_u32 s0, 0
	v_dual_mov_b32 v3, 0 :: v_dual_mov_b32 v4, 0
	s_cselect_b32 s0, ttmp9, s9
	v_or_b32_e32 v1, 0x100, v0
	s_lshl_b32 s1, s0, 10
	s_delay_alu instid0(SALU_CYCLE_1) | instskip(SKIP_3) | instid1(SALU_CYCLE_1)
	v_dual_mov_b32 v5, 0 :: v_dual_bitop2_b32 v2, s1, v0 bitop3:0x54
	v_mov_b32_e32 v6, v0
	s_wait_kmcnt 0x0
	s_sub_co_i32 s8, s8, s1
	v_cmp_gt_i32_e32 vcc_lo, s8, v0
	s_and_saveexec_b32 s0, vcc_lo
	s_cbranch_execz .LBB12_2
; %bb.1:
	s_clause 0x1
	global_load_b32 v4, v2, s[6:7] scale_offset
	global_load_b32 v5, v2, s[2:3] scale_offset
	v_or_b32_e32 v6, 0x100, v0
.LBB12_2:
	s_wait_xcnt 0x0
	s_or_b32 exec_lo, exec_lo, s0
	v_mov_b32_e32 v8, 0
	s_mov_b32 s9, exec_lo
	v_cmpx_gt_i32_e64 s8, v6
	s_cbranch_execz .LBB12_4
; %bb.3:
	v_add_nc_u32_e32 v7, s1, v6
	v_add_nc_u32_e32 v6, 0x100, v6
	s_clause 0x1
	global_load_b32 v3, v7, s[6:7] scale_offset
	global_load_b32 v8, v7, s[2:3] scale_offset
.LBB12_4:
	s_wait_xcnt 0x0
	s_or_b32 exec_lo, exec_lo, s9
	v_dual_mov_b32 v7, 0 :: v_dual_mov_b32 v9, 0
	v_mov_b32_e32 v10, 0
	s_mov_b32 s9, exec_lo
	v_cmpx_gt_i32_e64 s8, v6
	s_cbranch_execz .LBB12_6
; %bb.5:
	v_add_nc_u32_e32 v11, s1, v6
	v_add_nc_u32_e32 v6, 0x100, v6
	s_clause 0x1
	global_load_b32 v9, v11, s[6:7] scale_offset
	global_load_b32 v10, v11, s[2:3] scale_offset
.LBB12_6:
	s_wait_xcnt 0x0
	s_or_b32 exec_lo, exec_lo, s9
	v_mov_b32_e32 v11, 0
	s_mov_b32 s9, exec_lo
	v_cmpx_gt_i32_e64 s8, v6
	s_cbranch_execz .LBB12_8
; %bb.7:
	v_add_nc_u32_e32 v6, s1, v6
	s_clause 0x1
	global_load_b32 v7, v6, s[6:7] scale_offset
	global_load_b32 v11, v6, s[2:3] scale_offset
.LBB12_8:
	s_wait_xcnt 0x0
	s_or_b32 exec_lo, exec_lo, s9
	s_wait_loadcnt 0x0
	v_dual_mul_f32 v5, v4, v5 :: v_dual_mul_f32 v6, v3, v8
	v_cmp_lt_f32_e64 s0, 0, v4
	v_or_b32_e32 v8, 0x200, v0
	s_delay_alu instid0(VALU_DEP_2) | instskip(SKIP_2) | instid1(VALU_DEP_2)
	v_cndmask_b32_e64 v4, v5, v4, s0
	v_cmp_lt_f32_e64 s0, 0, v3
	v_dual_mul_f32 v5, v9, v10 :: v_dual_mul_f32 v10, v7, v11
	v_cndmask_b32_e64 v3, v6, v3, s0
	v_cmp_lt_f32_e64 s0, 0, v9
	s_delay_alu instid0(VALU_DEP_1) | instskip(SKIP_2) | instid1(VALU_DEP_2)
	v_dual_cndmask_b32 v6, 0, v4, vcc_lo :: v_dual_cndmask_b32 v4, v5, v9, s0
	v_cmp_lt_f32_e64 s0, 0, v7
	v_or_b32_e32 v9, 0x300, v0
	v_cndmask_b32_e64 v7, v10, v7, s0
	v_cmp_gt_i32_e64 s0, s8, v1
	s_delay_alu instid0(VALU_DEP_1) | instskip(SKIP_1) | instid1(VALU_DEP_1)
	v_cndmask_b32_e64 v5, 0, v3, s0
	v_cmp_gt_i32_e64 s0, s8, v8
	v_cndmask_b32_e64 v4, 0, v4, s0
	v_cmp_gt_i32_e64 s0, s8, v9
	s_delay_alu instid0(VALU_DEP_1)
	v_cndmask_b32_e64 v3, 0, v7, s0
	s_and_saveexec_b32 s0, vcc_lo
	s_cbranch_execnz .LBB12_13
; %bb.9:
	s_or_b32 exec_lo, exec_lo, s0
	s_delay_alu instid0(SALU_CYCLE_1)
	s_mov_b32 s0, exec_lo
	v_cmpx_gt_i32_e64 s8, v0
	s_cbranch_execnz .LBB12_14
.LBB12_10:
	s_or_b32 exec_lo, exec_lo, s0
	s_delay_alu instid0(SALU_CYCLE_1)
	s_mov_b32 s0, exec_lo
	v_cmpx_gt_i32_e64 s8, v0
	s_cbranch_execnz .LBB12_15
.LBB12_11:
	s_or_b32 exec_lo, exec_lo, s0
	s_delay_alu instid0(SALU_CYCLE_1)
	s_mov_b32 s0, exec_lo
	v_cmpx_gt_i32_e64 s8, v0
	s_cbranch_execnz .LBB12_16
.LBB12_12:
	s_endpgm
.LBB12_13:
	v_mov_b32_e32 v0, v1
	global_store_b32 v2, v6, s[4:5] scale_offset
	s_wait_xcnt 0x0
	s_or_b32 exec_lo, exec_lo, s0
	s_delay_alu instid0(SALU_CYCLE_1)
	s_mov_b32 s0, exec_lo
	v_cmpx_gt_i32_e64 s8, v0
	s_cbranch_execz .LBB12_10
.LBB12_14:
	v_add_nc_u32_e32 v1, 0x100, v0
	s_delay_alu instid0(VALU_DEP_1) | instskip(SKIP_3) | instid1(SALU_CYCLE_1)
	v_dual_add_nc_u32 v2, s1, v0 :: v_dual_mov_b32 v0, v1
	global_store_b32 v2, v5, s[4:5] scale_offset
	s_wait_xcnt 0x0
	s_or_b32 exec_lo, exec_lo, s0
	s_mov_b32 s0, exec_lo
	v_cmpx_gt_i32_e64 s8, v0
	s_cbranch_execz .LBB12_11
.LBB12_15:
	v_add_nc_u32_e32 v1, 0x100, v0
	s_delay_alu instid0(VALU_DEP_1) | instskip(SKIP_3) | instid1(SALU_CYCLE_1)
	v_dual_add_nc_u32 v2, s1, v0 :: v_dual_mov_b32 v0, v1
	global_store_b32 v2, v4, s[4:5] scale_offset
	s_wait_xcnt 0x0
	s_or_b32 exec_lo, exec_lo, s0
	s_mov_b32 s0, exec_lo
	v_cmpx_gt_i32_e64 s8, v0
	s_cbranch_execz .LBB12_12
.LBB12_16:
	v_add_nc_u32_e32 v0, s1, v0
	global_store_b32 v0, v3, s[4:5] scale_offset
	s_endpgm
	.section	.rodata,"a",@progbits
	.p2align	6, 0x0
	.amdhsa_kernel _ZN2at6native27unrolled_elementwise_kernelIZZZNS0_12prelu_kernelERNS_14TensorIteratorEENKUlvE_clEvENKUlvE0_clEvEUlffE_St5arrayIPcLm3EELi4E23TrivialOffsetCalculatorILi2EjESA_ILi1EjENS0_6memory15LoadWithoutCastENSD_16StoreWithoutCastEEEviT_T0_T2_T3_T4_T5_
		.amdhsa_group_segment_fixed_size 0
		.amdhsa_private_segment_fixed_size 0
		.amdhsa_kernarg_size 36
		.amdhsa_user_sgpr_count 2
		.amdhsa_user_sgpr_dispatch_ptr 0
		.amdhsa_user_sgpr_queue_ptr 0
		.amdhsa_user_sgpr_kernarg_segment_ptr 1
		.amdhsa_user_sgpr_dispatch_id 0
		.amdhsa_user_sgpr_kernarg_preload_length 0
		.amdhsa_user_sgpr_kernarg_preload_offset 0
		.amdhsa_user_sgpr_private_segment_size 0
		.amdhsa_wavefront_size32 1
		.amdhsa_uses_dynamic_stack 0
		.amdhsa_enable_private_segment 0
		.amdhsa_system_sgpr_workgroup_id_x 1
		.amdhsa_system_sgpr_workgroup_id_y 0
		.amdhsa_system_sgpr_workgroup_id_z 0
		.amdhsa_system_sgpr_workgroup_info 0
		.amdhsa_system_vgpr_workitem_id 0
		.amdhsa_next_free_vgpr 12
		.amdhsa_next_free_sgpr 11
		.amdhsa_named_barrier_count 0
		.amdhsa_reserve_vcc 1
		.amdhsa_float_round_mode_32 0
		.amdhsa_float_round_mode_16_64 0
		.amdhsa_float_denorm_mode_32 3
		.amdhsa_float_denorm_mode_16_64 3
		.amdhsa_fp16_overflow 0
		.amdhsa_memory_ordered 1
		.amdhsa_forward_progress 1
		.amdhsa_inst_pref_size 7
		.amdhsa_round_robin_scheduling 0
		.amdhsa_exception_fp_ieee_invalid_op 0
		.amdhsa_exception_fp_denorm_src 0
		.amdhsa_exception_fp_ieee_div_zero 0
		.amdhsa_exception_fp_ieee_overflow 0
		.amdhsa_exception_fp_ieee_underflow 0
		.amdhsa_exception_fp_ieee_inexact 0
		.amdhsa_exception_int_div_zero 0
	.end_amdhsa_kernel
	.section	.text._ZN2at6native27unrolled_elementwise_kernelIZZZNS0_12prelu_kernelERNS_14TensorIteratorEENKUlvE_clEvENKUlvE0_clEvEUlffE_St5arrayIPcLm3EELi4E23TrivialOffsetCalculatorILi2EjESA_ILi1EjENS0_6memory15LoadWithoutCastENSD_16StoreWithoutCastEEEviT_T0_T2_T3_T4_T5_,"axG",@progbits,_ZN2at6native27unrolled_elementwise_kernelIZZZNS0_12prelu_kernelERNS_14TensorIteratorEENKUlvE_clEvENKUlvE0_clEvEUlffE_St5arrayIPcLm3EELi4E23TrivialOffsetCalculatorILi2EjESA_ILi1EjENS0_6memory15LoadWithoutCastENSD_16StoreWithoutCastEEEviT_T0_T2_T3_T4_T5_,comdat
.Lfunc_end12:
	.size	_ZN2at6native27unrolled_elementwise_kernelIZZZNS0_12prelu_kernelERNS_14TensorIteratorEENKUlvE_clEvENKUlvE0_clEvEUlffE_St5arrayIPcLm3EELi4E23TrivialOffsetCalculatorILi2EjESA_ILi1EjENS0_6memory15LoadWithoutCastENSD_16StoreWithoutCastEEEviT_T0_T2_T3_T4_T5_, .Lfunc_end12-_ZN2at6native27unrolled_elementwise_kernelIZZZNS0_12prelu_kernelERNS_14TensorIteratorEENKUlvE_clEvENKUlvE0_clEvEUlffE_St5arrayIPcLm3EELi4E23TrivialOffsetCalculatorILi2EjESA_ILi1EjENS0_6memory15LoadWithoutCastENSD_16StoreWithoutCastEEEviT_T0_T2_T3_T4_T5_
                                        ; -- End function
	.set _ZN2at6native27unrolled_elementwise_kernelIZZZNS0_12prelu_kernelERNS_14TensorIteratorEENKUlvE_clEvENKUlvE0_clEvEUlffE_St5arrayIPcLm3EELi4E23TrivialOffsetCalculatorILi2EjESA_ILi1EjENS0_6memory15LoadWithoutCastENSD_16StoreWithoutCastEEEviT_T0_T2_T3_T4_T5_.num_vgpr, 12
	.set _ZN2at6native27unrolled_elementwise_kernelIZZZNS0_12prelu_kernelERNS_14TensorIteratorEENKUlvE_clEvENKUlvE0_clEvEUlffE_St5arrayIPcLm3EELi4E23TrivialOffsetCalculatorILi2EjESA_ILi1EjENS0_6memory15LoadWithoutCastENSD_16StoreWithoutCastEEEviT_T0_T2_T3_T4_T5_.num_agpr, 0
	.set _ZN2at6native27unrolled_elementwise_kernelIZZZNS0_12prelu_kernelERNS_14TensorIteratorEENKUlvE_clEvENKUlvE0_clEvEUlffE_St5arrayIPcLm3EELi4E23TrivialOffsetCalculatorILi2EjESA_ILi1EjENS0_6memory15LoadWithoutCastENSD_16StoreWithoutCastEEEviT_T0_T2_T3_T4_T5_.numbered_sgpr, 11
	.set _ZN2at6native27unrolled_elementwise_kernelIZZZNS0_12prelu_kernelERNS_14TensorIteratorEENKUlvE_clEvENKUlvE0_clEvEUlffE_St5arrayIPcLm3EELi4E23TrivialOffsetCalculatorILi2EjESA_ILi1EjENS0_6memory15LoadWithoutCastENSD_16StoreWithoutCastEEEviT_T0_T2_T3_T4_T5_.num_named_barrier, 0
	.set _ZN2at6native27unrolled_elementwise_kernelIZZZNS0_12prelu_kernelERNS_14TensorIteratorEENKUlvE_clEvENKUlvE0_clEvEUlffE_St5arrayIPcLm3EELi4E23TrivialOffsetCalculatorILi2EjESA_ILi1EjENS0_6memory15LoadWithoutCastENSD_16StoreWithoutCastEEEviT_T0_T2_T3_T4_T5_.private_seg_size, 0
	.set _ZN2at6native27unrolled_elementwise_kernelIZZZNS0_12prelu_kernelERNS_14TensorIteratorEENKUlvE_clEvENKUlvE0_clEvEUlffE_St5arrayIPcLm3EELi4E23TrivialOffsetCalculatorILi2EjESA_ILi1EjENS0_6memory15LoadWithoutCastENSD_16StoreWithoutCastEEEviT_T0_T2_T3_T4_T5_.uses_vcc, 1
	.set _ZN2at6native27unrolled_elementwise_kernelIZZZNS0_12prelu_kernelERNS_14TensorIteratorEENKUlvE_clEvENKUlvE0_clEvEUlffE_St5arrayIPcLm3EELi4E23TrivialOffsetCalculatorILi2EjESA_ILi1EjENS0_6memory15LoadWithoutCastENSD_16StoreWithoutCastEEEviT_T0_T2_T3_T4_T5_.uses_flat_scratch, 0
	.set _ZN2at6native27unrolled_elementwise_kernelIZZZNS0_12prelu_kernelERNS_14TensorIteratorEENKUlvE_clEvENKUlvE0_clEvEUlffE_St5arrayIPcLm3EELi4E23TrivialOffsetCalculatorILi2EjESA_ILi1EjENS0_6memory15LoadWithoutCastENSD_16StoreWithoutCastEEEviT_T0_T2_T3_T4_T5_.has_dyn_sized_stack, 0
	.set _ZN2at6native27unrolled_elementwise_kernelIZZZNS0_12prelu_kernelERNS_14TensorIteratorEENKUlvE_clEvENKUlvE0_clEvEUlffE_St5arrayIPcLm3EELi4E23TrivialOffsetCalculatorILi2EjESA_ILi1EjENS0_6memory15LoadWithoutCastENSD_16StoreWithoutCastEEEviT_T0_T2_T3_T4_T5_.has_recursion, 0
	.set _ZN2at6native27unrolled_elementwise_kernelIZZZNS0_12prelu_kernelERNS_14TensorIteratorEENKUlvE_clEvENKUlvE0_clEvEUlffE_St5arrayIPcLm3EELi4E23TrivialOffsetCalculatorILi2EjESA_ILi1EjENS0_6memory15LoadWithoutCastENSD_16StoreWithoutCastEEEviT_T0_T2_T3_T4_T5_.has_indirect_call, 0
	.section	.AMDGPU.csdata,"",@progbits
; Kernel info:
; codeLenInByte = 816
; TotalNumSgprs: 13
; NumVgprs: 12
; ScratchSize: 0
; MemoryBound: 0
; FloatMode: 240
; IeeeMode: 1
; LDSByteSize: 0 bytes/workgroup (compile time only)
; SGPRBlocks: 0
; VGPRBlocks: 0
; NumSGPRsForWavesPerEU: 13
; NumVGPRsForWavesPerEU: 12
; NamedBarCnt: 0
; Occupancy: 16
; WaveLimiterHint : 0
; COMPUTE_PGM_RSRC2:SCRATCH_EN: 0
; COMPUTE_PGM_RSRC2:USER_SGPR: 2
; COMPUTE_PGM_RSRC2:TRAP_HANDLER: 0
; COMPUTE_PGM_RSRC2:TGID_X_EN: 1
; COMPUTE_PGM_RSRC2:TGID_Y_EN: 0
; COMPUTE_PGM_RSRC2:TGID_Z_EN: 0
; COMPUTE_PGM_RSRC2:TIDIG_COMP_CNT: 0
	.section	.text._ZN2at6native32elementwise_kernel_manual_unrollILi128ELi4EZNS0_22gpu_kernel_impl_nocastIZZZNS0_12prelu_kernelERNS_14TensorIteratorEENKUlvE_clEvENKUlvE0_clEvEUlffE_EEvRNS_18TensorIteratorBaseERKT_EUlibE_EEviT1_,"axG",@progbits,_ZN2at6native32elementwise_kernel_manual_unrollILi128ELi4EZNS0_22gpu_kernel_impl_nocastIZZZNS0_12prelu_kernelERNS_14TensorIteratorEENKUlvE_clEvENKUlvE0_clEvEUlffE_EEvRNS_18TensorIteratorBaseERKT_EUlibE_EEviT1_,comdat
	.globl	_ZN2at6native32elementwise_kernel_manual_unrollILi128ELi4EZNS0_22gpu_kernel_impl_nocastIZZZNS0_12prelu_kernelERNS_14TensorIteratorEENKUlvE_clEvENKUlvE0_clEvEUlffE_EEvRNS_18TensorIteratorBaseERKT_EUlibE_EEviT1_ ; -- Begin function _ZN2at6native32elementwise_kernel_manual_unrollILi128ELi4EZNS0_22gpu_kernel_impl_nocastIZZZNS0_12prelu_kernelERNS_14TensorIteratorEENKUlvE_clEvENKUlvE0_clEvEUlffE_EEvRNS_18TensorIteratorBaseERKT_EUlibE_EEviT1_
	.p2align	8
	.type	_ZN2at6native32elementwise_kernel_manual_unrollILi128ELi4EZNS0_22gpu_kernel_impl_nocastIZZZNS0_12prelu_kernelERNS_14TensorIteratorEENKUlvE_clEvENKUlvE0_clEvEUlffE_EEvRNS_18TensorIteratorBaseERKT_EUlibE_EEviT1_,@function
_ZN2at6native32elementwise_kernel_manual_unrollILi128ELi4EZNS0_22gpu_kernel_impl_nocastIZZZNS0_12prelu_kernelERNS_14TensorIteratorEENKUlvE_clEvENKUlvE0_clEvEUlffE_EEvRNS_18TensorIteratorBaseERKT_EUlibE_EEviT1_: ; @_ZN2at6native32elementwise_kernel_manual_unrollILi128ELi4EZNS0_22gpu_kernel_impl_nocastIZZZNS0_12prelu_kernelERNS_14TensorIteratorEENKUlvE_clEvENKUlvE0_clEvEUlffE_EEvRNS_18TensorIteratorBaseERKT_EUlibE_EEviT1_
; %bb.0:
	s_clause 0x1
	s_load_b32 s26, s[0:1], 0x8
	s_load_b32 s33, s[0:1], 0x0
	s_bfe_u32 s2, ttmp6, 0x4000c
	s_and_b32 s3, ttmp6, 15
	s_add_co_i32 s2, s2, 1
	s_getreg_b32 s4, hwreg(HW_REG_IB_STS2, 6, 4)
	s_mul_i32 s2, ttmp9, s2
	s_add_nc_u64 s[12:13], s[0:1], 8
	s_add_co_i32 s3, s3, s2
	s_cmp_eq_u32 s4, 0
	s_mov_b32 s21, 0
	s_cselect_b32 s2, ttmp9, s3
	s_wait_xcnt 0x0
	s_mov_b32 s0, exec_lo
	v_lshl_or_b32 v0, s2, 9, v0
	s_delay_alu instid0(VALU_DEP_1) | instskip(SKIP_2) | instid1(SALU_CYCLE_1)
	v_or_b32_e32 v3, 0x180, v0
	s_wait_kmcnt 0x0
	s_add_co_i32 s27, s26, -1
	s_cmp_gt_u32 s27, 1
	s_cselect_b32 s28, -1, 0
	v_cmpx_le_i32_e64 s33, v3
	s_xor_b32 s29, exec_lo, s0
	s_cbranch_execz .LBB13_54
; %bb.1:
	s_clause 0x5
	s_load_b128 s[4:7], s[12:13], 0x4
	s_load_b64 s[16:17], s[12:13], 0x14
	s_load_b128 s[8:11], s[12:13], 0xc4
	s_load_b64 s[18:19], s[12:13], 0xd4
	s_load_b64 s[14:15], s[12:13], 0x198
	s_load_b128 s[0:3], s[12:13], 0x188
	s_cmp_lg_u32 s26, 0
	s_mov_b32 s23, s21
	s_cselect_b32 s34, -1, 0
	s_min_u32 s31, s27, 15
	s_cmp_gt_u32 s26, 1
	s_cselect_b32 s30, -1, 0
	s_wait_kmcnt 0x0
	s_mov_b32 s20, s5
	s_mov_b32 s22, s16
	s_mov_b32 s5, exec_lo
	v_cmpx_gt_i32_e64 s33, v0
	s_cbranch_execnz .LBB13_5
; %bb.2:
	s_or_b32 exec_lo, exec_lo, s5
	s_delay_alu instid0(SALU_CYCLE_1)
	s_mov_b32 s5, exec_lo
	v_cmpx_gt_i32_e64 s33, v0
	s_cbranch_execnz .LBB13_17
.LBB13_3:
	s_or_b32 exec_lo, exec_lo, s5
	s_delay_alu instid0(SALU_CYCLE_1)
	s_mov_b32 s5, exec_lo
	v_cmpx_gt_i32_e64 s33, v0
	s_cbranch_execnz .LBB13_29
.LBB13_4:
	s_or_b32 exec_lo, exec_lo, s5
	s_delay_alu instid0(SALU_CYCLE_1)
	s_mov_b32 s5, exec_lo
	v_cmpx_gt_i32_e64 s33, v0
	s_cbranch_execnz .LBB13_41
	s_branch .LBB13_53
.LBB13_5:
	s_and_not1_b32 vcc_lo, exec_lo, s28
	s_cbranch_vccnz .LBB13_11
; %bb.6:
	s_and_not1_b32 vcc_lo, exec_lo, s34
	s_cbranch_vccnz .LBB13_12
; %bb.7:
	v_dual_mov_b32 v4, 0 :: v_dual_mov_b32 v1, v0
	v_dual_mov_b32 v6, 0 :: v_dual_mov_b32 v5, 0
	s_add_co_i32 s16, s31, 1
	s_mov_b64 s[24:25], 0xffffffffffffffe8
	s_and_b32 s16, s16, 30
	s_add_nc_u64 s[24:25], s[12:13], s[24:25]
.LBB13_8:                               ; =>This Inner Loop Header: Depth=1
	s_clause 0x1
	s_load_b128 s[36:39], s[24:25], 0x1c
	s_load_b64 s[44:45], s[24:25], 0x2c
	s_add_co_i32 s16, s16, -2
	s_delay_alu instid0(SALU_CYCLE_1) | instskip(SKIP_2) | instid1(VALU_DEP_1)
	s_cmp_lg_u32 s16, 0
	s_wait_kmcnt 0x0
	v_mul_hi_u32 v2, s37, v1
	v_add_nc_u32_e32 v2, v1, v2
	s_delay_alu instid0(VALU_DEP_1) | instskip(NEXT) | instid1(VALU_DEP_1)
	v_lshrrev_b32_e32 v2, s38, v2
	v_mul_hi_u32 v3, s44, v2
	v_mul_lo_u32 v7, v2, s36
	s_clause 0x1
	s_load_b128 s[40:43], s[24:25], 0xdc
	s_load_b64 s[36:37], s[24:25], 0xec
	s_wait_xcnt 0x0
	s_add_nc_u64 s[24:25], s[24:25], 24
	s_delay_alu instid0(VALU_DEP_2) | instskip(NEXT) | instid1(VALU_DEP_2)
	v_add_nc_u32_e32 v3, v2, v3
	v_sub_nc_u32_e32 v7, v1, v7
	s_delay_alu instid0(VALU_DEP_2) | instskip(SKIP_1) | instid1(VALU_DEP_2)
	v_lshrrev_b32_e32 v1, s45, v3
	s_wait_kmcnt 0x0
	v_mad_u32 v4, v7, s40, v4
	s_delay_alu instid0(VALU_DEP_2) | instskip(SKIP_2) | instid1(VALU_DEP_3)
	v_mul_lo_u32 v3, v1, s39
	v_mad_u32 v5, v7, s42, v5
	v_mad_u32 v6, v7, s41, v6
	v_sub_nc_u32_e32 v2, v2, v3
	s_delay_alu instid0(VALU_DEP_1) | instskip(NEXT) | instid1(VALU_DEP_4)
	v_mad_u32 v4, v2, s43, v4
	v_mad_u32 v5, v2, s37, v5
	s_delay_alu instid0(VALU_DEP_4)
	v_mad_u32 v6, v2, s36, v6
	s_cbranch_scc1 .LBB13_8
; %bb.9:
	s_bitcmp1_b32 s31, 0
	s_cselect_b32 s16, -1, 0
	s_delay_alu instid0(SALU_CYCLE_1)
	s_and_b32 vcc_lo, exec_lo, s16
	s_cbranch_vccnz .LBB13_13
; %bb.10:
	s_clause 0x1
	s_load_b96 s[36:38], s[24:25], 0x1c
	s_load_b96 s[40:42], s[24:25], 0xdc
	s_wait_kmcnt 0x0
	v_mul_hi_u32 v2, s37, v1
	s_delay_alu instid0(VALU_DEP_1) | instskip(NEXT) | instid1(VALU_DEP_1)
	v_add_nc_u32_e32 v2, v1, v2
	v_lshrrev_b32_e32 v2, s38, v2
	s_delay_alu instid0(VALU_DEP_1) | instskip(NEXT) | instid1(VALU_DEP_1)
	v_mul_lo_u32 v2, v2, s36
	v_sub_nc_u32_e32 v1, v1, v2
	s_delay_alu instid0(VALU_DEP_1)
	v_mad_u32 v4, v1, s40, v4
	v_mad_u32 v6, v1, s41, v6
	;; [unrolled: 1-line block ×3, first 2 shown]
	s_cbranch_execz .LBB13_14
	s_branch .LBB13_16
.LBB13_11:
                                        ; implicit-def: $vgpr5
                                        ; implicit-def: $vgpr6
                                        ; implicit-def: $vgpr4
	s_branch .LBB13_14
.LBB13_12:
	v_dual_mov_b32 v5, 0 :: v_dual_mov_b32 v6, 0
	v_mov_b32_e32 v4, 0
.LBB13_13:
	s_cbranch_execnz .LBB13_16
.LBB13_14:
	v_mov_b32_e32 v1, 0
	s_and_not1_b32 vcc_lo, exec_lo, s30
	s_delay_alu instid0(VALU_DEP_1) | instskip(NEXT) | instid1(VALU_DEP_1)
	v_mul_u64_e32 v[2:3], s[20:21], v[0:1]
	v_add_nc_u32_e32 v2, v0, v3
	s_delay_alu instid0(VALU_DEP_1) | instskip(NEXT) | instid1(VALU_DEP_1)
	v_lshrrev_b32_e32 v2, s6, v2
	v_mul_lo_u32 v3, v2, s4
	s_delay_alu instid0(VALU_DEP_1) | instskip(NEXT) | instid1(VALU_DEP_1)
	v_sub_nc_u32_e32 v3, v0, v3
	v_mul_lo_u32 v4, v3, s8
	v_mul_lo_u32 v5, v3, s10
	v_mul_lo_u32 v6, v3, s9
	s_cbranch_vccnz .LBB13_16
; %bb.15:
	v_mov_b32_e32 v3, v1
	s_delay_alu instid0(VALU_DEP_1) | instskip(NEXT) | instid1(VALU_DEP_1)
	v_mul_u64_e32 v[8:9], s[22:23], v[2:3]
	v_add_nc_u32_e32 v1, v2, v9
	s_delay_alu instid0(VALU_DEP_1) | instskip(NEXT) | instid1(VALU_DEP_1)
	v_lshrrev_b32_e32 v1, s17, v1
	v_mul_lo_u32 v1, v1, s7
	s_delay_alu instid0(VALU_DEP_1) | instskip(NEXT) | instid1(VALU_DEP_1)
	v_sub_nc_u32_e32 v1, v2, v1
	v_mad_u32 v4, v1, s11, v4
	v_mad_u32 v6, v1, s18, v6
	;; [unrolled: 1-line block ×3, first 2 shown]
.LBB13_16:
	global_load_b32 v1, v6, s[2:3]
	global_load_b32 v2, v5, s[14:15]
	v_add_nc_u32_e32 v0, 0x80, v0
	s_wait_loadcnt 0x1
	v_cmp_lt_f32_e32 vcc_lo, 0, v1
	s_wait_loadcnt 0x0
	v_mul_f32_e32 v2, v1, v2
	s_delay_alu instid0(VALU_DEP_1) | instskip(SKIP_3) | instid1(SALU_CYCLE_1)
	v_cndmask_b32_e32 v1, v2, v1, vcc_lo
	global_store_b32 v4, v1, s[0:1]
	s_wait_xcnt 0x0
	s_or_b32 exec_lo, exec_lo, s5
	s_mov_b32 s5, exec_lo
	v_cmpx_gt_i32_e64 s33, v0
	s_cbranch_execz .LBB13_3
.LBB13_17:
	s_and_not1_b32 vcc_lo, exec_lo, s28
	s_cbranch_vccnz .LBB13_23
; %bb.18:
	s_and_not1_b32 vcc_lo, exec_lo, s34
	s_cbranch_vccnz .LBB13_24
; %bb.19:
	v_dual_mov_b32 v4, 0 :: v_dual_mov_b32 v1, v0
	v_dual_mov_b32 v6, 0 :: v_dual_mov_b32 v5, 0
	s_add_co_i32 s16, s31, 1
	s_mov_b64 s[24:25], 0xffffffffffffffe8
	s_and_b32 s16, s16, 30
	s_add_nc_u64 s[24:25], s[12:13], s[24:25]
.LBB13_20:                              ; =>This Inner Loop Header: Depth=1
	s_clause 0x1
	s_load_b128 s[36:39], s[24:25], 0x1c
	s_load_b64 s[44:45], s[24:25], 0x2c
	s_add_co_i32 s16, s16, -2
	s_delay_alu instid0(SALU_CYCLE_1) | instskip(SKIP_2) | instid1(VALU_DEP_1)
	s_cmp_eq_u32 s16, 0
	s_wait_kmcnt 0x0
	v_mul_hi_u32 v2, s37, v1
	v_add_nc_u32_e32 v2, v1, v2
	s_delay_alu instid0(VALU_DEP_1) | instskip(NEXT) | instid1(VALU_DEP_1)
	v_lshrrev_b32_e32 v2, s38, v2
	v_mul_hi_u32 v3, s44, v2
	v_mul_lo_u32 v7, v2, s36
	s_clause 0x1
	s_load_b128 s[40:43], s[24:25], 0xdc
	s_load_b64 s[36:37], s[24:25], 0xec
	s_wait_xcnt 0x0
	s_add_nc_u64 s[24:25], s[24:25], 24
	s_delay_alu instid0(VALU_DEP_2) | instskip(NEXT) | instid1(VALU_DEP_2)
	v_add_nc_u32_e32 v3, v2, v3
	v_sub_nc_u32_e32 v7, v1, v7
	s_delay_alu instid0(VALU_DEP_2) | instskip(SKIP_1) | instid1(VALU_DEP_2)
	v_lshrrev_b32_e32 v1, s45, v3
	s_wait_kmcnt 0x0
	v_mad_u32 v4, v7, s40, v4
	s_delay_alu instid0(VALU_DEP_2) | instskip(SKIP_2) | instid1(VALU_DEP_3)
	v_mul_lo_u32 v3, v1, s39
	v_mad_u32 v5, v7, s42, v5
	v_mad_u32 v6, v7, s41, v6
	v_sub_nc_u32_e32 v2, v2, v3
	s_delay_alu instid0(VALU_DEP_1) | instskip(NEXT) | instid1(VALU_DEP_4)
	v_mad_u32 v4, v2, s43, v4
	v_mad_u32 v5, v2, s37, v5
	s_delay_alu instid0(VALU_DEP_4)
	v_mad_u32 v6, v2, s36, v6
	s_cbranch_scc0 .LBB13_20
; %bb.21:
	s_bitcmp1_b32 s31, 0
	s_cselect_b32 s16, -1, 0
	s_delay_alu instid0(SALU_CYCLE_1)
	s_and_b32 vcc_lo, exec_lo, s16
	s_cbranch_vccnz .LBB13_25
; %bb.22:
	s_clause 0x1
	s_load_b96 s[36:38], s[24:25], 0x1c
	s_load_b96 s[40:42], s[24:25], 0xdc
	s_wait_kmcnt 0x0
	v_mul_hi_u32 v2, s37, v1
	s_delay_alu instid0(VALU_DEP_1) | instskip(NEXT) | instid1(VALU_DEP_1)
	v_add_nc_u32_e32 v2, v1, v2
	v_lshrrev_b32_e32 v2, s38, v2
	s_delay_alu instid0(VALU_DEP_1) | instskip(NEXT) | instid1(VALU_DEP_1)
	v_mul_lo_u32 v2, v2, s36
	v_sub_nc_u32_e32 v1, v1, v2
	s_delay_alu instid0(VALU_DEP_1)
	v_mad_u32 v4, v1, s40, v4
	v_mad_u32 v6, v1, s41, v6
	;; [unrolled: 1-line block ×3, first 2 shown]
	s_branch .LBB13_25
.LBB13_23:
                                        ; implicit-def: $vgpr5
                                        ; implicit-def: $vgpr6
                                        ; implicit-def: $vgpr4
	s_branch .LBB13_26
.LBB13_24:
	v_dual_mov_b32 v5, 0 :: v_dual_mov_b32 v6, 0
	v_mov_b32_e32 v4, 0
.LBB13_25:
	s_cbranch_execnz .LBB13_28
.LBB13_26:
	v_mov_b32_e32 v1, 0
	s_and_not1_b32 vcc_lo, exec_lo, s30
	s_delay_alu instid0(VALU_DEP_1) | instskip(NEXT) | instid1(VALU_DEP_1)
	v_mul_u64_e32 v[2:3], s[20:21], v[0:1]
	v_add_nc_u32_e32 v2, v0, v3
	s_delay_alu instid0(VALU_DEP_1) | instskip(NEXT) | instid1(VALU_DEP_1)
	v_lshrrev_b32_e32 v2, s6, v2
	v_mul_lo_u32 v3, v2, s4
	s_delay_alu instid0(VALU_DEP_1) | instskip(NEXT) | instid1(VALU_DEP_1)
	v_sub_nc_u32_e32 v3, v0, v3
	v_mul_lo_u32 v4, v3, s8
	v_mul_lo_u32 v5, v3, s10
	;; [unrolled: 1-line block ×3, first 2 shown]
	s_cbranch_vccnz .LBB13_28
; %bb.27:
	v_mov_b32_e32 v3, v1
	s_delay_alu instid0(VALU_DEP_1) | instskip(NEXT) | instid1(VALU_DEP_1)
	v_mul_u64_e32 v[8:9], s[22:23], v[2:3]
	v_add_nc_u32_e32 v1, v2, v9
	s_delay_alu instid0(VALU_DEP_1) | instskip(NEXT) | instid1(VALU_DEP_1)
	v_lshrrev_b32_e32 v1, s17, v1
	v_mul_lo_u32 v1, v1, s7
	s_delay_alu instid0(VALU_DEP_1) | instskip(NEXT) | instid1(VALU_DEP_1)
	v_sub_nc_u32_e32 v1, v2, v1
	v_mad_u32 v4, v1, s11, v4
	v_mad_u32 v6, v1, s18, v6
	;; [unrolled: 1-line block ×3, first 2 shown]
.LBB13_28:
	global_load_b32 v1, v6, s[2:3]
	global_load_b32 v2, v5, s[14:15]
	v_add_nc_u32_e32 v0, 0x80, v0
	s_wait_loadcnt 0x1
	v_cmp_lt_f32_e32 vcc_lo, 0, v1
	s_wait_loadcnt 0x0
	v_mul_f32_e32 v2, v1, v2
	s_delay_alu instid0(VALU_DEP_1) | instskip(SKIP_3) | instid1(SALU_CYCLE_1)
	v_cndmask_b32_e32 v1, v2, v1, vcc_lo
	global_store_b32 v4, v1, s[0:1]
	s_wait_xcnt 0x0
	s_or_b32 exec_lo, exec_lo, s5
	s_mov_b32 s5, exec_lo
	v_cmpx_gt_i32_e64 s33, v0
	s_cbranch_execz .LBB13_4
.LBB13_29:
	s_and_not1_b32 vcc_lo, exec_lo, s28
	s_cbranch_vccnz .LBB13_35
; %bb.30:
	s_and_not1_b32 vcc_lo, exec_lo, s34
	s_cbranch_vccnz .LBB13_36
; %bb.31:
	v_dual_mov_b32 v4, 0 :: v_dual_mov_b32 v1, v0
	v_dual_mov_b32 v6, 0 :: v_dual_mov_b32 v5, 0
	s_add_co_i32 s16, s31, 1
	s_mov_b64 s[24:25], 0xffffffffffffffe8
	s_and_b32 s16, s16, 30
	s_add_nc_u64 s[24:25], s[12:13], s[24:25]
.LBB13_32:                              ; =>This Inner Loop Header: Depth=1
	s_clause 0x1
	s_load_b128 s[36:39], s[24:25], 0x1c
	s_load_b64 s[44:45], s[24:25], 0x2c
	s_add_co_i32 s16, s16, -2
	s_delay_alu instid0(SALU_CYCLE_1) | instskip(SKIP_2) | instid1(VALU_DEP_1)
	s_cmp_eq_u32 s16, 0
	s_wait_kmcnt 0x0
	v_mul_hi_u32 v2, s37, v1
	v_add_nc_u32_e32 v2, v1, v2
	s_delay_alu instid0(VALU_DEP_1) | instskip(NEXT) | instid1(VALU_DEP_1)
	v_lshrrev_b32_e32 v2, s38, v2
	v_mul_hi_u32 v3, s44, v2
	v_mul_lo_u32 v7, v2, s36
	s_clause 0x1
	s_load_b128 s[40:43], s[24:25], 0xdc
	s_load_b64 s[36:37], s[24:25], 0xec
	s_wait_xcnt 0x0
	s_add_nc_u64 s[24:25], s[24:25], 24
	s_delay_alu instid0(VALU_DEP_2) | instskip(NEXT) | instid1(VALU_DEP_2)
	v_add_nc_u32_e32 v3, v2, v3
	v_sub_nc_u32_e32 v7, v1, v7
	s_delay_alu instid0(VALU_DEP_2) | instskip(SKIP_1) | instid1(VALU_DEP_2)
	v_lshrrev_b32_e32 v1, s45, v3
	s_wait_kmcnt 0x0
	v_mad_u32 v4, v7, s40, v4
	s_delay_alu instid0(VALU_DEP_2) | instskip(SKIP_2) | instid1(VALU_DEP_3)
	v_mul_lo_u32 v3, v1, s39
	v_mad_u32 v5, v7, s42, v5
	v_mad_u32 v6, v7, s41, v6
	v_sub_nc_u32_e32 v2, v2, v3
	s_delay_alu instid0(VALU_DEP_1) | instskip(NEXT) | instid1(VALU_DEP_4)
	v_mad_u32 v4, v2, s43, v4
	v_mad_u32 v5, v2, s37, v5
	s_delay_alu instid0(VALU_DEP_4)
	v_mad_u32 v6, v2, s36, v6
	s_cbranch_scc0 .LBB13_32
; %bb.33:
	s_bitcmp1_b32 s31, 0
	s_cselect_b32 s16, -1, 0
	s_delay_alu instid0(SALU_CYCLE_1)
	s_and_b32 vcc_lo, exec_lo, s16
	s_cbranch_vccnz .LBB13_37
; %bb.34:
	s_clause 0x1
	s_load_b96 s[36:38], s[24:25], 0x1c
	s_load_b96 s[40:42], s[24:25], 0xdc
	s_wait_kmcnt 0x0
	v_mul_hi_u32 v2, s37, v1
	s_delay_alu instid0(VALU_DEP_1) | instskip(NEXT) | instid1(VALU_DEP_1)
	v_add_nc_u32_e32 v2, v1, v2
	v_lshrrev_b32_e32 v2, s38, v2
	s_delay_alu instid0(VALU_DEP_1) | instskip(NEXT) | instid1(VALU_DEP_1)
	v_mul_lo_u32 v2, v2, s36
	v_sub_nc_u32_e32 v1, v1, v2
	s_delay_alu instid0(VALU_DEP_1)
	v_mad_u32 v4, v1, s40, v4
	v_mad_u32 v6, v1, s41, v6
	;; [unrolled: 1-line block ×3, first 2 shown]
	s_branch .LBB13_37
.LBB13_35:
                                        ; implicit-def: $vgpr5
                                        ; implicit-def: $vgpr6
                                        ; implicit-def: $vgpr4
	s_branch .LBB13_38
.LBB13_36:
	v_dual_mov_b32 v5, 0 :: v_dual_mov_b32 v6, 0
	v_mov_b32_e32 v4, 0
.LBB13_37:
	s_cbranch_execnz .LBB13_40
.LBB13_38:
	v_mov_b32_e32 v1, 0
	s_and_not1_b32 vcc_lo, exec_lo, s30
	s_delay_alu instid0(VALU_DEP_1) | instskip(NEXT) | instid1(VALU_DEP_1)
	v_mul_u64_e32 v[2:3], s[20:21], v[0:1]
	v_add_nc_u32_e32 v2, v0, v3
	s_delay_alu instid0(VALU_DEP_1) | instskip(NEXT) | instid1(VALU_DEP_1)
	v_lshrrev_b32_e32 v2, s6, v2
	v_mul_lo_u32 v3, v2, s4
	s_delay_alu instid0(VALU_DEP_1) | instskip(NEXT) | instid1(VALU_DEP_1)
	v_sub_nc_u32_e32 v3, v0, v3
	v_mul_lo_u32 v4, v3, s8
	v_mul_lo_u32 v5, v3, s10
	;; [unrolled: 1-line block ×3, first 2 shown]
	s_cbranch_vccnz .LBB13_40
; %bb.39:
	v_mov_b32_e32 v3, v1
	s_delay_alu instid0(VALU_DEP_1) | instskip(NEXT) | instid1(VALU_DEP_1)
	v_mul_u64_e32 v[8:9], s[22:23], v[2:3]
	v_add_nc_u32_e32 v1, v2, v9
	s_delay_alu instid0(VALU_DEP_1) | instskip(NEXT) | instid1(VALU_DEP_1)
	v_lshrrev_b32_e32 v1, s17, v1
	v_mul_lo_u32 v1, v1, s7
	s_delay_alu instid0(VALU_DEP_1) | instskip(NEXT) | instid1(VALU_DEP_1)
	v_sub_nc_u32_e32 v1, v2, v1
	v_mad_u32 v4, v1, s11, v4
	v_mad_u32 v6, v1, s18, v6
	;; [unrolled: 1-line block ×3, first 2 shown]
.LBB13_40:
	global_load_b32 v1, v6, s[2:3]
	global_load_b32 v2, v5, s[14:15]
	v_add_nc_u32_e32 v0, 0x80, v0
	s_wait_loadcnt 0x1
	v_cmp_lt_f32_e32 vcc_lo, 0, v1
	s_wait_loadcnt 0x0
	v_mul_f32_e32 v2, v1, v2
	s_delay_alu instid0(VALU_DEP_1) | instskip(SKIP_3) | instid1(SALU_CYCLE_1)
	v_cndmask_b32_e32 v1, v2, v1, vcc_lo
	global_store_b32 v4, v1, s[0:1]
	s_wait_xcnt 0x0
	s_or_b32 exec_lo, exec_lo, s5
	s_mov_b32 s5, exec_lo
	v_cmpx_gt_i32_e64 s33, v0
	s_cbranch_execz .LBB13_53
.LBB13_41:
	s_and_not1_b32 vcc_lo, exec_lo, s28
	s_cbranch_vccnz .LBB13_47
; %bb.42:
	s_and_not1_b32 vcc_lo, exec_lo, s34
	s_cbranch_vccnz .LBB13_48
; %bb.43:
	v_dual_mov_b32 v4, 0 :: v_dual_mov_b32 v1, v0
	v_dual_mov_b32 v6, 0 :: v_dual_mov_b32 v5, 0
	s_add_co_i32 s16, s31, 1
	s_mov_b64 s[24:25], 0xffffffffffffffe8
	s_and_b32 s16, s16, 30
	s_add_nc_u64 s[24:25], s[12:13], s[24:25]
.LBB13_44:                              ; =>This Inner Loop Header: Depth=1
	s_clause 0x1
	s_load_b128 s[36:39], s[24:25], 0x1c
	s_load_b64 s[34:35], s[24:25], 0x2c
	s_add_co_i32 s16, s16, -2
	s_delay_alu instid0(SALU_CYCLE_1) | instskip(SKIP_2) | instid1(VALU_DEP_1)
	s_cmp_eq_u32 s16, 0
	s_wait_kmcnt 0x0
	v_mul_hi_u32 v2, s37, v1
	v_add_nc_u32_e32 v2, v1, v2
	s_delay_alu instid0(VALU_DEP_1) | instskip(NEXT) | instid1(VALU_DEP_1)
	v_lshrrev_b32_e32 v2, s38, v2
	v_mul_hi_u32 v3, s34, v2
	v_mul_lo_u32 v7, v2, s36
	s_clause 0x1
	s_load_b128 s[40:43], s[24:25], 0xdc
	s_load_b64 s[36:37], s[24:25], 0xec
	s_wait_xcnt 0x0
	s_add_nc_u64 s[24:25], s[24:25], 24
	s_delay_alu instid0(VALU_DEP_2) | instskip(NEXT) | instid1(VALU_DEP_2)
	v_add_nc_u32_e32 v3, v2, v3
	v_sub_nc_u32_e32 v7, v1, v7
	s_delay_alu instid0(VALU_DEP_2) | instskip(SKIP_1) | instid1(VALU_DEP_2)
	v_lshrrev_b32_e32 v1, s35, v3
	s_wait_kmcnt 0x0
	v_mad_u32 v4, v7, s40, v4
	s_delay_alu instid0(VALU_DEP_2) | instskip(SKIP_2) | instid1(VALU_DEP_3)
	v_mul_lo_u32 v3, v1, s39
	v_mad_u32 v5, v7, s42, v5
	v_mad_u32 v6, v7, s41, v6
	v_sub_nc_u32_e32 v2, v2, v3
	s_delay_alu instid0(VALU_DEP_1) | instskip(NEXT) | instid1(VALU_DEP_4)
	v_mad_u32 v4, v2, s43, v4
	v_mad_u32 v5, v2, s37, v5
	s_delay_alu instid0(VALU_DEP_4)
	v_mad_u32 v6, v2, s36, v6
	s_cbranch_scc0 .LBB13_44
; %bb.45:
	s_bitcmp1_b32 s31, 0
	s_cselect_b32 s16, -1, 0
	s_delay_alu instid0(SALU_CYCLE_1)
	s_and_b32 vcc_lo, exec_lo, s16
	s_cbranch_vccnz .LBB13_49
; %bb.46:
	s_clause 0x1
	s_load_b96 s[36:38], s[24:25], 0x1c
	s_load_b96 s[40:42], s[24:25], 0xdc
	s_wait_kmcnt 0x0
	v_mul_hi_u32 v2, s37, v1
	s_delay_alu instid0(VALU_DEP_1) | instskip(NEXT) | instid1(VALU_DEP_1)
	v_add_nc_u32_e32 v2, v1, v2
	v_lshrrev_b32_e32 v2, s38, v2
	s_delay_alu instid0(VALU_DEP_1) | instskip(NEXT) | instid1(VALU_DEP_1)
	v_mul_lo_u32 v2, v2, s36
	v_sub_nc_u32_e32 v1, v1, v2
	s_delay_alu instid0(VALU_DEP_1)
	v_mad_u32 v4, v1, s40, v4
	v_mad_u32 v6, v1, s41, v6
	;; [unrolled: 1-line block ×3, first 2 shown]
	s_branch .LBB13_49
.LBB13_47:
                                        ; implicit-def: $vgpr5
                                        ; implicit-def: $vgpr6
                                        ; implicit-def: $vgpr4
	s_branch .LBB13_50
.LBB13_48:
	v_dual_mov_b32 v5, 0 :: v_dual_mov_b32 v6, 0
	v_mov_b32_e32 v4, 0
.LBB13_49:
	s_cbranch_execnz .LBB13_52
.LBB13_50:
	v_mov_b32_e32 v1, 0
	s_and_not1_b32 vcc_lo, exec_lo, s30
	s_delay_alu instid0(VALU_DEP_1) | instskip(NEXT) | instid1(VALU_DEP_1)
	v_mul_u64_e32 v[2:3], s[20:21], v[0:1]
	v_add_nc_u32_e32 v2, v0, v3
	s_delay_alu instid0(VALU_DEP_1) | instskip(NEXT) | instid1(VALU_DEP_1)
	v_lshrrev_b32_e32 v2, s6, v2
	v_mul_lo_u32 v3, v2, s4
	s_delay_alu instid0(VALU_DEP_1) | instskip(NEXT) | instid1(VALU_DEP_1)
	v_sub_nc_u32_e32 v0, v0, v3
	v_mul_lo_u32 v4, v0, s8
	v_mul_lo_u32 v5, v0, s10
	;; [unrolled: 1-line block ×3, first 2 shown]
	s_cbranch_vccnz .LBB13_52
; %bb.51:
	v_mov_b32_e32 v3, v1
	s_delay_alu instid0(VALU_DEP_1) | instskip(NEXT) | instid1(VALU_DEP_1)
	v_mul_u64_e32 v[0:1], s[22:23], v[2:3]
	v_add_nc_u32_e32 v0, v2, v1
	s_delay_alu instid0(VALU_DEP_1) | instskip(NEXT) | instid1(VALU_DEP_1)
	v_lshrrev_b32_e32 v0, s17, v0
	v_mul_lo_u32 v0, v0, s7
	s_delay_alu instid0(VALU_DEP_1) | instskip(NEXT) | instid1(VALU_DEP_1)
	v_sub_nc_u32_e32 v0, v2, v0
	v_mad_u32 v4, v0, s11, v4
	v_mad_u32 v6, v0, s18, v6
	;; [unrolled: 1-line block ×3, first 2 shown]
.LBB13_52:
	global_load_b32 v0, v6, s[2:3]
	global_load_b32 v1, v5, s[14:15]
	s_wait_loadcnt 0x1
	v_cmp_lt_f32_e32 vcc_lo, 0, v0
	s_wait_loadcnt 0x0
	v_mul_f32_e32 v1, v0, v1
	s_delay_alu instid0(VALU_DEP_1)
	v_cndmask_b32_e32 v0, v1, v0, vcc_lo
	global_store_b32 v4, v0, s[0:1]
.LBB13_53:
	s_wait_xcnt 0x0
	s_or_b32 exec_lo, exec_lo, s5
                                        ; implicit-def: $vgpr3
                                        ; implicit-def: $vgpr0
.LBB13_54:
	s_and_not1_saveexec_b32 s0, s29
	s_cbranch_execz .LBB13_61
; %bb.55:
	v_cndmask_b32_e64 v6, 0, 1, s28
	s_and_not1_b32 vcc_lo, exec_lo, s28
	s_cbranch_vccnz .LBB13_62
; %bb.56:
	s_cmp_lg_u32 s26, 0
	s_mov_b32 s2, 0
	s_cbranch_scc0 .LBB13_66
; %bb.57:
	s_min_u32 s3, s27, 15
	v_dual_mov_b32 v1, 0 :: v_dual_mov_b32 v5, v0
	v_dual_mov_b32 v4, 0 :: v_dual_mov_b32 v2, 0
	s_add_co_i32 s4, s3, 1
	s_mov_b64 s[0:1], 0xffffffffffffffe8
	s_and_b32 s4, s4, 30
	s_add_nc_u64 s[0:1], s[12:13], s[0:1]
.LBB13_58:                              ; =>This Inner Loop Header: Depth=1
	s_clause 0x1
	s_load_b128 s[8:11], s[0:1], 0x1c
	s_load_b64 s[6:7], s[0:1], 0x2c
	s_add_co_i32 s4, s4, -2
	s_delay_alu instid0(SALU_CYCLE_1) | instskip(SKIP_2) | instid1(VALU_DEP_1)
	s_cmp_lg_u32 s4, 0
	s_wait_kmcnt 0x0
	v_mul_hi_u32 v7, s9, v5
	v_add_nc_u32_e32 v7, v5, v7
	s_delay_alu instid0(VALU_DEP_1) | instskip(NEXT) | instid1(VALU_DEP_1)
	v_lshrrev_b32_e32 v7, s10, v7
	v_mul_hi_u32 v8, s6, v7
	v_mul_lo_u32 v9, v7, s8
	s_clause 0x1
	s_load_b128 s[16:19], s[0:1], 0xdc
	s_load_b64 s[8:9], s[0:1], 0xec
	s_wait_xcnt 0x0
	s_add_nc_u64 s[0:1], s[0:1], 24
	s_delay_alu instid0(VALU_DEP_1) | instskip(NEXT) | instid1(VALU_DEP_1)
	v_dual_add_nc_u32 v8, v7, v8 :: v_dual_sub_nc_u32 v9, v5, v9
	v_lshrrev_b32_e32 v5, s7, v8
	s_wait_kmcnt 0x0
	s_delay_alu instid0(VALU_DEP_2) | instskip(NEXT) | instid1(VALU_DEP_2)
	v_mad_u32 v1, v9, s16, v1
	v_mul_lo_u32 v8, v5, s11
	v_mad_u32 v2, v9, s18, v2
	v_mad_u32 v4, v9, s17, v4
	s_delay_alu instid0(VALU_DEP_3) | instskip(NEXT) | instid1(VALU_DEP_1)
	v_sub_nc_u32_e32 v7, v7, v8
	v_mad_u32 v1, v7, s19, v1
	s_delay_alu instid0(VALU_DEP_4) | instskip(NEXT) | instid1(VALU_DEP_4)
	v_mad_u32 v2, v7, s9, v2
	v_mad_u32 v4, v7, s8, v4
	s_cbranch_scc1 .LBB13_58
; %bb.59:
	s_bitcmp1_b32 s3, 0
	s_cselect_b32 s3, -1, 0
	s_delay_alu instid0(SALU_CYCLE_1)
	s_and_b32 vcc_lo, exec_lo, s3
	s_cbranch_vccnz .LBB13_63
; %bb.60:
	s_clause 0x1
	s_load_b96 s[4:6], s[0:1], 0x1c
	s_load_b96 s[8:10], s[0:1], 0xdc
	s_wait_kmcnt 0x0
	v_mul_hi_u32 v7, s5, v5
	s_delay_alu instid0(VALU_DEP_1) | instskip(NEXT) | instid1(VALU_DEP_1)
	v_add_nc_u32_e32 v7, v5, v7
	v_lshrrev_b32_e32 v7, s6, v7
	s_delay_alu instid0(VALU_DEP_1) | instskip(NEXT) | instid1(VALU_DEP_1)
	v_mul_lo_u32 v7, v7, s4
	v_sub_nc_u32_e32 v5, v5, v7
	s_delay_alu instid0(VALU_DEP_1)
	v_mad_u32 v1, v5, s8, v1
	v_mad_u32 v4, v5, s9, v4
	;; [unrolled: 1-line block ×3, first 2 shown]
	s_and_not1_b32 vcc_lo, exec_lo, s2
	s_cbranch_vccz .LBB13_64
	s_branch .LBB13_67
.LBB13_61:
	s_endpgm
.LBB13_62:
	s_mov_b32 s2, -1
                                        ; implicit-def: $vgpr2
                                        ; implicit-def: $vgpr4
                                        ; implicit-def: $vgpr1
.LBB13_63:
	s_delay_alu instid0(SALU_CYCLE_1)
	s_and_not1_b32 vcc_lo, exec_lo, s2
	s_cbranch_vccnz .LBB13_67
.LBB13_64:
	s_clause 0x1
	s_load_b96 s[0:2], s[12:13], 0x4
	s_load_b96 s[4:6], s[12:13], 0xc4
	s_cmp_lt_u32 s26, 2
	s_wait_kmcnt 0x0
	v_mul_hi_u32 v1, s1, v0
	s_delay_alu instid0(VALU_DEP_1) | instskip(NEXT) | instid1(VALU_DEP_1)
	v_add_nc_u32_e32 v1, v0, v1
	v_lshrrev_b32_e32 v5, s2, v1
	s_delay_alu instid0(VALU_DEP_1) | instskip(NEXT) | instid1(VALU_DEP_1)
	v_mul_lo_u32 v1, v5, s0
	v_sub_nc_u32_e32 v4, v0, v1
	s_delay_alu instid0(VALU_DEP_1)
	v_mul_lo_u32 v1, v4, s4
	v_mul_lo_u32 v2, v4, s6
	v_mul_lo_u32 v4, v4, s5
	s_cbranch_scc1 .LBB13_67
; %bb.65:
	s_clause 0x1
	s_load_b96 s[0:2], s[12:13], 0x10
	s_load_b96 s[4:6], s[12:13], 0xd0
	s_wait_kmcnt 0x0
	v_mul_hi_u32 v7, s1, v5
	s_delay_alu instid0(VALU_DEP_1) | instskip(NEXT) | instid1(VALU_DEP_1)
	v_add_nc_u32_e32 v7, v5, v7
	v_lshrrev_b32_e32 v7, s2, v7
	s_delay_alu instid0(VALU_DEP_1) | instskip(NEXT) | instid1(VALU_DEP_1)
	v_mul_lo_u32 v7, v7, s0
	v_sub_nc_u32_e32 v5, v5, v7
	s_delay_alu instid0(VALU_DEP_1)
	v_mad_u32 v1, v5, s4, v1
	v_mad_u32 v4, v5, s5, v4
	;; [unrolled: 1-line block ×3, first 2 shown]
	s_branch .LBB13_67
.LBB13_66:
	v_dual_mov_b32 v2, 0 :: v_dual_mov_b32 v4, 0
	v_mov_b32_e32 v1, 0
	s_and_not1_b32 vcc_lo, exec_lo, s2
	s_cbranch_vccz .LBB13_64
.LBB13_67:
	v_cmp_ne_u32_e32 vcc_lo, 1, v6
	v_add_nc_u32_e32 v9, 0x80, v0
	s_cbranch_vccnz .LBB13_73
; %bb.68:
	s_cmp_lg_u32 s26, 0
	s_mov_b32 s2, 0
	s_cbranch_scc0 .LBB13_77
; %bb.69:
	s_min_u32 s3, s27, 15
	v_dual_mov_b32 v5, 0 :: v_dual_mov_b32 v10, v9
	v_dual_mov_b32 v8, 0 :: v_dual_mov_b32 v7, 0
	s_add_co_i32 s4, s3, 1
	s_mov_b64 s[0:1], 0xffffffffffffffe8
	s_and_b32 s4, s4, 30
	s_add_nc_u64 s[0:1], s[12:13], s[0:1]
.LBB13_70:                              ; =>This Inner Loop Header: Depth=1
	s_clause 0x1
	s_load_b128 s[8:11], s[0:1], 0x1c
	s_load_b64 s[6:7], s[0:1], 0x2c
	s_add_co_i32 s4, s4, -2
	s_delay_alu instid0(SALU_CYCLE_1) | instskip(SKIP_2) | instid1(VALU_DEP_1)
	s_cmp_lg_u32 s4, 0
	s_wait_kmcnt 0x0
	v_mul_hi_u32 v11, s9, v10
	v_add_nc_u32_e32 v11, v10, v11
	s_delay_alu instid0(VALU_DEP_1) | instskip(NEXT) | instid1(VALU_DEP_1)
	v_lshrrev_b32_e32 v11, s10, v11
	v_mul_hi_u32 v12, s6, v11
	v_mul_lo_u32 v13, v11, s8
	s_clause 0x1
	s_load_b128 s[16:19], s[0:1], 0xdc
	s_load_b64 s[8:9], s[0:1], 0xec
	s_wait_xcnt 0x0
	s_add_nc_u64 s[0:1], s[0:1], 24
	s_delay_alu instid0(VALU_DEP_1) | instskip(NEXT) | instid1(VALU_DEP_1)
	v_dual_add_nc_u32 v12, v11, v12 :: v_dual_sub_nc_u32 v13, v10, v13
	v_lshrrev_b32_e32 v10, s7, v12
	s_wait_kmcnt 0x0
	s_delay_alu instid0(VALU_DEP_2) | instskip(NEXT) | instid1(VALU_DEP_2)
	v_mad_u32 v5, v13, s16, v5
	v_mul_lo_u32 v12, v10, s11
	v_mad_u32 v7, v13, s18, v7
	v_mad_u32 v8, v13, s17, v8
	s_delay_alu instid0(VALU_DEP_3) | instskip(NEXT) | instid1(VALU_DEP_1)
	v_sub_nc_u32_e32 v11, v11, v12
	v_mad_u32 v5, v11, s19, v5
	s_delay_alu instid0(VALU_DEP_4) | instskip(NEXT) | instid1(VALU_DEP_4)
	v_mad_u32 v7, v11, s9, v7
	v_mad_u32 v8, v11, s8, v8
	s_cbranch_scc1 .LBB13_70
; %bb.71:
	s_bitcmp1_b32 s3, 0
	s_cselect_b32 s3, -1, 0
	s_delay_alu instid0(SALU_CYCLE_1)
	s_and_b32 vcc_lo, exec_lo, s3
	s_cbranch_vccnz .LBB13_74
; %bb.72:
	s_clause 0x1
	s_load_b96 s[4:6], s[0:1], 0x1c
	s_load_b96 s[8:10], s[0:1], 0xdc
	s_wait_kmcnt 0x0
	v_mul_hi_u32 v11, s5, v10
	s_delay_alu instid0(VALU_DEP_1) | instskip(NEXT) | instid1(VALU_DEP_1)
	v_add_nc_u32_e32 v11, v10, v11
	v_lshrrev_b32_e32 v11, s6, v11
	s_delay_alu instid0(VALU_DEP_1) | instskip(NEXT) | instid1(VALU_DEP_1)
	v_mul_lo_u32 v11, v11, s4
	v_sub_nc_u32_e32 v10, v10, v11
	s_delay_alu instid0(VALU_DEP_1)
	v_mad_u32 v5, v10, s8, v5
	v_mad_u32 v8, v10, s9, v8
	;; [unrolled: 1-line block ×3, first 2 shown]
	s_and_not1_b32 vcc_lo, exec_lo, s2
	s_cbranch_vccz .LBB13_75
	s_branch .LBB13_78
.LBB13_73:
	s_mov_b32 s2, -1
                                        ; implicit-def: $vgpr7
                                        ; implicit-def: $vgpr8
                                        ; implicit-def: $vgpr5
.LBB13_74:
	s_delay_alu instid0(SALU_CYCLE_1)
	s_and_not1_b32 vcc_lo, exec_lo, s2
	s_cbranch_vccnz .LBB13_78
.LBB13_75:
	s_clause 0x1
	s_load_b96 s[0:2], s[12:13], 0x4
	s_load_b96 s[4:6], s[12:13], 0xc4
	s_cmp_lt_u32 s26, 2
	s_wait_kmcnt 0x0
	v_mul_hi_u32 v5, s1, v9
	s_delay_alu instid0(VALU_DEP_1) | instskip(NEXT) | instid1(VALU_DEP_1)
	v_add_nc_u32_e32 v5, v9, v5
	v_lshrrev_b32_e32 v10, s2, v5
	s_delay_alu instid0(VALU_DEP_1) | instskip(NEXT) | instid1(VALU_DEP_1)
	v_mul_lo_u32 v5, v10, s0
	v_sub_nc_u32_e32 v8, v9, v5
	s_delay_alu instid0(VALU_DEP_1)
	v_mul_lo_u32 v5, v8, s4
	v_mul_lo_u32 v7, v8, s6
	;; [unrolled: 1-line block ×3, first 2 shown]
	s_cbranch_scc1 .LBB13_78
; %bb.76:
	s_clause 0x1
	s_load_b96 s[0:2], s[12:13], 0x10
	s_load_b96 s[4:6], s[12:13], 0xd0
	s_wait_kmcnt 0x0
	v_mul_hi_u32 v9, s1, v10
	s_delay_alu instid0(VALU_DEP_1) | instskip(NEXT) | instid1(VALU_DEP_1)
	v_add_nc_u32_e32 v9, v10, v9
	v_lshrrev_b32_e32 v9, s2, v9
	s_delay_alu instid0(VALU_DEP_1) | instskip(NEXT) | instid1(VALU_DEP_1)
	v_mul_lo_u32 v9, v9, s0
	v_sub_nc_u32_e32 v9, v10, v9
	s_delay_alu instid0(VALU_DEP_1)
	v_mad_u32 v5, v9, s4, v5
	v_mad_u32 v8, v9, s5, v8
	;; [unrolled: 1-line block ×3, first 2 shown]
	s_branch .LBB13_78
.LBB13_77:
	v_dual_mov_b32 v7, 0 :: v_dual_mov_b32 v8, 0
	v_mov_b32_e32 v5, 0
	s_and_not1_b32 vcc_lo, exec_lo, s2
	s_cbranch_vccz .LBB13_75
.LBB13_78:
	v_cmp_ne_u32_e32 vcc_lo, 1, v6
	v_add_nc_u32_e32 v11, 0x100, v0
	s_cbranch_vccnz .LBB13_84
; %bb.79:
	s_cmp_lg_u32 s26, 0
	s_mov_b32 s2, 0
	s_cbranch_scc0 .LBB13_88
; %bb.80:
	s_min_u32 s3, s27, 15
	v_dual_mov_b32 v0, 0 :: v_dual_mov_b32 v12, v11
	v_dual_mov_b32 v9, 0 :: v_dual_mov_b32 v10, 0
	s_add_co_i32 s4, s3, 1
	s_mov_b64 s[0:1], 0xffffffffffffffe8
	s_and_b32 s4, s4, 30
	s_add_nc_u64 s[0:1], s[12:13], s[0:1]
.LBB13_81:                              ; =>This Inner Loop Header: Depth=1
	s_clause 0x1
	s_load_b128 s[8:11], s[0:1], 0x1c
	s_load_b64 s[6:7], s[0:1], 0x2c
	s_add_co_i32 s4, s4, -2
	s_delay_alu instid0(SALU_CYCLE_1) | instskip(SKIP_2) | instid1(VALU_DEP_1)
	s_cmp_lg_u32 s4, 0
	s_wait_kmcnt 0x0
	v_mul_hi_u32 v13, s9, v12
	v_add_nc_u32_e32 v13, v12, v13
	s_delay_alu instid0(VALU_DEP_1) | instskip(NEXT) | instid1(VALU_DEP_1)
	v_lshrrev_b32_e32 v13, s10, v13
	v_mul_hi_u32 v14, s6, v13
	v_mul_lo_u32 v15, v13, s8
	s_clause 0x1
	s_load_b128 s[16:19], s[0:1], 0xdc
	s_load_b64 s[8:9], s[0:1], 0xec
	s_wait_xcnt 0x0
	s_add_nc_u64 s[0:1], s[0:1], 24
	s_delay_alu instid0(VALU_DEP_1) | instskip(NEXT) | instid1(VALU_DEP_1)
	v_dual_add_nc_u32 v14, v13, v14 :: v_dual_sub_nc_u32 v15, v12, v15
	v_lshrrev_b32_e32 v12, s7, v14
	s_wait_kmcnt 0x0
	s_delay_alu instid0(VALU_DEP_2) | instskip(NEXT) | instid1(VALU_DEP_2)
	v_mad_u32 v0, v15, s16, v0
	v_mul_lo_u32 v14, v12, s11
	v_mad_u32 v10, v15, s18, v10
	v_mad_u32 v9, v15, s17, v9
	s_delay_alu instid0(VALU_DEP_3) | instskip(NEXT) | instid1(VALU_DEP_1)
	v_sub_nc_u32_e32 v13, v13, v14
	v_mad_u32 v0, v13, s19, v0
	s_delay_alu instid0(VALU_DEP_4) | instskip(NEXT) | instid1(VALU_DEP_4)
	v_mad_u32 v10, v13, s9, v10
	v_mad_u32 v9, v13, s8, v9
	s_cbranch_scc1 .LBB13_81
; %bb.82:
	s_bitcmp1_b32 s3, 0
	s_cselect_b32 s3, -1, 0
	s_delay_alu instid0(SALU_CYCLE_1)
	s_and_b32 vcc_lo, exec_lo, s3
	s_cbranch_vccnz .LBB13_85
; %bb.83:
	s_clause 0x1
	s_load_b96 s[4:6], s[0:1], 0x1c
	s_load_b96 s[8:10], s[0:1], 0xdc
	s_wait_kmcnt 0x0
	v_mul_hi_u32 v13, s5, v12
	s_delay_alu instid0(VALU_DEP_1) | instskip(NEXT) | instid1(VALU_DEP_1)
	v_add_nc_u32_e32 v13, v12, v13
	v_lshrrev_b32_e32 v13, s6, v13
	s_delay_alu instid0(VALU_DEP_1) | instskip(NEXT) | instid1(VALU_DEP_1)
	v_mul_lo_u32 v13, v13, s4
	v_sub_nc_u32_e32 v12, v12, v13
	s_delay_alu instid0(VALU_DEP_1)
	v_mad_u32 v0, v12, s8, v0
	v_mad_u32 v9, v12, s9, v9
	;; [unrolled: 1-line block ×3, first 2 shown]
	s_and_not1_b32 vcc_lo, exec_lo, s2
	s_cbranch_vccz .LBB13_86
	s_branch .LBB13_89
.LBB13_84:
	s_mov_b32 s2, -1
                                        ; implicit-def: $vgpr10
                                        ; implicit-def: $vgpr9
                                        ; implicit-def: $vgpr0
.LBB13_85:
	s_delay_alu instid0(SALU_CYCLE_1)
	s_and_not1_b32 vcc_lo, exec_lo, s2
	s_cbranch_vccnz .LBB13_89
.LBB13_86:
	s_clause 0x1
	s_load_b96 s[0:2], s[12:13], 0x4
	s_load_b96 s[4:6], s[12:13], 0xc4
	s_cmp_lt_u32 s26, 2
	s_wait_kmcnt 0x0
	v_mul_hi_u32 v0, s1, v11
	s_delay_alu instid0(VALU_DEP_1) | instskip(NEXT) | instid1(VALU_DEP_1)
	v_add_nc_u32_e32 v0, v11, v0
	v_lshrrev_b32_e32 v12, s2, v0
	s_delay_alu instid0(VALU_DEP_1) | instskip(NEXT) | instid1(VALU_DEP_1)
	v_mul_lo_u32 v0, v12, s0
	v_sub_nc_u32_e32 v9, v11, v0
	s_delay_alu instid0(VALU_DEP_1)
	v_mul_lo_u32 v0, v9, s4
	v_mul_lo_u32 v10, v9, s6
	;; [unrolled: 1-line block ×3, first 2 shown]
	s_cbranch_scc1 .LBB13_89
; %bb.87:
	s_clause 0x1
	s_load_b96 s[0:2], s[12:13], 0x10
	s_load_b96 s[4:6], s[12:13], 0xd0
	s_wait_kmcnt 0x0
	v_mul_hi_u32 v11, s1, v12
	s_delay_alu instid0(VALU_DEP_1) | instskip(NEXT) | instid1(VALU_DEP_1)
	v_add_nc_u32_e32 v11, v12, v11
	v_lshrrev_b32_e32 v11, s2, v11
	s_delay_alu instid0(VALU_DEP_1) | instskip(NEXT) | instid1(VALU_DEP_1)
	v_mul_lo_u32 v11, v11, s0
	v_sub_nc_u32_e32 v11, v12, v11
	s_delay_alu instid0(VALU_DEP_1)
	v_mad_u32 v0, v11, s4, v0
	v_mad_u32 v9, v11, s5, v9
	;; [unrolled: 1-line block ×3, first 2 shown]
	s_branch .LBB13_89
.LBB13_88:
	v_dual_mov_b32 v10, 0 :: v_dual_mov_b32 v9, 0
	v_mov_b32_e32 v0, 0
	s_and_not1_b32 vcc_lo, exec_lo, s2
	s_cbranch_vccz .LBB13_86
.LBB13_89:
	v_cmp_ne_u32_e32 vcc_lo, 1, v6
	s_cbranch_vccnz .LBB13_95
; %bb.90:
	s_cmp_lg_u32 s26, 0
	s_mov_b32 s2, 0
	s_cbranch_scc0 .LBB13_99
; %bb.91:
	s_min_u32 s3, s27, 15
	v_dual_mov_b32 v6, 0 :: v_dual_mov_b32 v13, v3
	v_dual_mov_b32 v12, 0 :: v_dual_mov_b32 v11, 0
	s_add_co_i32 s4, s3, 1
	s_mov_b64 s[0:1], 0xffffffffffffffe8
	s_and_b32 s4, s4, 30
	s_add_nc_u64 s[0:1], s[12:13], s[0:1]
.LBB13_92:                              ; =>This Inner Loop Header: Depth=1
	s_clause 0x1
	s_load_b128 s[8:11], s[0:1], 0x1c
	s_load_b64 s[6:7], s[0:1], 0x2c
	s_add_co_i32 s4, s4, -2
	s_delay_alu instid0(SALU_CYCLE_1) | instskip(SKIP_2) | instid1(VALU_DEP_1)
	s_cmp_lg_u32 s4, 0
	s_wait_kmcnt 0x0
	v_mul_hi_u32 v14, s9, v13
	v_add_nc_u32_e32 v14, v13, v14
	s_delay_alu instid0(VALU_DEP_1) | instskip(NEXT) | instid1(VALU_DEP_1)
	v_lshrrev_b32_e32 v14, s10, v14
	v_mul_hi_u32 v15, s6, v14
	v_mul_lo_u32 v16, v14, s8
	s_clause 0x1
	s_load_b128 s[16:19], s[0:1], 0xdc
	s_load_b64 s[8:9], s[0:1], 0xec
	s_wait_xcnt 0x0
	s_add_nc_u64 s[0:1], s[0:1], 24
	s_delay_alu instid0(VALU_DEP_1) | instskip(NEXT) | instid1(VALU_DEP_1)
	v_dual_add_nc_u32 v15, v14, v15 :: v_dual_sub_nc_u32 v16, v13, v16
	v_lshrrev_b32_e32 v13, s7, v15
	s_wait_kmcnt 0x0
	s_delay_alu instid0(VALU_DEP_2) | instskip(NEXT) | instid1(VALU_DEP_2)
	v_mad_u32 v6, v16, s16, v6
	v_mul_lo_u32 v15, v13, s11
	v_mad_u32 v11, v16, s18, v11
	v_mad_u32 v12, v16, s17, v12
	s_delay_alu instid0(VALU_DEP_3) | instskip(NEXT) | instid1(VALU_DEP_1)
	v_sub_nc_u32_e32 v14, v14, v15
	v_mad_u32 v6, v14, s19, v6
	s_delay_alu instid0(VALU_DEP_4) | instskip(NEXT) | instid1(VALU_DEP_4)
	v_mad_u32 v11, v14, s9, v11
	v_mad_u32 v12, v14, s8, v12
	s_cbranch_scc1 .LBB13_92
; %bb.93:
	s_bitcmp1_b32 s3, 0
	s_cselect_b32 s3, -1, 0
	s_delay_alu instid0(SALU_CYCLE_1)
	s_and_b32 vcc_lo, exec_lo, s3
	s_cbranch_vccnz .LBB13_96
; %bb.94:
	s_clause 0x1
	s_load_b96 s[4:6], s[0:1], 0x1c
	s_load_b96 s[8:10], s[0:1], 0xdc
	s_wait_kmcnt 0x0
	v_mul_hi_u32 v14, s5, v13
	s_delay_alu instid0(VALU_DEP_1) | instskip(NEXT) | instid1(VALU_DEP_1)
	v_add_nc_u32_e32 v14, v13, v14
	v_lshrrev_b32_e32 v14, s6, v14
	s_delay_alu instid0(VALU_DEP_1) | instskip(NEXT) | instid1(VALU_DEP_1)
	v_mul_lo_u32 v14, v14, s4
	v_sub_nc_u32_e32 v13, v13, v14
	s_delay_alu instid0(VALU_DEP_1)
	v_mad_u32 v6, v13, s8, v6
	v_mad_u32 v12, v13, s9, v12
	;; [unrolled: 1-line block ×3, first 2 shown]
	s_and_not1_b32 vcc_lo, exec_lo, s2
	s_cbranch_vccz .LBB13_97
	s_branch .LBB13_100
.LBB13_95:
	s_mov_b32 s2, -1
                                        ; implicit-def: $vgpr11
                                        ; implicit-def: $vgpr12
                                        ; implicit-def: $vgpr6
.LBB13_96:
	s_delay_alu instid0(SALU_CYCLE_1)
	s_and_not1_b32 vcc_lo, exec_lo, s2
	s_cbranch_vccnz .LBB13_100
.LBB13_97:
	s_clause 0x1
	s_load_b96 s[0:2], s[12:13], 0x4
	s_load_b96 s[4:6], s[12:13], 0xc4
	s_cmp_lt_u32 s26, 2
	s_wait_kmcnt 0x0
	v_mul_hi_u32 v6, s1, v3
	s_delay_alu instid0(VALU_DEP_1) | instskip(NEXT) | instid1(VALU_DEP_1)
	v_add_nc_u32_e32 v6, v3, v6
	v_lshrrev_b32_e32 v13, s2, v6
	s_delay_alu instid0(VALU_DEP_1) | instskip(NEXT) | instid1(VALU_DEP_1)
	v_mul_lo_u32 v6, v13, s0
	v_sub_nc_u32_e32 v3, v3, v6
	s_delay_alu instid0(VALU_DEP_1)
	v_mul_lo_u32 v6, v3, s4
	v_mul_lo_u32 v11, v3, s6
	;; [unrolled: 1-line block ×3, first 2 shown]
	s_cbranch_scc1 .LBB13_100
; %bb.98:
	s_clause 0x1
	s_load_b96 s[0:2], s[12:13], 0x10
	s_load_b96 s[4:6], s[12:13], 0xd0
	s_wait_kmcnt 0x0
	v_mul_hi_u32 v3, s1, v13
	s_delay_alu instid0(VALU_DEP_1) | instskip(NEXT) | instid1(VALU_DEP_1)
	v_add_nc_u32_e32 v3, v13, v3
	v_lshrrev_b32_e32 v3, s2, v3
	s_delay_alu instid0(VALU_DEP_1) | instskip(NEXT) | instid1(VALU_DEP_1)
	v_mul_lo_u32 v3, v3, s0
	v_sub_nc_u32_e32 v3, v13, v3
	s_delay_alu instid0(VALU_DEP_1)
	v_mad_u32 v6, v3, s4, v6
	v_mad_u32 v12, v3, s5, v12
	;; [unrolled: 1-line block ×3, first 2 shown]
	s_branch .LBB13_100
.LBB13_99:
	v_dual_mov_b32 v11, 0 :: v_dual_mov_b32 v12, 0
	v_mov_b32_e32 v6, 0
	s_and_not1_b32 vcc_lo, exec_lo, s2
	s_cbranch_vccz .LBB13_97
.LBB13_100:
	s_clause 0x1
	s_load_b128 s[0:3], s[12:13], 0x188
	s_load_b64 s[4:5], s[12:13], 0x198
	s_wait_kmcnt 0x0
	global_load_b32 v3, v4, s[2:3]
	global_load_b32 v13, v2, s[4:5]
	;; [unrolled: 1-line block ×8, first 2 shown]
	s_wait_loadcnt 0x7
	v_cmp_lt_f32_e32 vcc_lo, 0, v3
	s_wait_loadcnt 0x4
	s_wait_xcnt 0x6
	v_dual_mul_f32 v2, v3, v13 :: v_dual_mul_f32 v4, v14, v15
	s_wait_loadcnt 0x2
	s_wait_xcnt 0x4
	s_delay_alu instid0(VALU_DEP_1)
	v_dual_mul_f32 v7, v16, v17 :: v_dual_cndmask_b32 v2, v2, v3
	v_cmp_lt_f32_e32 vcc_lo, 0, v14
	s_wait_loadcnt 0x0
	v_dual_mul_f32 v8, v18, v19 :: v_dual_cndmask_b32 v3, v4, v14
	v_cmp_lt_f32_e32 vcc_lo, 0, v16
	v_cndmask_b32_e32 v4, v7, v16, vcc_lo
	v_cmp_lt_f32_e32 vcc_lo, 0, v18
	s_delay_alu instid0(VALU_DEP_4)
	v_cndmask_b32_e32 v7, v8, v18, vcc_lo
	s_clause 0x3
	global_store_b32 v1, v2, s[0:1]
	global_store_b32 v5, v3, s[0:1]
	global_store_b32 v0, v4, s[0:1]
	global_store_b32 v6, v7, s[0:1]
	s_endpgm
	.section	.rodata,"a",@progbits
	.p2align	6, 0x0
	.amdhsa_kernel _ZN2at6native32elementwise_kernel_manual_unrollILi128ELi4EZNS0_22gpu_kernel_impl_nocastIZZZNS0_12prelu_kernelERNS_14TensorIteratorEENKUlvE_clEvENKUlvE0_clEvEUlffE_EEvRNS_18TensorIteratorBaseERKT_EUlibE_EEviT1_
		.amdhsa_group_segment_fixed_size 0
		.amdhsa_private_segment_fixed_size 0
		.amdhsa_kernarg_size 432
		.amdhsa_user_sgpr_count 2
		.amdhsa_user_sgpr_dispatch_ptr 0
		.amdhsa_user_sgpr_queue_ptr 0
		.amdhsa_user_sgpr_kernarg_segment_ptr 1
		.amdhsa_user_sgpr_dispatch_id 0
		.amdhsa_user_sgpr_kernarg_preload_length 0
		.amdhsa_user_sgpr_kernarg_preload_offset 0
		.amdhsa_user_sgpr_private_segment_size 0
		.amdhsa_wavefront_size32 1
		.amdhsa_uses_dynamic_stack 0
		.amdhsa_enable_private_segment 0
		.amdhsa_system_sgpr_workgroup_id_x 1
		.amdhsa_system_sgpr_workgroup_id_y 0
		.amdhsa_system_sgpr_workgroup_id_z 0
		.amdhsa_system_sgpr_workgroup_info 0
		.amdhsa_system_vgpr_workitem_id 0
		.amdhsa_next_free_vgpr 20
		.amdhsa_next_free_sgpr 46
		.amdhsa_named_barrier_count 0
		.amdhsa_reserve_vcc 1
		.amdhsa_float_round_mode_32 0
		.amdhsa_float_round_mode_16_64 0
		.amdhsa_float_denorm_mode_32 3
		.amdhsa_float_denorm_mode_16_64 3
		.amdhsa_fp16_overflow 0
		.amdhsa_memory_ordered 1
		.amdhsa_forward_progress 1
		.amdhsa_inst_pref_size 43
		.amdhsa_round_robin_scheduling 0
		.amdhsa_exception_fp_ieee_invalid_op 0
		.amdhsa_exception_fp_denorm_src 0
		.amdhsa_exception_fp_ieee_div_zero 0
		.amdhsa_exception_fp_ieee_overflow 0
		.amdhsa_exception_fp_ieee_underflow 0
		.amdhsa_exception_fp_ieee_inexact 0
		.amdhsa_exception_int_div_zero 0
	.end_amdhsa_kernel
	.section	.text._ZN2at6native32elementwise_kernel_manual_unrollILi128ELi4EZNS0_22gpu_kernel_impl_nocastIZZZNS0_12prelu_kernelERNS_14TensorIteratorEENKUlvE_clEvENKUlvE0_clEvEUlffE_EEvRNS_18TensorIteratorBaseERKT_EUlibE_EEviT1_,"axG",@progbits,_ZN2at6native32elementwise_kernel_manual_unrollILi128ELi4EZNS0_22gpu_kernel_impl_nocastIZZZNS0_12prelu_kernelERNS_14TensorIteratorEENKUlvE_clEvENKUlvE0_clEvEUlffE_EEvRNS_18TensorIteratorBaseERKT_EUlibE_EEviT1_,comdat
.Lfunc_end13:
	.size	_ZN2at6native32elementwise_kernel_manual_unrollILi128ELi4EZNS0_22gpu_kernel_impl_nocastIZZZNS0_12prelu_kernelERNS_14TensorIteratorEENKUlvE_clEvENKUlvE0_clEvEUlffE_EEvRNS_18TensorIteratorBaseERKT_EUlibE_EEviT1_, .Lfunc_end13-_ZN2at6native32elementwise_kernel_manual_unrollILi128ELi4EZNS0_22gpu_kernel_impl_nocastIZZZNS0_12prelu_kernelERNS_14TensorIteratorEENKUlvE_clEvENKUlvE0_clEvEUlffE_EEvRNS_18TensorIteratorBaseERKT_EUlibE_EEviT1_
                                        ; -- End function
	.set _ZN2at6native32elementwise_kernel_manual_unrollILi128ELi4EZNS0_22gpu_kernel_impl_nocastIZZZNS0_12prelu_kernelERNS_14TensorIteratorEENKUlvE_clEvENKUlvE0_clEvEUlffE_EEvRNS_18TensorIteratorBaseERKT_EUlibE_EEviT1_.num_vgpr, 20
	.set _ZN2at6native32elementwise_kernel_manual_unrollILi128ELi4EZNS0_22gpu_kernel_impl_nocastIZZZNS0_12prelu_kernelERNS_14TensorIteratorEENKUlvE_clEvENKUlvE0_clEvEUlffE_EEvRNS_18TensorIteratorBaseERKT_EUlibE_EEviT1_.num_agpr, 0
	.set _ZN2at6native32elementwise_kernel_manual_unrollILi128ELi4EZNS0_22gpu_kernel_impl_nocastIZZZNS0_12prelu_kernelERNS_14TensorIteratorEENKUlvE_clEvENKUlvE0_clEvEUlffE_EEvRNS_18TensorIteratorBaseERKT_EUlibE_EEviT1_.numbered_sgpr, 46
	.set _ZN2at6native32elementwise_kernel_manual_unrollILi128ELi4EZNS0_22gpu_kernel_impl_nocastIZZZNS0_12prelu_kernelERNS_14TensorIteratorEENKUlvE_clEvENKUlvE0_clEvEUlffE_EEvRNS_18TensorIteratorBaseERKT_EUlibE_EEviT1_.num_named_barrier, 0
	.set _ZN2at6native32elementwise_kernel_manual_unrollILi128ELi4EZNS0_22gpu_kernel_impl_nocastIZZZNS0_12prelu_kernelERNS_14TensorIteratorEENKUlvE_clEvENKUlvE0_clEvEUlffE_EEvRNS_18TensorIteratorBaseERKT_EUlibE_EEviT1_.private_seg_size, 0
	.set _ZN2at6native32elementwise_kernel_manual_unrollILi128ELi4EZNS0_22gpu_kernel_impl_nocastIZZZNS0_12prelu_kernelERNS_14TensorIteratorEENKUlvE_clEvENKUlvE0_clEvEUlffE_EEvRNS_18TensorIteratorBaseERKT_EUlibE_EEviT1_.uses_vcc, 1
	.set _ZN2at6native32elementwise_kernel_manual_unrollILi128ELi4EZNS0_22gpu_kernel_impl_nocastIZZZNS0_12prelu_kernelERNS_14TensorIteratorEENKUlvE_clEvENKUlvE0_clEvEUlffE_EEvRNS_18TensorIteratorBaseERKT_EUlibE_EEviT1_.uses_flat_scratch, 0
	.set _ZN2at6native32elementwise_kernel_manual_unrollILi128ELi4EZNS0_22gpu_kernel_impl_nocastIZZZNS0_12prelu_kernelERNS_14TensorIteratorEENKUlvE_clEvENKUlvE0_clEvEUlffE_EEvRNS_18TensorIteratorBaseERKT_EUlibE_EEviT1_.has_dyn_sized_stack, 0
	.set _ZN2at6native32elementwise_kernel_manual_unrollILi128ELi4EZNS0_22gpu_kernel_impl_nocastIZZZNS0_12prelu_kernelERNS_14TensorIteratorEENKUlvE_clEvENKUlvE0_clEvEUlffE_EEvRNS_18TensorIteratorBaseERKT_EUlibE_EEviT1_.has_recursion, 0
	.set _ZN2at6native32elementwise_kernel_manual_unrollILi128ELi4EZNS0_22gpu_kernel_impl_nocastIZZZNS0_12prelu_kernelERNS_14TensorIteratorEENKUlvE_clEvENKUlvE0_clEvEUlffE_EEvRNS_18TensorIteratorBaseERKT_EUlibE_EEviT1_.has_indirect_call, 0
	.section	.AMDGPU.csdata,"",@progbits
; Kernel info:
; codeLenInByte = 5460
; TotalNumSgprs: 48
; NumVgprs: 20
; ScratchSize: 0
; MemoryBound: 0
; FloatMode: 240
; IeeeMode: 1
; LDSByteSize: 0 bytes/workgroup (compile time only)
; SGPRBlocks: 0
; VGPRBlocks: 1
; NumSGPRsForWavesPerEU: 48
; NumVGPRsForWavesPerEU: 20
; NamedBarCnt: 0
; Occupancy: 16
; WaveLimiterHint : 1
; COMPUTE_PGM_RSRC2:SCRATCH_EN: 0
; COMPUTE_PGM_RSRC2:USER_SGPR: 2
; COMPUTE_PGM_RSRC2:TRAP_HANDLER: 0
; COMPUTE_PGM_RSRC2:TGID_X_EN: 1
; COMPUTE_PGM_RSRC2:TGID_Y_EN: 0
; COMPUTE_PGM_RSRC2:TGID_Z_EN: 0
; COMPUTE_PGM_RSRC2:TIDIG_COMP_CNT: 0
	.text
	.p2align	2                               ; -- Begin function _ZN2at6native25elementwise_kernel_helperILb1EZZZNS0_12prelu_kernelERNS_14TensorIteratorEENKUlvE_clEvENKUlvE0_clEvEUlffE_NS0_6memory8policies11unroll_baseILi512ESt5arrayIPcLm3EE23TrivialOffsetCalculatorILi2EjESD_ILi1EjENS7_12LoadWithCastILi2EEENS7_13StoreWithCastILi1EEELi32ELi1EEEEEvT0_T1_
	.type	_ZN2at6native25elementwise_kernel_helperILb1EZZZNS0_12prelu_kernelERNS_14TensorIteratorEENKUlvE_clEvENKUlvE0_clEvEUlffE_NS0_6memory8policies11unroll_baseILi512ESt5arrayIPcLm3EE23TrivialOffsetCalculatorILi2EjESD_ILi1EjENS7_12LoadWithCastILi2EEENS7_13StoreWithCastILi1EEELi32ELi1EEEEEvT0_T1_,@function
_ZN2at6native25elementwise_kernel_helperILb1EZZZNS0_12prelu_kernelERNS_14TensorIteratorEENKUlvE_clEvENKUlvE0_clEvEUlffE_NS0_6memory8policies11unroll_baseILi512ESt5arrayIPcLm3EE23TrivialOffsetCalculatorILi2EjESD_ILi1EjENS7_12LoadWithCastILi2EEENS7_13StoreWithCastILi1EEELi32ELi1EEEEEvT0_T1_: ; @_ZN2at6native25elementwise_kernel_helperILb1EZZZNS0_12prelu_kernelERNS_14TensorIteratorEENKUlvE_clEvENKUlvE0_clEvEUlffE_NS0_6memory8policies11unroll_baseILi512ESt5arrayIPcLm3EE23TrivialOffsetCalculatorILi2EjESD_ILi1EjENS7_12LoadWithCastILi2EEENS7_13StoreWithCastILi1EEELi32ELi1EEEEEvT0_T1_
; %bb.0:
	s_wait_loadcnt_dscnt 0x0
	s_wait_kmcnt 0x0
	s_or_saveexec_b32 s0, -1
	scratch_store_b32 off, v40, s32 offset:256 ; 4-byte Folded Spill
	s_wait_xcnt 0x0
	s_mov_b32 exec_lo, s0
	v_writelane_b32 v40, s34, 0
	v_writelane_b32 v40, s35, 1
	;; [unrolled: 1-line block ×14, first 2 shown]
	s_clause 0x1
	s_load_u16 s2, s[8:9], 0x12
	s_load_b32 s4, s[8:9], 0x0
	s_mov_b32 s0, 0
	s_getreg_b32 s5, hwreg(HW_REG_IB_STS2, 6, 4)
	s_mov_b32 s3, s0
	s_mov_b32 s1, s0
	v_and_b32_e32 v13, 0x3ff, v31
	v_mov_b32_e32 v15, 0
	v_and_b32_e32 v7, 0xff, v7
	s_delay_alu instid0(VALU_DEP_3)
	v_mov_b32_e32 v18, v13
	s_wait_kmcnt 0x0
	s_cmp_lg_u32 s2, 0
	s_mov_b32 s2, s0
	s_cselect_b32 s6, -1, 0
	s_bfe_u32 s7, ttmp6, 0x4000c
	s_and_b32 s8, ttmp6, 15
	s_add_co_i32 s7, s7, 1
	v_mov_b64_e32 v[22:23], s[2:3]
	s_mul_i32 s7, ttmp9, s7
	v_mov_b64_e32 v[20:21], s[0:1]
	s_add_co_i32 s8, s8, s7
	s_cmp_eq_u32 s5, 0
	s_clause 0x1
	scratch_store_b128 off, v[20:23], s32
	scratch_store_b128 off, v[20:23], s32 offset:16
	s_cselect_b32 s1, ttmp9, s8
	s_clause 0x9
	scratch_store_b128 off, v[20:23], s32 offset:32
	scratch_store_b128 off, v[20:23], s32 offset:48
	;; [unrolled: 1-line block ×10, first 2 shown]
	s_not_b32 s1, s1
	s_cmp_lg_u32 s6, 0
	s_clause 0x1
	scratch_store_b128 off, v[20:23], s32 offset:192
	scratch_store_b128 off, v[20:23], s32 offset:208
	s_add_co_ci_u32 s1, s4, s1
	s_clause 0x1
	scratch_store_b128 off, v[20:23], s32 offset:224
	scratch_store_b128 off, v[20:23], s32 offset:240
	s_lshl_b32 s2, s1, 14
	s_mov_b32 s1, s0
                                        ; implicit-def: $sgpr3
                                        ; implicit-def: $sgpr4
                                        ; implicit-def: $sgpr5
                                        ; implicit-def: $sgpr6
	s_branch .LBB14_17
.LBB14_1:                               ;   in Loop: Header=BB14_17 Depth=1
	s_or_b32 exec_lo, exec_lo, s77
	s_delay_alu instid0(SALU_CYCLE_1)
	s_and_not1_b32 s74, s74, exec_lo
	s_and_b32 s77, s89, exec_lo
	s_and_not1_b32 s73, s73, exec_lo
	s_and_b32 s78, s88, exec_lo
	s_or_b32 s74, s74, s77
	s_or_b32 s73, s73, s78
	s_or_not1_b32 s76, s76, exec_lo
.LBB14_2:                               ;   in Loop: Header=BB14_17 Depth=1
	s_or_b32 exec_lo, exec_lo, s75
	s_delay_alu instid0(SALU_CYCLE_1)
	s_and_not1_b32 s63, s63, exec_lo
	s_and_b32 s74, s74, exec_lo
	s_and_not1_b32 s62, s62, exec_lo
	s_and_b32 s73, s73, exec_lo
	s_or_b32 s63, s63, s74
	s_or_b32 s62, s62, s73
	s_or_not1_b32 s73, s76, exec_lo
.LBB14_3:                               ;   in Loop: Header=BB14_17 Depth=1
	s_or_b32 exec_lo, exec_lo, s72
	s_delay_alu instid0(SALU_CYCLE_1)
	s_and_not1_b32 s60, s60, exec_lo
	s_and_b32 s63, s63, exec_lo
	s_and_not1_b32 s59, s59, exec_lo
	s_and_b32 s62, s62, exec_lo
	s_or_b32 s60, s60, s63
	s_or_b32 s59, s59, s62
	s_or_not1_b32 s62, s73, exec_lo
.LBB14_4:                               ;   in Loop: Header=BB14_17 Depth=1
	s_or_b32 exec_lo, exec_lo, s61
	s_delay_alu instid0(SALU_CYCLE_1)
	s_and_not1_b32 s57, s57, exec_lo
	s_and_b32 s60, s60, exec_lo
	s_and_not1_b32 s56, s56, exec_lo
	s_and_b32 s59, s59, exec_lo
	s_or_b32 s57, s57, s60
	s_or_b32 s56, s56, s59
	s_or_not1_b32 s59, s62, exec_lo
.LBB14_5:                               ;   in Loop: Header=BB14_17 Depth=1
	s_or_b32 exec_lo, exec_lo, s58
	s_delay_alu instid0(SALU_CYCLE_1)
	s_and_not1_b32 s46, s46, exec_lo
	s_and_b32 s57, s57, exec_lo
	s_and_not1_b32 s45, s45, exec_lo
	s_and_b32 s56, s56, exec_lo
	s_or_b32 s46, s46, s57
	s_or_b32 s45, s45, s56
	s_or_not1_b32 s56, s59, exec_lo
.LBB14_6:                               ;   in Loop: Header=BB14_17 Depth=1
	s_or_b32 exec_lo, exec_lo, s47
	s_delay_alu instid0(SALU_CYCLE_1)
	s_and_not1_b32 s43, s43, exec_lo
	s_and_b32 s46, s46, exec_lo
	s_and_not1_b32 s42, s42, exec_lo
	s_and_b32 s45, s45, exec_lo
	s_or_b32 s43, s43, s46
	s_or_b32 s42, s42, s45
	s_or_not1_b32 s45, s56, exec_lo
.LBB14_7:                               ;   in Loop: Header=BB14_17 Depth=1
	s_or_b32 exec_lo, exec_lo, s44
	s_delay_alu instid0(SALU_CYCLE_1)
	s_and_not1_b32 s40, s40, exec_lo
	s_and_b32 s43, s43, exec_lo
	s_and_not1_b32 s29, s29, exec_lo
	s_and_b32 s42, s42, exec_lo
	s_or_b32 s40, s40, s43
	s_or_b32 s29, s29, s42
	s_or_not1_b32 s42, s45, exec_lo
.LBB14_8:                               ;   in Loop: Header=BB14_17 Depth=1
	s_or_b32 exec_lo, exec_lo, s41
	s_delay_alu instid0(SALU_CYCLE_1)
	s_and_not1_b32 s27, s27, exec_lo
	s_and_b32 s40, s40, exec_lo
	s_and_not1_b32 s26, s26, exec_lo
	s_and_b32 s29, s29, exec_lo
	s_or_b32 s27, s27, s40
	s_or_b32 s26, s26, s29
	s_or_not1_b32 s29, s42, exec_lo
.LBB14_9:                               ;   in Loop: Header=BB14_17 Depth=1
	s_or_b32 exec_lo, exec_lo, s28
	s_delay_alu instid0(SALU_CYCLE_1)
	s_and_not1_b32 s24, s24, exec_lo
	s_and_b32 s27, s27, exec_lo
	s_and_not1_b32 s23, s23, exec_lo
	s_and_b32 s26, s26, exec_lo
	s_or_b32 s24, s24, s27
	s_or_b32 s23, s23, s26
	s_or_not1_b32 s26, s29, exec_lo
.LBB14_10:                              ;   in Loop: Header=BB14_17 Depth=1
	s_or_b32 exec_lo, exec_lo, s25
	s_delay_alu instid0(SALU_CYCLE_1)
	s_and_not1_b32 s21, s21, exec_lo
	s_and_b32 s24, s24, exec_lo
	s_and_not1_b32 s20, s20, exec_lo
	s_and_b32 s23, s23, exec_lo
	s_or_b32 s21, s21, s24
	s_or_b32 s20, s20, s23
	s_or_not1_b32 s23, s26, exec_lo
.LBB14_11:                              ;   in Loop: Header=BB14_17 Depth=1
	s_or_b32 exec_lo, exec_lo, s22
	s_delay_alu instid0(SALU_CYCLE_1)
	s_and_not1_b32 s18, s18, exec_lo
	s_and_b32 s21, s21, exec_lo
	s_and_not1_b32 s17, s17, exec_lo
	s_and_b32 s20, s20, exec_lo
	s_or_b32 s18, s18, s21
	s_or_b32 s17, s17, s20
	s_or_not1_b32 s20, s23, exec_lo
.LBB14_12:                              ;   in Loop: Header=BB14_17 Depth=1
	s_or_b32 exec_lo, exec_lo, s19
	s_delay_alu instid0(SALU_CYCLE_1)
	s_and_not1_b32 s15, s15, exec_lo
	s_and_b32 s18, s18, exec_lo
	s_and_not1_b32 s14, s14, exec_lo
	s_and_b32 s17, s17, exec_lo
	s_or_b32 s15, s15, s18
	s_or_b32 s14, s14, s17
	s_or_not1_b32 s17, s20, exec_lo
.LBB14_13:                              ;   in Loop: Header=BB14_17 Depth=1
	s_or_b32 exec_lo, exec_lo, s16
	s_delay_alu instid0(SALU_CYCLE_1)
	s_and_not1_b32 s12, s12, exec_lo
	s_and_b32 s15, s15, exec_lo
	s_and_not1_b32 s11, s11, exec_lo
	s_and_b32 s14, s14, exec_lo
	s_or_b32 s12, s12, s15
	s_or_b32 s11, s11, s14
	s_or_not1_b32 s14, s17, exec_lo
.LBB14_14:                              ;   in Loop: Header=BB14_17 Depth=1
	s_or_b32 exec_lo, exec_lo, s13
	s_delay_alu instid0(SALU_CYCLE_1)
	s_and_not1_b32 s9, s9, exec_lo
	s_and_b32 s12, s12, exec_lo
	s_and_not1_b32 s8, s8, exec_lo
	s_and_b32 s11, s11, exec_lo
	s_or_b32 s9, s9, s12
	s_or_b32 s8, s8, s11
	s_or_not1_b32 s11, s14, exec_lo
.LBB14_15:                              ;   in Loop: Header=BB14_17 Depth=1
	s_or_b32 exec_lo, exec_lo, s10
	s_delay_alu instid0(SALU_CYCLE_1)
	s_and_not1_b32 s6, s6, exec_lo
	s_and_b32 s9, s9, exec_lo
	s_and_not1_b32 s5, s5, exec_lo
	s_and_b32 s8, s8, exec_lo
	s_or_b32 s6, s6, s9
	s_or_b32 s5, s5, s8
	s_or_not1_b32 s9, s11, exec_lo
.LBB14_16:                              ;   in Loop: Header=BB14_17 Depth=1
	s_or_b32 exec_lo, exec_lo, s7
	s_delay_alu instid0(SALU_CYCLE_1) | instskip(NEXT) | instid1(SALU_CYCLE_1)
	s_and_b32 s7, exec_lo, s9
	s_or_b32 s0, s7, s0
	s_and_not1_b32 s4, s4, exec_lo
	s_and_b32 s7, s6, exec_lo
	s_and_not1_b32 s3, s3, exec_lo
	s_and_b32 s8, s5, exec_lo
	s_or_b32 s4, s4, s7
	s_or_b32 s3, s3, s8
	s_and_not1_b32 exec_lo, exec_lo, s0
	s_cbranch_execz .LBB14_3650
.LBB14_17:                              ; =>This Inner Loop Header: Depth=1
	s_mov_b32 s8, -1
	s_mov_b32 s7, exec_lo
                                        ; implicit-def: $sgpr10
                                        ; implicit-def: $sgpr11
	s_wait_xcnt 0x0
	v_cmpx_lt_i32_e64 v18, v6
	s_cbranch_execz .LBB14_127
; %bb.18:                               ;   in Loop: Header=BB14_17 Depth=1
	v_add_nc_u32_e32 v19, s2, v18
	s_mov_b32 s9, 0
	s_mov_b32 s8, exec_lo
	s_wait_loadcnt_dscnt 0x0
	s_delay_alu instid0(VALU_DEP_1) | instskip(NEXT) | instid1(VALU_DEP_1)
	v_mul_lo_u32 v14, v19, v9
	v_add_nc_u64_e32 v[16:17], v[2:3], v[14:15]
                                        ; implicit-def: $vgpr14
	v_cmpx_lt_i16_e32 10, v7
	s_xor_b32 s8, exec_lo, s8
	s_cbranch_execz .LBB14_78
; %bb.19:                               ;   in Loop: Header=BB14_17 Depth=1
	s_mov_b32 s10, 0
	s_mov_b32 s9, exec_lo
                                        ; implicit-def: $vgpr14
	v_cmpx_lt_i16_e32 25, v7
	s_xor_b32 s9, exec_lo, s9
	s_cbranch_execz .LBB14_51
; %bb.20:                               ;   in Loop: Header=BB14_17 Depth=1
	s_mov_b32 s11, exec_lo
                                        ; implicit-def: $vgpr14
	v_cmpx_lt_i16_e32 28, v7
	s_xor_b32 s11, exec_lo, s11
	s_cbranch_execz .LBB14_36
; %bb.21:                               ;   in Loop: Header=BB14_17 Depth=1
	s_mov_b32 s12, 0
	s_mov_b32 s10, exec_lo
                                        ; implicit-def: $vgpr14
	v_cmpx_lt_i16_e32 43, v7
	s_xor_b32 s10, exec_lo, s10
	s_cbranch_execz .LBB14_31
; %bb.22:                               ;   in Loop: Header=BB14_17 Depth=1
	s_mov_b32 s13, exec_lo
                                        ; implicit-def: $vgpr14
	v_cmpx_lt_i16_e32 45, v7
	s_xor_b32 s13, exec_lo, s13
	s_cbranch_execz .LBB14_26
; %bb.23:                               ;   in Loop: Header=BB14_17 Depth=1
	s_mov_b32 s14, exec_lo
                                        ; implicit-def: $vgpr14
	v_cmpx_eq_u16_e32 46, v7
	s_cbranch_execz .LBB14_25
; %bb.24:                               ;   in Loop: Header=BB14_17 Depth=1
	flat_load_b32 v14, v[16:17]
	s_mov_b32 s12, exec_lo
	s_wait_loadcnt_dscnt 0x0
	v_lshlrev_b32_e32 v14, 16, v14
.LBB14_25:                              ;   in Loop: Header=BB14_17 Depth=1
	s_wait_xcnt 0x0
	s_or_b32 exec_lo, exec_lo, s14
	s_delay_alu instid0(SALU_CYCLE_1)
	s_and_b32 s12, s12, exec_lo
                                        ; implicit-def: $vgpr16_vgpr17
.LBB14_26:                              ;   in Loop: Header=BB14_17 Depth=1
	s_and_not1_saveexec_b32 s13, s13
	s_cbranch_execz .LBB14_30
; %bb.27:                               ;   in Loop: Header=BB14_17 Depth=1
	s_mov_b32 s15, s12
	s_mov_b32 s14, exec_lo
                                        ; implicit-def: $vgpr14
	v_cmpx_eq_u16_e32 44, v7
	s_cbranch_execz .LBB14_29
; %bb.28:                               ;   in Loop: Header=BB14_17 Depth=1
	flat_load_u8 v14, v[16:17]
	s_or_b32 s15, s12, exec_lo
	s_wait_loadcnt_dscnt 0x0
	v_lshlrev_b32_e32 v16, 23, v14
	v_cmp_ne_u32_e32 vcc_lo, 0xff, v14
	s_delay_alu instid0(VALU_DEP_2) | instskip(SKIP_1) | instid1(VALU_DEP_2)
	v_cndmask_b32_e32 v16, 0x7f800001, v16, vcc_lo
	v_cmp_ne_u32_e32 vcc_lo, 0, v14
	v_cndmask_b32_e32 v14, 0x400000, v16, vcc_lo
.LBB14_29:                              ;   in Loop: Header=BB14_17 Depth=1
	s_or_b32 exec_lo, exec_lo, s14
	s_delay_alu instid0(SALU_CYCLE_1) | instskip(SKIP_1) | instid1(SALU_CYCLE_1)
	s_and_not1_b32 s12, s12, exec_lo
	s_and_b32 s14, s15, exec_lo
	s_or_b32 s12, s12, s14
.LBB14_30:                              ;   in Loop: Header=BB14_17 Depth=1
	s_or_b32 exec_lo, exec_lo, s13
	s_delay_alu instid0(SALU_CYCLE_1)
	s_and_b32 s12, s12, exec_lo
                                        ; implicit-def: $vgpr16_vgpr17
.LBB14_31:                              ;   in Loop: Header=BB14_17 Depth=1
	s_and_not1_saveexec_b32 s10, s10
	s_cbranch_execz .LBB14_35
; %bb.32:                               ;   in Loop: Header=BB14_17 Depth=1
	s_mov_b32 s14, s12
	s_mov_b32 s13, exec_lo
                                        ; implicit-def: $vgpr14
	v_cmpx_eq_u16_e32 29, v7
	s_cbranch_execz .LBB14_34
; %bb.33:                               ;   in Loop: Header=BB14_17 Depth=1
	flat_load_b64 v[16:17], v[16:17]
	s_or_b32 s14, s12, exec_lo
	s_wait_loadcnt_dscnt 0x0
	v_clz_i32_u32_e32 v14, v17
	s_delay_alu instid0(VALU_DEP_1) | instskip(SKIP_1) | instid1(VALU_DEP_1)
	v_min_u32_e32 v14, 32, v14
	s_wait_xcnt 0x0
	v_lshlrev_b64_e32 v[16:17], v14, v[16:17]
	v_sub_nc_u32_e32 v14, 32, v14
	s_delay_alu instid0(VALU_DEP_2) | instskip(NEXT) | instid1(VALU_DEP_1)
	v_min_u32_e32 v16, 1, v16
	v_or_b32_e32 v16, v17, v16
	s_delay_alu instid0(VALU_DEP_1) | instskip(NEXT) | instid1(VALU_DEP_1)
	v_cvt_f32_u32_e32 v16, v16
	v_ldexp_f32 v14, v16, v14
.LBB14_34:                              ;   in Loop: Header=BB14_17 Depth=1
	s_or_b32 exec_lo, exec_lo, s13
	s_delay_alu instid0(SALU_CYCLE_1) | instskip(SKIP_1) | instid1(SALU_CYCLE_1)
	s_and_not1_b32 s12, s12, exec_lo
	s_and_b32 s13, s14, exec_lo
	s_or_b32 s12, s12, s13
.LBB14_35:                              ;   in Loop: Header=BB14_17 Depth=1
	s_or_b32 exec_lo, exec_lo, s10
	s_delay_alu instid0(SALU_CYCLE_1)
	s_and_b32 s10, s12, exec_lo
                                        ; implicit-def: $vgpr16_vgpr17
.LBB14_36:                              ;   in Loop: Header=BB14_17 Depth=1
	s_and_not1_saveexec_b32 s11, s11
	s_cbranch_execz .LBB14_50
; %bb.37:                               ;   in Loop: Header=BB14_17 Depth=1
	s_mov_b32 s12, exec_lo
                                        ; implicit-def: $vgpr14
	v_cmpx_lt_i16_e32 26, v7
	s_xor_b32 s12, exec_lo, s12
	s_cbranch_execz .LBB14_43
; %bb.38:                               ;   in Loop: Header=BB14_17 Depth=1
	s_mov_b32 s13, exec_lo
                                        ; implicit-def: $vgpr14
	v_cmpx_lt_i16_e32 27, v7
	s_xor_b32 s13, exec_lo, s13
	s_cbranch_execz .LBB14_40
; %bb.39:                               ;   in Loop: Header=BB14_17 Depth=1
	flat_load_b32 v14, v[16:17]
                                        ; implicit-def: $vgpr16_vgpr17
	s_wait_loadcnt_dscnt 0x0
	v_cvt_f32_u32_e32 v14, v14
.LBB14_40:                              ;   in Loop: Header=BB14_17 Depth=1
	s_wait_xcnt 0x0
	s_and_not1_saveexec_b32 s13, s13
	s_cbranch_execz .LBB14_42
; %bb.41:                               ;   in Loop: Header=BB14_17 Depth=1
	flat_load_u16 v14, v[16:17]
	s_wait_loadcnt_dscnt 0x0
	v_cvt_f32_u32_e32 v14, v14
.LBB14_42:                              ;   in Loop: Header=BB14_17 Depth=1
	s_wait_xcnt 0x0
	s_or_b32 exec_lo, exec_lo, s13
                                        ; implicit-def: $vgpr16_vgpr17
.LBB14_43:                              ;   in Loop: Header=BB14_17 Depth=1
	s_and_not1_saveexec_b32 s12, s12
	s_cbranch_execz .LBB14_49
; %bb.44:                               ;   in Loop: Header=BB14_17 Depth=1
	flat_load_u8 v16, v[16:17]
	s_mov_b32 s13, 0
	s_mov_b32 s14, exec_lo
	s_wait_loadcnt_dscnt 0x0
	v_cmpx_lt_i16_e32 0x7f, v16
	s_xor_b32 s14, exec_lo, s14
	s_cbranch_execnz .LBB14_2094
; %bb.45:                               ;   in Loop: Header=BB14_17 Depth=1
	s_or_saveexec_b32 s14, s14
	v_mov_b32_e32 v14, 0x7f800001
	s_xor_b32 exec_lo, exec_lo, s14
	s_cbranch_execnz .LBB14_2097
.LBB14_46:                              ;   in Loop: Header=BB14_17 Depth=1
	s_or_b32 exec_lo, exec_lo, s14
	s_and_saveexec_b32 s14, s13
	s_cbranch_execz .LBB14_48
.LBB14_47:                              ;   in Loop: Header=BB14_17 Depth=1
	v_and_b32_e32 v14, 0xffff, v16
	s_delay_alu instid0(VALU_DEP_1) | instskip(SKIP_1) | instid1(VALU_DEP_2)
	v_and_b32_e32 v17, 7, v14
	v_bfe_u32 v22, v14, 3, 4
	v_clz_i32_u32_e32 v20, v17
	s_delay_alu instid0(VALU_DEP_2) | instskip(NEXT) | instid1(VALU_DEP_2)
	v_cmp_eq_u32_e32 vcc_lo, 0, v22
	v_min_u32_e32 v20, 32, v20
	s_delay_alu instid0(VALU_DEP_1) | instskip(NEXT) | instid1(VALU_DEP_1)
	v_subrev_nc_u32_e32 v21, 28, v20
	v_dual_lshlrev_b32 v14, v21, v14 :: v_dual_sub_nc_u32 v20, 29, v20
	s_delay_alu instid0(VALU_DEP_1) | instskip(NEXT) | instid1(VALU_DEP_1)
	v_dual_lshlrev_b32 v16, 24, v16 :: v_dual_bitop2_b32 v14, 7, v14 bitop3:0x40
	v_dual_cndmask_b32 v14, v17, v14, vcc_lo :: v_dual_cndmask_b32 v20, v22, v20, vcc_lo
	s_delay_alu instid0(VALU_DEP_2) | instskip(NEXT) | instid1(VALU_DEP_2)
	v_and_b32_e32 v16, 0x80000000, v16
	v_lshlrev_b32_e32 v14, 20, v14
	s_delay_alu instid0(VALU_DEP_3) | instskip(NEXT) | instid1(VALU_DEP_1)
	v_lshl_add_u32 v17, v20, 23, 0x3b800000
	v_or3_b32 v14, v16, v17, v14
.LBB14_48:                              ;   in Loop: Header=BB14_17 Depth=1
	s_or_b32 exec_lo, exec_lo, s14
.LBB14_49:                              ;   in Loop: Header=BB14_17 Depth=1
	s_delay_alu instid0(SALU_CYCLE_1) | instskip(NEXT) | instid1(SALU_CYCLE_1)
	s_or_b32 exec_lo, exec_lo, s12
	s_or_b32 s10, s10, exec_lo
.LBB14_50:                              ;   in Loop: Header=BB14_17 Depth=1
	s_or_b32 exec_lo, exec_lo, s11
	s_delay_alu instid0(SALU_CYCLE_1)
	s_and_b32 s10, s10, exec_lo
                                        ; implicit-def: $vgpr16_vgpr17
.LBB14_51:                              ;   in Loop: Header=BB14_17 Depth=1
	s_and_not1_saveexec_b32 s9, s9
	s_cbranch_execz .LBB14_77
; %bb.52:                               ;   in Loop: Header=BB14_17 Depth=1
	s_mov_b32 s12, s10
	s_mov_b32 s11, exec_lo
                                        ; implicit-def: $vgpr14
	v_cmpx_lt_i16_e32 22, v7
	s_xor_b32 s11, exec_lo, s11
	s_cbranch_execz .LBB14_66
; %bb.53:                               ;   in Loop: Header=BB14_17 Depth=1
	s_mov_b32 s12, exec_lo
                                        ; implicit-def: $vgpr14
	v_cmpx_lt_i16_e32 23, v7
	s_xor_b32 s12, exec_lo, s12
	s_cbranch_execz .LBB14_63
; %bb.54:                               ;   in Loop: Header=BB14_17 Depth=1
	;; [unrolled: 6-line block ×3, first 2 shown]
	flat_load_u8 v16, v[16:17]
	s_mov_b32 s14, 0
	s_mov_b32 s15, exec_lo
	s_wait_loadcnt_dscnt 0x0
	v_cmpx_lt_i16_e32 0x7f, v16
	s_xor_b32 s15, exec_lo, s15
	s_cbranch_execnz .LBB14_2198
; %bb.56:                               ;   in Loop: Header=BB14_17 Depth=1
	s_or_saveexec_b32 s15, s15
	v_mov_b32_e32 v14, 0x7f800001
	s_xor_b32 exec_lo, exec_lo, s15
	s_cbranch_execnz .LBB14_2201
.LBB14_57:                              ;   in Loop: Header=BB14_17 Depth=1
	s_or_b32 exec_lo, exec_lo, s15
	s_and_saveexec_b32 s15, s14
	s_cbranch_execz .LBB14_59
.LBB14_58:                              ;   in Loop: Header=BB14_17 Depth=1
	v_and_b32_e32 v14, 0xffff, v16
	s_delay_alu instid0(VALU_DEP_1) | instskip(SKIP_1) | instid1(VALU_DEP_2)
	v_and_b32_e32 v17, 3, v14
	v_bfe_u32 v22, v14, 2, 5
	v_clz_i32_u32_e32 v20, v17
	s_delay_alu instid0(VALU_DEP_2) | instskip(NEXT) | instid1(VALU_DEP_2)
	v_cmp_eq_u32_e32 vcc_lo, 0, v22
	v_min_u32_e32 v20, 32, v20
	s_delay_alu instid0(VALU_DEP_1) | instskip(NEXT) | instid1(VALU_DEP_1)
	v_subrev_nc_u32_e32 v21, 29, v20
	v_dual_lshlrev_b32 v14, v21, v14 :: v_dual_sub_nc_u32 v20, 30, v20
	s_delay_alu instid0(VALU_DEP_1) | instskip(NEXT) | instid1(VALU_DEP_1)
	v_dual_lshlrev_b32 v16, 24, v16 :: v_dual_bitop2_b32 v14, 3, v14 bitop3:0x40
	v_dual_cndmask_b32 v14, v17, v14, vcc_lo :: v_dual_cndmask_b32 v20, v22, v20, vcc_lo
	s_delay_alu instid0(VALU_DEP_2) | instskip(NEXT) | instid1(VALU_DEP_2)
	v_and_b32_e32 v16, 0x80000000, v16
	v_lshlrev_b32_e32 v14, 21, v14
	s_delay_alu instid0(VALU_DEP_3) | instskip(NEXT) | instid1(VALU_DEP_1)
	v_lshl_add_u32 v17, v20, 23, 0x37800000
	v_or3_b32 v14, v16, v17, v14
.LBB14_59:                              ;   in Loop: Header=BB14_17 Depth=1
	s_or_b32 exec_lo, exec_lo, s15
                                        ; implicit-def: $vgpr16_vgpr17
.LBB14_60:                              ;   in Loop: Header=BB14_17 Depth=1
	s_and_not1_saveexec_b32 s13, s13
	s_cbranch_execz .LBB14_62
; %bb.61:                               ;   in Loop: Header=BB14_17 Depth=1
	flat_load_u8 v14, v[16:17]
	s_wait_loadcnt_dscnt 0x0
	v_lshlrev_b32_e32 v14, 24, v14
	s_wait_xcnt 0x0
	s_delay_alu instid0(VALU_DEP_1) | instskip(NEXT) | instid1(VALU_DEP_1)
	v_and_b32_e32 v16, 0x7f000000, v14
	v_clz_i32_u32_e32 v17, v16
	v_cmp_ne_u32_e32 vcc_lo, 0, v16
	v_add_nc_u32_e32 v21, 0x1000000, v16
	s_delay_alu instid0(VALU_DEP_3) | instskip(NEXT) | instid1(VALU_DEP_1)
	v_min_u32_e32 v17, 32, v17
	v_sub_nc_u32_e64 v17, v17, 4 clamp
	s_delay_alu instid0(VALU_DEP_1) | instskip(NEXT) | instid1(VALU_DEP_1)
	v_dual_lshlrev_b32 v20, v17, v16 :: v_dual_lshlrev_b32 v17, 23, v17
	v_lshrrev_b32_e32 v20, 4, v20
	s_delay_alu instid0(VALU_DEP_1) | instskip(SKIP_1) | instid1(VALU_DEP_2)
	v_sub_nc_u32_e32 v17, v20, v17
	v_ashrrev_i32_e32 v20, 8, v21
	v_add_nc_u32_e32 v17, 0x3c000000, v17
	s_delay_alu instid0(VALU_DEP_1) | instskip(NEXT) | instid1(VALU_DEP_1)
	v_and_or_b32 v17, 0x7f800000, v20, v17
	v_cndmask_b32_e32 v16, 0, v17, vcc_lo
	s_delay_alu instid0(VALU_DEP_1)
	v_and_or_b32 v14, 0x80000000, v14, v16
.LBB14_62:                              ;   in Loop: Header=BB14_17 Depth=1
	s_or_b32 exec_lo, exec_lo, s13
                                        ; implicit-def: $vgpr16_vgpr17
.LBB14_63:                              ;   in Loop: Header=BB14_17 Depth=1
	s_and_not1_saveexec_b32 s12, s12
	s_cbranch_execz .LBB14_65
; %bb.64:                               ;   in Loop: Header=BB14_17 Depth=1
	flat_load_u8 v14, v[16:17]
	s_wait_loadcnt_dscnt 0x0
	v_lshlrev_b32_e32 v16, 25, v14
	v_lshlrev_b16 v14, 8, v14
	s_delay_alu instid0(VALU_DEP_1) | instskip(SKIP_1) | instid1(VALU_DEP_2)
	v_and_or_b32 v20, 0x7f00, v14, 0.5
	v_bfe_i32 v14, v14, 0, 16
	v_add_f32_e32 v20, -0.5, v20
	v_lshrrev_b32_e32 v17, 4, v16
	v_cmp_gt_u32_e32 vcc_lo, 0x8000000, v16
	s_delay_alu instid0(VALU_DEP_2) | instskip(NEXT) | instid1(VALU_DEP_1)
	v_or_b32_e32 v17, 0x70000000, v17
	v_mul_f32_e32 v17, 0x7800000, v17
	s_delay_alu instid0(VALU_DEP_1) | instskip(NEXT) | instid1(VALU_DEP_1)
	v_cndmask_b32_e32 v16, v17, v20, vcc_lo
	v_and_or_b32 v14, 0x80000000, v14, v16
.LBB14_65:                              ;   in Loop: Header=BB14_17 Depth=1
	s_or_b32 exec_lo, exec_lo, s12
	s_delay_alu instid0(SALU_CYCLE_1)
	s_or_b32 s12, s10, exec_lo
                                        ; implicit-def: $vgpr16_vgpr17
.LBB14_66:                              ;   in Loop: Header=BB14_17 Depth=1
	s_and_not1_saveexec_b32 s11, s11
	s_cbranch_execz .LBB14_76
; %bb.67:                               ;   in Loop: Header=BB14_17 Depth=1
	s_mov_b32 s13, s12
	s_mov_b32 s14, exec_lo
                                        ; implicit-def: $vgpr14
	v_cmpx_lt_i16_e32 14, v7
	s_xor_b32 s14, exec_lo, s14
	s_cbranch_execz .LBB14_71
; %bb.68:                               ;   in Loop: Header=BB14_17 Depth=1
	s_mov_b32 s13, s12
	s_mov_b32 s15, exec_lo
                                        ; implicit-def: $vgpr14
	v_cmpx_eq_u16_e32 15, v7
	s_cbranch_execz .LBB14_70
; %bb.69:                               ;   in Loop: Header=BB14_17 Depth=1
	flat_load_u16 v14, v[16:17]
	s_or_b32 s13, s12, exec_lo
	s_wait_loadcnt_dscnt 0x0
	v_lshlrev_b32_e32 v14, 16, v14
.LBB14_70:                              ;   in Loop: Header=BB14_17 Depth=1
	s_wait_xcnt 0x0
	s_or_b32 exec_lo, exec_lo, s15
	s_delay_alu instid0(SALU_CYCLE_1) | instskip(SKIP_1) | instid1(SALU_CYCLE_1)
	s_and_not1_b32 s15, s12, exec_lo
	s_and_b32 s13, s13, exec_lo
                                        ; implicit-def: $vgpr16_vgpr17
	s_or_b32 s13, s15, s13
.LBB14_71:                              ;   in Loop: Header=BB14_17 Depth=1
	s_and_not1_saveexec_b32 s14, s14
	s_cbranch_execz .LBB14_75
; %bb.72:                               ;   in Loop: Header=BB14_17 Depth=1
	s_mov_b32 s15, s13
	s_mov_b32 s16, exec_lo
                                        ; implicit-def: $vgpr14
	v_cmpx_eq_u16_e32 11, v7
	s_cbranch_execz .LBB14_74
; %bb.73:                               ;   in Loop: Header=BB14_17 Depth=1
	flat_load_u8 v14, v[16:17]
	s_or_b32 s15, s13, exec_lo
	s_wait_loadcnt_dscnt 0x0
	v_cmp_ne_u16_e32 vcc_lo, 0, v14
	v_cndmask_b32_e64 v14, 0, 1.0, vcc_lo
.LBB14_74:                              ;   in Loop: Header=BB14_17 Depth=1
	s_wait_xcnt 0x0
	s_or_b32 exec_lo, exec_lo, s16
	s_delay_alu instid0(SALU_CYCLE_1) | instskip(SKIP_1) | instid1(SALU_CYCLE_1)
	s_and_not1_b32 s13, s13, exec_lo
	s_and_b32 s15, s15, exec_lo
	s_or_b32 s13, s13, s15
.LBB14_75:                              ;   in Loop: Header=BB14_17 Depth=1
	s_or_b32 exec_lo, exec_lo, s14
	s_delay_alu instid0(SALU_CYCLE_1) | instskip(SKIP_1) | instid1(SALU_CYCLE_1)
	s_and_not1_b32 s12, s12, exec_lo
	s_and_b32 s13, s13, exec_lo
	s_or_b32 s12, s12, s13
.LBB14_76:                              ;   in Loop: Header=BB14_17 Depth=1
	s_or_b32 exec_lo, exec_lo, s11
	s_delay_alu instid0(SALU_CYCLE_1) | instskip(SKIP_1) | instid1(SALU_CYCLE_1)
	s_and_not1_b32 s10, s10, exec_lo
	s_and_b32 s11, s12, exec_lo
	s_or_b32 s10, s10, s11
.LBB14_77:                              ;   in Loop: Header=BB14_17 Depth=1
	s_or_b32 exec_lo, exec_lo, s9
	s_delay_alu instid0(SALU_CYCLE_1)
	s_and_b32 s9, s10, exec_lo
                                        ; implicit-def: $vgpr16_vgpr17
.LBB14_78:                              ;   in Loop: Header=BB14_17 Depth=1
	s_and_not1_saveexec_b32 s8, s8
	s_cbranch_execz .LBB14_120
; %bb.79:                               ;   in Loop: Header=BB14_17 Depth=1
	s_mov_b32 s10, exec_lo
                                        ; implicit-def: $vgpr14
	v_cmpx_lt_i16_e32 4, v7
	s_xor_b32 s10, exec_lo, s10
	s_cbranch_execz .LBB14_101
; %bb.80:                               ;   in Loop: Header=BB14_17 Depth=1
	s_mov_b32 s11, exec_lo
                                        ; implicit-def: $vgpr14
	v_cmpx_lt_i16_e32 7, v7
	s_xor_b32 s11, exec_lo, s11
	;; [unrolled: 6-line block ×4, first 2 shown]
	s_cbranch_execz .LBB14_84
; %bb.83:                               ;   in Loop: Header=BB14_17 Depth=1
	flat_load_b64 v[16:17], v[16:17]
	s_wait_loadcnt_dscnt 0x0
	v_cvt_f32_f64_e32 v14, v[16:17]
                                        ; implicit-def: $vgpr16_vgpr17
.LBB14_84:                              ;   in Loop: Header=BB14_17 Depth=1
	s_wait_xcnt 0x0
	s_and_not1_saveexec_b32 s13, s13
	s_cbranch_execz .LBB14_86
; %bb.85:                               ;   in Loop: Header=BB14_17 Depth=1
	flat_load_b32 v14, v[16:17]
.LBB14_86:                              ;   in Loop: Header=BB14_17 Depth=1
	s_wait_xcnt 0x0
	s_or_b32 exec_lo, exec_lo, s13
                                        ; implicit-def: $vgpr16_vgpr17
.LBB14_87:                              ;   in Loop: Header=BB14_17 Depth=1
	s_and_not1_saveexec_b32 s12, s12
	s_cbranch_execz .LBB14_89
; %bb.88:                               ;   in Loop: Header=BB14_17 Depth=1
	s_wait_loadcnt_dscnt 0x0
	flat_load_b32 v14, v[16:17]
	s_wait_loadcnt_dscnt 0x0
	v_cvt_f32_f16_e32 v14, v14
.LBB14_89:                              ;   in Loop: Header=BB14_17 Depth=1
	s_wait_xcnt 0x0
	s_or_b32 exec_lo, exec_lo, s12
                                        ; implicit-def: $vgpr16_vgpr17
.LBB14_90:                              ;   in Loop: Header=BB14_17 Depth=1
	s_and_not1_saveexec_b32 s11, s11
	s_cbranch_execz .LBB14_100
; %bb.91:                               ;   in Loop: Header=BB14_17 Depth=1
	s_mov_b32 s12, exec_lo
                                        ; implicit-def: $vgpr14
	v_cmpx_lt_i16_e32 5, v7
	s_xor_b32 s12, exec_lo, s12
	s_cbranch_execz .LBB14_97
; %bb.92:                               ;   in Loop: Header=BB14_17 Depth=1
	s_mov_b32 s13, exec_lo
                                        ; implicit-def: $vgpr14
	v_cmpx_lt_i16_e32 6, v7
	s_xor_b32 s13, exec_lo, s13
	s_cbranch_execz .LBB14_94
; %bb.93:                               ;   in Loop: Header=BB14_17 Depth=1
	flat_load_b64 v[16:17], v[16:17]
	s_wait_loadcnt_dscnt 0x0
	v_cvt_f32_f64_e32 v14, v[16:17]
                                        ; implicit-def: $vgpr16_vgpr17
.LBB14_94:                              ;   in Loop: Header=BB14_17 Depth=1
	s_wait_xcnt 0x0
	s_and_not1_saveexec_b32 s13, s13
	s_cbranch_execz .LBB14_96
; %bb.95:                               ;   in Loop: Header=BB14_17 Depth=1
	s_wait_loadcnt_dscnt 0x0
	flat_load_b32 v14, v[16:17]
.LBB14_96:                              ;   in Loop: Header=BB14_17 Depth=1
	s_wait_xcnt 0x0
	s_or_b32 exec_lo, exec_lo, s13
                                        ; implicit-def: $vgpr16_vgpr17
.LBB14_97:                              ;   in Loop: Header=BB14_17 Depth=1
	s_and_not1_saveexec_b32 s12, s12
	s_cbranch_execz .LBB14_99
; %bb.98:                               ;   in Loop: Header=BB14_17 Depth=1
	s_wait_loadcnt_dscnt 0x0
	flat_load_u16 v14, v[16:17]
	s_wait_loadcnt_dscnt 0x0
	v_cvt_f32_f16_e32 v14, v14
.LBB14_99:                              ;   in Loop: Header=BB14_17 Depth=1
	s_wait_xcnt 0x0
	s_or_b32 exec_lo, exec_lo, s12
.LBB14_100:                             ;   in Loop: Header=BB14_17 Depth=1
	s_delay_alu instid0(SALU_CYCLE_1)
	s_or_b32 exec_lo, exec_lo, s11
                                        ; implicit-def: $vgpr16_vgpr17
.LBB14_101:                             ;   in Loop: Header=BB14_17 Depth=1
	s_and_not1_saveexec_b32 s10, s10
	s_cbranch_execz .LBB14_119
; %bb.102:                              ;   in Loop: Header=BB14_17 Depth=1
	s_mov_b32 s11, exec_lo
                                        ; implicit-def: $vgpr14
	v_cmpx_lt_i16_e32 1, v7
	s_xor_b32 s11, exec_lo, s11
	s_cbranch_execz .LBB14_112
; %bb.103:                              ;   in Loop: Header=BB14_17 Depth=1
	s_mov_b32 s12, exec_lo
                                        ; implicit-def: $vgpr14
	v_cmpx_lt_i16_e32 2, v7
	s_xor_b32 s12, exec_lo, s12
	;; [unrolled: 6-line block ×3, first 2 shown]
	s_cbranch_execz .LBB14_106
; %bb.105:                              ;   in Loop: Header=BB14_17 Depth=1
	flat_load_b64 v[16:17], v[16:17]
	s_wait_loadcnt_dscnt 0x0
	v_xor_b32_e32 v14, v16, v17
	v_cls_i32_e32 v20, v17
	s_delay_alu instid0(VALU_DEP_2) | instskip(NEXT) | instid1(VALU_DEP_1)
	v_ashrrev_i32_e32 v14, 31, v14
	v_add_nc_u32_e32 v14, 32, v14
	s_delay_alu instid0(VALU_DEP_1) | instskip(SKIP_1) | instid1(VALU_DEP_1)
	v_add_min_u32_e64 v14, v20, -1, v14
	s_wait_xcnt 0x0
	v_lshlrev_b64_e32 v[16:17], v14, v[16:17]
	v_sub_nc_u32_e32 v14, 32, v14
	s_delay_alu instid0(VALU_DEP_2) | instskip(NEXT) | instid1(VALU_DEP_1)
	v_min_u32_e32 v16, 1, v16
	v_or_b32_e32 v16, v17, v16
	s_delay_alu instid0(VALU_DEP_1) | instskip(NEXT) | instid1(VALU_DEP_1)
	v_cvt_f32_i32_e32 v16, v16
	v_ldexp_f32 v14, v16, v14
                                        ; implicit-def: $vgpr16_vgpr17
.LBB14_106:                             ;   in Loop: Header=BB14_17 Depth=1
	s_and_not1_saveexec_b32 s13, s13
	s_cbranch_execz .LBB14_108
; %bb.107:                              ;   in Loop: Header=BB14_17 Depth=1
	s_wait_loadcnt_dscnt 0x0
	flat_load_b32 v14, v[16:17]
	s_wait_loadcnt_dscnt 0x0
	v_cvt_f32_i32_e32 v14, v14
.LBB14_108:                             ;   in Loop: Header=BB14_17 Depth=1
	s_wait_xcnt 0x0
	s_or_b32 exec_lo, exec_lo, s13
                                        ; implicit-def: $vgpr16_vgpr17
.LBB14_109:                             ;   in Loop: Header=BB14_17 Depth=1
	s_and_not1_saveexec_b32 s12, s12
	s_cbranch_execz .LBB14_111
; %bb.110:                              ;   in Loop: Header=BB14_17 Depth=1
	s_wait_loadcnt_dscnt 0x0
	flat_load_i16 v14, v[16:17]
	s_wait_loadcnt_dscnt 0x0
	v_cvt_f32_i32_e32 v14, v14
.LBB14_111:                             ;   in Loop: Header=BB14_17 Depth=1
	s_wait_xcnt 0x0
	s_or_b32 exec_lo, exec_lo, s12
                                        ; implicit-def: $vgpr16_vgpr17
.LBB14_112:                             ;   in Loop: Header=BB14_17 Depth=1
	s_and_not1_saveexec_b32 s11, s11
	s_cbranch_execz .LBB14_118
; %bb.113:                              ;   in Loop: Header=BB14_17 Depth=1
	s_mov_b32 s12, exec_lo
                                        ; implicit-def: $vgpr14
	v_cmpx_lt_i16_e32 0, v7
	s_xor_b32 s12, exec_lo, s12
	s_cbranch_execz .LBB14_115
; %bb.114:                              ;   in Loop: Header=BB14_17 Depth=1
	s_wait_loadcnt_dscnt 0x0
	flat_load_i8 v14, v[16:17]
                                        ; implicit-def: $vgpr16_vgpr17
	s_wait_loadcnt_dscnt 0x0
	v_cvt_f32_i32_e32 v14, v14
.LBB14_115:                             ;   in Loop: Header=BB14_17 Depth=1
	s_wait_xcnt 0x0
	s_and_not1_saveexec_b32 s12, s12
	s_cbranch_execz .LBB14_117
; %bb.116:                              ;   in Loop: Header=BB14_17 Depth=1
	s_wait_loadcnt_dscnt 0x0
	flat_load_u8 v14, v[16:17]
	s_wait_loadcnt_dscnt 0x0
	v_cvt_f32_ubyte0_e32 v14, v14
.LBB14_117:                             ;   in Loop: Header=BB14_17 Depth=1
	s_wait_xcnt 0x0
	s_or_b32 exec_lo, exec_lo, s12
.LBB14_118:                             ;   in Loop: Header=BB14_17 Depth=1
	s_delay_alu instid0(SALU_CYCLE_1)
	s_or_b32 exec_lo, exec_lo, s11
.LBB14_119:                             ;   in Loop: Header=BB14_17 Depth=1
	s_delay_alu instid0(SALU_CYCLE_1) | instskip(NEXT) | instid1(SALU_CYCLE_1)
	s_or_b32 exec_lo, exec_lo, s10
	s_or_b32 s9, s9, exec_lo
.LBB14_120:                             ;   in Loop: Header=BB14_17 Depth=1
	s_or_b32 exec_lo, exec_lo, s8
	s_mov_b32 s10, -1
	s_mov_b32 s12, 0
	s_mov_b32 s11, 0
	s_and_saveexec_b32 s8, s9
	s_cbranch_execz .LBB14_126
; %bb.121:                              ;   in Loop: Header=BB14_17 Depth=1
	s_add_co_i32 s9, s32, s1
	s_mov_b32 s10, exec_lo
	s_wait_loadcnt_dscnt 0x0
	scratch_store_b32 off, v14, s9 offset:4
	s_wait_xcnt 0x0
	v_mul_lo_u32 v14, v19, v10
	v_and_b32_e32 v19, 0xff, v8
	s_delay_alu instid0(VALU_DEP_2) | instskip(NEXT) | instid1(VALU_DEP_2)
	v_add_nc_u64_e32 v[16:17], v[4:5], v[14:15]
                                        ; implicit-def: $vgpr14
	v_cmpx_lt_i16_e32 10, v19
	s_xor_b32 s10, exec_lo, s10
	s_cbranch_execnz .LBB14_1794
; %bb.122:                              ;   in Loop: Header=BB14_17 Depth=1
	s_and_not1_saveexec_b32 s10, s10
	s_cbranch_execnz .LBB14_1853
.LBB14_123:                             ;   in Loop: Header=BB14_17 Depth=1
	s_or_b32 exec_lo, exec_lo, s10
	s_mov_b32 s12, 0
	s_and_saveexec_b32 s10, s11
	s_cbranch_execz .LBB14_125
.LBB14_124:                             ;   in Loop: Header=BB14_17 Depth=1
	v_add_nc_u32_e32 v18, 0x200, v18
	s_mov_b32 s12, exec_lo
	s_wait_loadcnt_dscnt 0x0
	scratch_store_b32 off, v14, s9
.LBB14_125:                             ;   in Loop: Header=BB14_17 Depth=1
	s_wait_xcnt 0x0
	s_or_b32 exec_lo, exec_lo, s10
	s_delay_alu instid0(SALU_CYCLE_1)
	s_mov_b32 s11, exec_lo
	s_xor_b32 s10, exec_lo, -1
	s_and_b32 s12, s12, exec_lo
.LBB14_126:                             ;   in Loop: Header=BB14_17 Depth=1
	s_or_b32 exec_lo, exec_lo, s8
	s_delay_alu instid0(SALU_CYCLE_1)
	s_or_not1_b32 s8, s12, exec_lo
.LBB14_127:                             ;   in Loop: Header=BB14_17 Depth=1
	s_or_b32 exec_lo, exec_lo, s7
	s_delay_alu instid0(SALU_CYCLE_1)
	s_and_not1_b32 s6, s6, exec_lo
	s_and_b32 s7, s11, exec_lo
	s_and_not1_b32 s5, s5, exec_lo
	s_and_b32 s10, s10, exec_lo
	s_mov_b32 s9, -1
	s_or_b32 s6, s6, s7
	s_or_b32 s5, s5, s10
	s_and_saveexec_b32 s7, s8
	s_cbranch_execz .LBB14_16
; %bb.128:                              ;   in Loop: Header=BB14_17 Depth=1
	s_mov_b32 s11, -1
	s_mov_b32 s12, -1
	s_mov_b32 s10, exec_lo
                                        ; implicit-def: $sgpr8
                                        ; implicit-def: $sgpr9
	v_cmpx_lt_i32_e64 v18, v6
	s_cbranch_execz .LBB14_238
; %bb.129:                              ;   in Loop: Header=BB14_17 Depth=1
	v_add_nc_u32_e32 v19, s2, v18
	s_mov_b32 s13, 0
	s_mov_b32 s8, exec_lo
	s_wait_loadcnt_dscnt 0x0
	s_delay_alu instid0(VALU_DEP_1) | instskip(NEXT) | instid1(VALU_DEP_1)
	v_mul_lo_u32 v14, v19, v9
	v_add_nc_u64_e32 v[16:17], v[2:3], v[14:15]
                                        ; implicit-def: $vgpr14
	v_cmpx_lt_i16_e32 10, v7
	s_xor_b32 s8, exec_lo, s8
	s_cbranch_execz .LBB14_189
; %bb.130:                              ;   in Loop: Header=BB14_17 Depth=1
	s_mov_b32 s12, 0
	s_mov_b32 s9, exec_lo
                                        ; implicit-def: $vgpr14
	v_cmpx_lt_i16_e32 25, v7
	s_xor_b32 s9, exec_lo, s9
	s_cbranch_execz .LBB14_162
; %bb.131:                              ;   in Loop: Header=BB14_17 Depth=1
	s_mov_b32 s13, exec_lo
                                        ; implicit-def: $vgpr14
	v_cmpx_lt_i16_e32 28, v7
	s_xor_b32 s13, exec_lo, s13
	s_cbranch_execz .LBB14_147
; %bb.132:                              ;   in Loop: Header=BB14_17 Depth=1
	s_mov_b32 s14, 0
	s_mov_b32 s12, exec_lo
                                        ; implicit-def: $vgpr14
	v_cmpx_lt_i16_e32 43, v7
	s_xor_b32 s12, exec_lo, s12
	s_cbranch_execz .LBB14_142
; %bb.133:                              ;   in Loop: Header=BB14_17 Depth=1
	s_mov_b32 s15, exec_lo
                                        ; implicit-def: $vgpr14
	v_cmpx_lt_i16_e32 45, v7
	s_xor_b32 s15, exec_lo, s15
	s_cbranch_execz .LBB14_137
; %bb.134:                              ;   in Loop: Header=BB14_17 Depth=1
	s_mov_b32 s16, exec_lo
                                        ; implicit-def: $vgpr14
	v_cmpx_eq_u16_e32 46, v7
	s_cbranch_execz .LBB14_136
; %bb.135:                              ;   in Loop: Header=BB14_17 Depth=1
	flat_load_b32 v14, v[16:17]
	s_mov_b32 s14, exec_lo
	s_wait_loadcnt_dscnt 0x0
	v_lshlrev_b32_e32 v14, 16, v14
.LBB14_136:                             ;   in Loop: Header=BB14_17 Depth=1
	s_wait_xcnt 0x0
	s_or_b32 exec_lo, exec_lo, s16
	s_delay_alu instid0(SALU_CYCLE_1)
	s_and_b32 s14, s14, exec_lo
                                        ; implicit-def: $vgpr16_vgpr17
.LBB14_137:                             ;   in Loop: Header=BB14_17 Depth=1
	s_and_not1_saveexec_b32 s15, s15
	s_cbranch_execz .LBB14_141
; %bb.138:                              ;   in Loop: Header=BB14_17 Depth=1
	s_mov_b32 s17, s14
	s_mov_b32 s16, exec_lo
                                        ; implicit-def: $vgpr14
	v_cmpx_eq_u16_e32 44, v7
	s_cbranch_execz .LBB14_140
; %bb.139:                              ;   in Loop: Header=BB14_17 Depth=1
	flat_load_u8 v14, v[16:17]
	s_or_b32 s17, s14, exec_lo
	s_wait_loadcnt_dscnt 0x0
	v_lshlrev_b32_e32 v16, 23, v14
	v_cmp_ne_u32_e32 vcc_lo, 0xff, v14
	s_delay_alu instid0(VALU_DEP_2) | instskip(SKIP_1) | instid1(VALU_DEP_2)
	v_cndmask_b32_e32 v16, 0x7f800001, v16, vcc_lo
	v_cmp_ne_u32_e32 vcc_lo, 0, v14
	v_cndmask_b32_e32 v14, 0x400000, v16, vcc_lo
.LBB14_140:                             ;   in Loop: Header=BB14_17 Depth=1
	s_or_b32 exec_lo, exec_lo, s16
	s_delay_alu instid0(SALU_CYCLE_1) | instskip(SKIP_1) | instid1(SALU_CYCLE_1)
	s_and_not1_b32 s14, s14, exec_lo
	s_and_b32 s16, s17, exec_lo
	s_or_b32 s14, s14, s16
.LBB14_141:                             ;   in Loop: Header=BB14_17 Depth=1
	s_or_b32 exec_lo, exec_lo, s15
	s_delay_alu instid0(SALU_CYCLE_1)
	s_and_b32 s14, s14, exec_lo
                                        ; implicit-def: $vgpr16_vgpr17
.LBB14_142:                             ;   in Loop: Header=BB14_17 Depth=1
	s_and_not1_saveexec_b32 s12, s12
	s_cbranch_execz .LBB14_146
; %bb.143:                              ;   in Loop: Header=BB14_17 Depth=1
	s_mov_b32 s16, s14
	s_mov_b32 s15, exec_lo
                                        ; implicit-def: $vgpr14
	v_cmpx_eq_u16_e32 29, v7
	s_cbranch_execz .LBB14_145
; %bb.144:                              ;   in Loop: Header=BB14_17 Depth=1
	flat_load_b64 v[16:17], v[16:17]
	s_or_b32 s16, s14, exec_lo
	s_wait_loadcnt_dscnt 0x0
	v_clz_i32_u32_e32 v14, v17
	s_delay_alu instid0(VALU_DEP_1) | instskip(SKIP_1) | instid1(VALU_DEP_1)
	v_min_u32_e32 v14, 32, v14
	s_wait_xcnt 0x0
	v_lshlrev_b64_e32 v[16:17], v14, v[16:17]
	v_sub_nc_u32_e32 v14, 32, v14
	s_delay_alu instid0(VALU_DEP_2) | instskip(NEXT) | instid1(VALU_DEP_1)
	v_min_u32_e32 v16, 1, v16
	v_or_b32_e32 v16, v17, v16
	s_delay_alu instid0(VALU_DEP_1) | instskip(NEXT) | instid1(VALU_DEP_1)
	v_cvt_f32_u32_e32 v16, v16
	v_ldexp_f32 v14, v16, v14
.LBB14_145:                             ;   in Loop: Header=BB14_17 Depth=1
	s_or_b32 exec_lo, exec_lo, s15
	s_delay_alu instid0(SALU_CYCLE_1) | instskip(SKIP_1) | instid1(SALU_CYCLE_1)
	s_and_not1_b32 s14, s14, exec_lo
	s_and_b32 s15, s16, exec_lo
	s_or_b32 s14, s14, s15
.LBB14_146:                             ;   in Loop: Header=BB14_17 Depth=1
	s_or_b32 exec_lo, exec_lo, s12
	s_delay_alu instid0(SALU_CYCLE_1)
	s_and_b32 s12, s14, exec_lo
                                        ; implicit-def: $vgpr16_vgpr17
.LBB14_147:                             ;   in Loop: Header=BB14_17 Depth=1
	s_and_not1_saveexec_b32 s13, s13
	s_cbranch_execz .LBB14_161
; %bb.148:                              ;   in Loop: Header=BB14_17 Depth=1
	s_mov_b32 s14, exec_lo
                                        ; implicit-def: $vgpr14
	v_cmpx_lt_i16_e32 26, v7
	s_xor_b32 s14, exec_lo, s14
	s_cbranch_execz .LBB14_154
; %bb.149:                              ;   in Loop: Header=BB14_17 Depth=1
	s_mov_b32 s15, exec_lo
                                        ; implicit-def: $vgpr14
	v_cmpx_lt_i16_e32 27, v7
	s_xor_b32 s15, exec_lo, s15
	s_cbranch_execz .LBB14_151
; %bb.150:                              ;   in Loop: Header=BB14_17 Depth=1
	flat_load_b32 v14, v[16:17]
                                        ; implicit-def: $vgpr16_vgpr17
	s_wait_loadcnt_dscnt 0x0
	v_cvt_f32_u32_e32 v14, v14
.LBB14_151:                             ;   in Loop: Header=BB14_17 Depth=1
	s_wait_xcnt 0x0
	s_and_not1_saveexec_b32 s15, s15
	s_cbranch_execz .LBB14_153
; %bb.152:                              ;   in Loop: Header=BB14_17 Depth=1
	flat_load_u16 v14, v[16:17]
	s_wait_loadcnt_dscnt 0x0
	v_cvt_f32_u32_e32 v14, v14
.LBB14_153:                             ;   in Loop: Header=BB14_17 Depth=1
	s_wait_xcnt 0x0
	s_or_b32 exec_lo, exec_lo, s15
                                        ; implicit-def: $vgpr16_vgpr17
.LBB14_154:                             ;   in Loop: Header=BB14_17 Depth=1
	s_and_not1_saveexec_b32 s14, s14
	s_cbranch_execz .LBB14_160
; %bb.155:                              ;   in Loop: Header=BB14_17 Depth=1
	flat_load_u8 v16, v[16:17]
	s_mov_b32 s15, 0
	s_mov_b32 s16, exec_lo
	s_wait_loadcnt_dscnt 0x0
	v_cmpx_lt_i16_e32 0x7f, v16
	s_xor_b32 s16, exec_lo, s16
	s_cbranch_execnz .LBB14_2202
; %bb.156:                              ;   in Loop: Header=BB14_17 Depth=1
	s_or_saveexec_b32 s16, s16
	v_mov_b32_e32 v14, 0x7f800001
	s_xor_b32 exec_lo, exec_lo, s16
	s_cbranch_execnz .LBB14_2205
.LBB14_157:                             ;   in Loop: Header=BB14_17 Depth=1
	s_or_b32 exec_lo, exec_lo, s16
	s_and_saveexec_b32 s16, s15
	s_cbranch_execz .LBB14_159
.LBB14_158:                             ;   in Loop: Header=BB14_17 Depth=1
	v_and_b32_e32 v14, 0xffff, v16
	s_delay_alu instid0(VALU_DEP_1) | instskip(SKIP_1) | instid1(VALU_DEP_2)
	v_and_b32_e32 v17, 7, v14
	v_bfe_u32 v22, v14, 3, 4
	v_clz_i32_u32_e32 v20, v17
	s_delay_alu instid0(VALU_DEP_2) | instskip(NEXT) | instid1(VALU_DEP_2)
	v_cmp_eq_u32_e32 vcc_lo, 0, v22
	v_min_u32_e32 v20, 32, v20
	s_delay_alu instid0(VALU_DEP_1) | instskip(NEXT) | instid1(VALU_DEP_1)
	v_subrev_nc_u32_e32 v21, 28, v20
	v_dual_lshlrev_b32 v14, v21, v14 :: v_dual_sub_nc_u32 v20, 29, v20
	s_delay_alu instid0(VALU_DEP_1) | instskip(NEXT) | instid1(VALU_DEP_1)
	v_dual_lshlrev_b32 v16, 24, v16 :: v_dual_bitop2_b32 v14, 7, v14 bitop3:0x40
	v_dual_cndmask_b32 v14, v17, v14, vcc_lo :: v_dual_cndmask_b32 v20, v22, v20, vcc_lo
	s_delay_alu instid0(VALU_DEP_2) | instskip(NEXT) | instid1(VALU_DEP_2)
	v_and_b32_e32 v16, 0x80000000, v16
	v_lshlrev_b32_e32 v14, 20, v14
	s_delay_alu instid0(VALU_DEP_3) | instskip(NEXT) | instid1(VALU_DEP_1)
	v_lshl_add_u32 v17, v20, 23, 0x3b800000
	v_or3_b32 v14, v16, v17, v14
.LBB14_159:                             ;   in Loop: Header=BB14_17 Depth=1
	s_or_b32 exec_lo, exec_lo, s16
.LBB14_160:                             ;   in Loop: Header=BB14_17 Depth=1
	s_delay_alu instid0(SALU_CYCLE_1) | instskip(NEXT) | instid1(SALU_CYCLE_1)
	s_or_b32 exec_lo, exec_lo, s14
	s_or_b32 s12, s12, exec_lo
.LBB14_161:                             ;   in Loop: Header=BB14_17 Depth=1
	s_or_b32 exec_lo, exec_lo, s13
	s_delay_alu instid0(SALU_CYCLE_1)
	s_and_b32 s12, s12, exec_lo
                                        ; implicit-def: $vgpr16_vgpr17
.LBB14_162:                             ;   in Loop: Header=BB14_17 Depth=1
	s_and_not1_saveexec_b32 s9, s9
	s_cbranch_execz .LBB14_188
; %bb.163:                              ;   in Loop: Header=BB14_17 Depth=1
	s_mov_b32 s14, s12
	s_mov_b32 s13, exec_lo
                                        ; implicit-def: $vgpr14
	v_cmpx_lt_i16_e32 22, v7
	s_xor_b32 s13, exec_lo, s13
	s_cbranch_execz .LBB14_177
; %bb.164:                              ;   in Loop: Header=BB14_17 Depth=1
	s_mov_b32 s14, exec_lo
                                        ; implicit-def: $vgpr14
	v_cmpx_lt_i16_e32 23, v7
	s_xor_b32 s14, exec_lo, s14
	s_cbranch_execz .LBB14_174
; %bb.165:                              ;   in Loop: Header=BB14_17 Depth=1
	;; [unrolled: 6-line block ×3, first 2 shown]
	flat_load_u8 v16, v[16:17]
	s_mov_b32 s16, 0
	s_mov_b32 s17, exec_lo
	s_wait_loadcnt_dscnt 0x0
	v_cmpx_lt_i16_e32 0x7f, v16
	s_xor_b32 s17, exec_lo, s17
	s_cbranch_execnz .LBB14_2310
; %bb.167:                              ;   in Loop: Header=BB14_17 Depth=1
	s_or_saveexec_b32 s17, s17
	v_mov_b32_e32 v14, 0x7f800001
	s_xor_b32 exec_lo, exec_lo, s17
	s_cbranch_execnz .LBB14_2313
.LBB14_168:                             ;   in Loop: Header=BB14_17 Depth=1
	s_or_b32 exec_lo, exec_lo, s17
	s_and_saveexec_b32 s17, s16
	s_cbranch_execz .LBB14_170
.LBB14_169:                             ;   in Loop: Header=BB14_17 Depth=1
	v_and_b32_e32 v14, 0xffff, v16
	s_delay_alu instid0(VALU_DEP_1) | instskip(SKIP_1) | instid1(VALU_DEP_2)
	v_and_b32_e32 v17, 3, v14
	v_bfe_u32 v22, v14, 2, 5
	v_clz_i32_u32_e32 v20, v17
	s_delay_alu instid0(VALU_DEP_2) | instskip(NEXT) | instid1(VALU_DEP_2)
	v_cmp_eq_u32_e32 vcc_lo, 0, v22
	v_min_u32_e32 v20, 32, v20
	s_delay_alu instid0(VALU_DEP_1) | instskip(NEXT) | instid1(VALU_DEP_1)
	v_subrev_nc_u32_e32 v21, 29, v20
	v_dual_lshlrev_b32 v14, v21, v14 :: v_dual_sub_nc_u32 v20, 30, v20
	s_delay_alu instid0(VALU_DEP_1) | instskip(NEXT) | instid1(VALU_DEP_1)
	v_dual_lshlrev_b32 v16, 24, v16 :: v_dual_bitop2_b32 v14, 3, v14 bitop3:0x40
	v_dual_cndmask_b32 v14, v17, v14, vcc_lo :: v_dual_cndmask_b32 v20, v22, v20, vcc_lo
	s_delay_alu instid0(VALU_DEP_2) | instskip(NEXT) | instid1(VALU_DEP_2)
	v_and_b32_e32 v16, 0x80000000, v16
	v_lshlrev_b32_e32 v14, 21, v14
	s_delay_alu instid0(VALU_DEP_3) | instskip(NEXT) | instid1(VALU_DEP_1)
	v_lshl_add_u32 v17, v20, 23, 0x37800000
	v_or3_b32 v14, v16, v17, v14
.LBB14_170:                             ;   in Loop: Header=BB14_17 Depth=1
	s_or_b32 exec_lo, exec_lo, s17
                                        ; implicit-def: $vgpr16_vgpr17
.LBB14_171:                             ;   in Loop: Header=BB14_17 Depth=1
	s_and_not1_saveexec_b32 s15, s15
	s_cbranch_execz .LBB14_173
; %bb.172:                              ;   in Loop: Header=BB14_17 Depth=1
	flat_load_u8 v14, v[16:17]
	s_wait_loadcnt_dscnt 0x0
	v_lshlrev_b32_e32 v14, 24, v14
	s_wait_xcnt 0x0
	s_delay_alu instid0(VALU_DEP_1) | instskip(NEXT) | instid1(VALU_DEP_1)
	v_and_b32_e32 v16, 0x7f000000, v14
	v_clz_i32_u32_e32 v17, v16
	v_cmp_ne_u32_e32 vcc_lo, 0, v16
	v_add_nc_u32_e32 v21, 0x1000000, v16
	s_delay_alu instid0(VALU_DEP_3) | instskip(NEXT) | instid1(VALU_DEP_1)
	v_min_u32_e32 v17, 32, v17
	v_sub_nc_u32_e64 v17, v17, 4 clamp
	s_delay_alu instid0(VALU_DEP_1) | instskip(NEXT) | instid1(VALU_DEP_1)
	v_dual_lshlrev_b32 v20, v17, v16 :: v_dual_lshlrev_b32 v17, 23, v17
	v_lshrrev_b32_e32 v20, 4, v20
	s_delay_alu instid0(VALU_DEP_1) | instskip(SKIP_1) | instid1(VALU_DEP_2)
	v_sub_nc_u32_e32 v17, v20, v17
	v_ashrrev_i32_e32 v20, 8, v21
	v_add_nc_u32_e32 v17, 0x3c000000, v17
	s_delay_alu instid0(VALU_DEP_1) | instskip(NEXT) | instid1(VALU_DEP_1)
	v_and_or_b32 v17, 0x7f800000, v20, v17
	v_cndmask_b32_e32 v16, 0, v17, vcc_lo
	s_delay_alu instid0(VALU_DEP_1)
	v_and_or_b32 v14, 0x80000000, v14, v16
.LBB14_173:                             ;   in Loop: Header=BB14_17 Depth=1
	s_or_b32 exec_lo, exec_lo, s15
                                        ; implicit-def: $vgpr16_vgpr17
.LBB14_174:                             ;   in Loop: Header=BB14_17 Depth=1
	s_and_not1_saveexec_b32 s14, s14
	s_cbranch_execz .LBB14_176
; %bb.175:                              ;   in Loop: Header=BB14_17 Depth=1
	flat_load_u8 v14, v[16:17]
	s_wait_loadcnt_dscnt 0x0
	v_lshlrev_b32_e32 v16, 25, v14
	v_lshlrev_b16 v14, 8, v14
	s_delay_alu instid0(VALU_DEP_1) | instskip(SKIP_1) | instid1(VALU_DEP_2)
	v_and_or_b32 v20, 0x7f00, v14, 0.5
	v_bfe_i32 v14, v14, 0, 16
	v_add_f32_e32 v20, -0.5, v20
	v_lshrrev_b32_e32 v17, 4, v16
	v_cmp_gt_u32_e32 vcc_lo, 0x8000000, v16
	s_delay_alu instid0(VALU_DEP_2) | instskip(NEXT) | instid1(VALU_DEP_1)
	v_or_b32_e32 v17, 0x70000000, v17
	v_mul_f32_e32 v17, 0x7800000, v17
	s_delay_alu instid0(VALU_DEP_1) | instskip(NEXT) | instid1(VALU_DEP_1)
	v_cndmask_b32_e32 v16, v17, v20, vcc_lo
	v_and_or_b32 v14, 0x80000000, v14, v16
.LBB14_176:                             ;   in Loop: Header=BB14_17 Depth=1
	s_or_b32 exec_lo, exec_lo, s14
	s_delay_alu instid0(SALU_CYCLE_1)
	s_or_b32 s14, s12, exec_lo
                                        ; implicit-def: $vgpr16_vgpr17
.LBB14_177:                             ;   in Loop: Header=BB14_17 Depth=1
	s_and_not1_saveexec_b32 s13, s13
	s_cbranch_execz .LBB14_187
; %bb.178:                              ;   in Loop: Header=BB14_17 Depth=1
	s_mov_b32 s15, s14
	s_mov_b32 s16, exec_lo
                                        ; implicit-def: $vgpr14
	v_cmpx_lt_i16_e32 14, v7
	s_xor_b32 s16, exec_lo, s16
	s_cbranch_execz .LBB14_182
; %bb.179:                              ;   in Loop: Header=BB14_17 Depth=1
	s_mov_b32 s15, s14
	s_mov_b32 s17, exec_lo
                                        ; implicit-def: $vgpr14
	v_cmpx_eq_u16_e32 15, v7
	s_cbranch_execz .LBB14_181
; %bb.180:                              ;   in Loop: Header=BB14_17 Depth=1
	flat_load_u16 v14, v[16:17]
	s_or_b32 s15, s14, exec_lo
	s_wait_loadcnt_dscnt 0x0
	v_lshlrev_b32_e32 v14, 16, v14
.LBB14_181:                             ;   in Loop: Header=BB14_17 Depth=1
	s_wait_xcnt 0x0
	s_or_b32 exec_lo, exec_lo, s17
	s_delay_alu instid0(SALU_CYCLE_1) | instskip(SKIP_1) | instid1(SALU_CYCLE_1)
	s_and_not1_b32 s17, s14, exec_lo
	s_and_b32 s15, s15, exec_lo
                                        ; implicit-def: $vgpr16_vgpr17
	s_or_b32 s15, s17, s15
.LBB14_182:                             ;   in Loop: Header=BB14_17 Depth=1
	s_and_not1_saveexec_b32 s16, s16
	s_cbranch_execz .LBB14_186
; %bb.183:                              ;   in Loop: Header=BB14_17 Depth=1
	s_mov_b32 s17, s15
	s_mov_b32 s18, exec_lo
                                        ; implicit-def: $vgpr14
	v_cmpx_eq_u16_e32 11, v7
	s_cbranch_execz .LBB14_185
; %bb.184:                              ;   in Loop: Header=BB14_17 Depth=1
	flat_load_u8 v14, v[16:17]
	s_or_b32 s17, s15, exec_lo
	s_wait_loadcnt_dscnt 0x0
	v_cmp_ne_u16_e32 vcc_lo, 0, v14
	v_cndmask_b32_e64 v14, 0, 1.0, vcc_lo
.LBB14_185:                             ;   in Loop: Header=BB14_17 Depth=1
	s_wait_xcnt 0x0
	s_or_b32 exec_lo, exec_lo, s18
	s_delay_alu instid0(SALU_CYCLE_1) | instskip(SKIP_1) | instid1(SALU_CYCLE_1)
	s_and_not1_b32 s15, s15, exec_lo
	s_and_b32 s17, s17, exec_lo
	s_or_b32 s15, s15, s17
.LBB14_186:                             ;   in Loop: Header=BB14_17 Depth=1
	s_or_b32 exec_lo, exec_lo, s16
	s_delay_alu instid0(SALU_CYCLE_1) | instskip(SKIP_1) | instid1(SALU_CYCLE_1)
	s_and_not1_b32 s14, s14, exec_lo
	s_and_b32 s15, s15, exec_lo
	s_or_b32 s14, s14, s15
.LBB14_187:                             ;   in Loop: Header=BB14_17 Depth=1
	s_or_b32 exec_lo, exec_lo, s13
	s_delay_alu instid0(SALU_CYCLE_1) | instskip(SKIP_1) | instid1(SALU_CYCLE_1)
	s_and_not1_b32 s12, s12, exec_lo
	s_and_b32 s13, s14, exec_lo
	s_or_b32 s12, s12, s13
.LBB14_188:                             ;   in Loop: Header=BB14_17 Depth=1
	s_or_b32 exec_lo, exec_lo, s9
	s_delay_alu instid0(SALU_CYCLE_1)
	s_and_b32 s13, s12, exec_lo
                                        ; implicit-def: $vgpr16_vgpr17
.LBB14_189:                             ;   in Loop: Header=BB14_17 Depth=1
	s_and_not1_saveexec_b32 s8, s8
	s_cbranch_execz .LBB14_231
; %bb.190:                              ;   in Loop: Header=BB14_17 Depth=1
	s_mov_b32 s9, exec_lo
                                        ; implicit-def: $vgpr14
	v_cmpx_lt_i16_e32 4, v7
	s_xor_b32 s9, exec_lo, s9
	s_cbranch_execz .LBB14_212
; %bb.191:                              ;   in Loop: Header=BB14_17 Depth=1
	s_mov_b32 s12, exec_lo
                                        ; implicit-def: $vgpr14
	v_cmpx_lt_i16_e32 7, v7
	s_xor_b32 s12, exec_lo, s12
	;; [unrolled: 6-line block ×4, first 2 shown]
	s_cbranch_execz .LBB14_195
; %bb.194:                              ;   in Loop: Header=BB14_17 Depth=1
	flat_load_b64 v[16:17], v[16:17]
	s_wait_loadcnt_dscnt 0x0
	v_cvt_f32_f64_e32 v14, v[16:17]
                                        ; implicit-def: $vgpr16_vgpr17
.LBB14_195:                             ;   in Loop: Header=BB14_17 Depth=1
	s_wait_xcnt 0x0
	s_and_not1_saveexec_b32 s15, s15
	s_cbranch_execz .LBB14_197
; %bb.196:                              ;   in Loop: Header=BB14_17 Depth=1
	flat_load_b32 v14, v[16:17]
.LBB14_197:                             ;   in Loop: Header=BB14_17 Depth=1
	s_wait_xcnt 0x0
	s_or_b32 exec_lo, exec_lo, s15
                                        ; implicit-def: $vgpr16_vgpr17
.LBB14_198:                             ;   in Loop: Header=BB14_17 Depth=1
	s_and_not1_saveexec_b32 s14, s14
	s_cbranch_execz .LBB14_200
; %bb.199:                              ;   in Loop: Header=BB14_17 Depth=1
	s_wait_loadcnt_dscnt 0x0
	flat_load_b32 v14, v[16:17]
	s_wait_loadcnt_dscnt 0x0
	v_cvt_f32_f16_e32 v14, v14
.LBB14_200:                             ;   in Loop: Header=BB14_17 Depth=1
	s_wait_xcnt 0x0
	s_or_b32 exec_lo, exec_lo, s14
                                        ; implicit-def: $vgpr16_vgpr17
.LBB14_201:                             ;   in Loop: Header=BB14_17 Depth=1
	s_and_not1_saveexec_b32 s12, s12
	s_cbranch_execz .LBB14_211
; %bb.202:                              ;   in Loop: Header=BB14_17 Depth=1
	s_mov_b32 s14, exec_lo
                                        ; implicit-def: $vgpr14
	v_cmpx_lt_i16_e32 5, v7
	s_xor_b32 s14, exec_lo, s14
	s_cbranch_execz .LBB14_208
; %bb.203:                              ;   in Loop: Header=BB14_17 Depth=1
	s_mov_b32 s15, exec_lo
                                        ; implicit-def: $vgpr14
	v_cmpx_lt_i16_e32 6, v7
	s_xor_b32 s15, exec_lo, s15
	s_cbranch_execz .LBB14_205
; %bb.204:                              ;   in Loop: Header=BB14_17 Depth=1
	flat_load_b64 v[16:17], v[16:17]
	s_wait_loadcnt_dscnt 0x0
	v_cvt_f32_f64_e32 v14, v[16:17]
                                        ; implicit-def: $vgpr16_vgpr17
.LBB14_205:                             ;   in Loop: Header=BB14_17 Depth=1
	s_wait_xcnt 0x0
	s_and_not1_saveexec_b32 s15, s15
	s_cbranch_execz .LBB14_207
; %bb.206:                              ;   in Loop: Header=BB14_17 Depth=1
	s_wait_loadcnt_dscnt 0x0
	flat_load_b32 v14, v[16:17]
.LBB14_207:                             ;   in Loop: Header=BB14_17 Depth=1
	s_wait_xcnt 0x0
	s_or_b32 exec_lo, exec_lo, s15
                                        ; implicit-def: $vgpr16_vgpr17
.LBB14_208:                             ;   in Loop: Header=BB14_17 Depth=1
	s_and_not1_saveexec_b32 s14, s14
	s_cbranch_execz .LBB14_210
; %bb.209:                              ;   in Loop: Header=BB14_17 Depth=1
	s_wait_loadcnt_dscnt 0x0
	flat_load_u16 v14, v[16:17]
	s_wait_loadcnt_dscnt 0x0
	v_cvt_f32_f16_e32 v14, v14
.LBB14_210:                             ;   in Loop: Header=BB14_17 Depth=1
	s_wait_xcnt 0x0
	s_or_b32 exec_lo, exec_lo, s14
.LBB14_211:                             ;   in Loop: Header=BB14_17 Depth=1
	s_delay_alu instid0(SALU_CYCLE_1)
	s_or_b32 exec_lo, exec_lo, s12
                                        ; implicit-def: $vgpr16_vgpr17
.LBB14_212:                             ;   in Loop: Header=BB14_17 Depth=1
	s_and_not1_saveexec_b32 s9, s9
	s_cbranch_execz .LBB14_230
; %bb.213:                              ;   in Loop: Header=BB14_17 Depth=1
	s_mov_b32 s12, exec_lo
                                        ; implicit-def: $vgpr14
	v_cmpx_lt_i16_e32 1, v7
	s_xor_b32 s12, exec_lo, s12
	s_cbranch_execz .LBB14_223
; %bb.214:                              ;   in Loop: Header=BB14_17 Depth=1
	s_mov_b32 s14, exec_lo
                                        ; implicit-def: $vgpr14
	v_cmpx_lt_i16_e32 2, v7
	s_xor_b32 s14, exec_lo, s14
	;; [unrolled: 6-line block ×3, first 2 shown]
	s_cbranch_execz .LBB14_217
; %bb.216:                              ;   in Loop: Header=BB14_17 Depth=1
	flat_load_b64 v[16:17], v[16:17]
	s_wait_loadcnt_dscnt 0x0
	v_xor_b32_e32 v14, v16, v17
	v_cls_i32_e32 v20, v17
	s_delay_alu instid0(VALU_DEP_2) | instskip(NEXT) | instid1(VALU_DEP_1)
	v_ashrrev_i32_e32 v14, 31, v14
	v_add_nc_u32_e32 v14, 32, v14
	s_delay_alu instid0(VALU_DEP_1) | instskip(SKIP_1) | instid1(VALU_DEP_1)
	v_add_min_u32_e64 v14, v20, -1, v14
	s_wait_xcnt 0x0
	v_lshlrev_b64_e32 v[16:17], v14, v[16:17]
	v_sub_nc_u32_e32 v14, 32, v14
	s_delay_alu instid0(VALU_DEP_2) | instskip(NEXT) | instid1(VALU_DEP_1)
	v_min_u32_e32 v16, 1, v16
	v_or_b32_e32 v16, v17, v16
	s_delay_alu instid0(VALU_DEP_1) | instskip(NEXT) | instid1(VALU_DEP_1)
	v_cvt_f32_i32_e32 v16, v16
	v_ldexp_f32 v14, v16, v14
                                        ; implicit-def: $vgpr16_vgpr17
.LBB14_217:                             ;   in Loop: Header=BB14_17 Depth=1
	s_and_not1_saveexec_b32 s15, s15
	s_cbranch_execz .LBB14_219
; %bb.218:                              ;   in Loop: Header=BB14_17 Depth=1
	s_wait_loadcnt_dscnt 0x0
	flat_load_b32 v14, v[16:17]
	s_wait_loadcnt_dscnt 0x0
	v_cvt_f32_i32_e32 v14, v14
.LBB14_219:                             ;   in Loop: Header=BB14_17 Depth=1
	s_wait_xcnt 0x0
	s_or_b32 exec_lo, exec_lo, s15
                                        ; implicit-def: $vgpr16_vgpr17
.LBB14_220:                             ;   in Loop: Header=BB14_17 Depth=1
	s_and_not1_saveexec_b32 s14, s14
	s_cbranch_execz .LBB14_222
; %bb.221:                              ;   in Loop: Header=BB14_17 Depth=1
	s_wait_loadcnt_dscnt 0x0
	flat_load_i16 v14, v[16:17]
	s_wait_loadcnt_dscnt 0x0
	v_cvt_f32_i32_e32 v14, v14
.LBB14_222:                             ;   in Loop: Header=BB14_17 Depth=1
	s_wait_xcnt 0x0
	s_or_b32 exec_lo, exec_lo, s14
                                        ; implicit-def: $vgpr16_vgpr17
.LBB14_223:                             ;   in Loop: Header=BB14_17 Depth=1
	s_and_not1_saveexec_b32 s12, s12
	s_cbranch_execz .LBB14_229
; %bb.224:                              ;   in Loop: Header=BB14_17 Depth=1
	s_mov_b32 s14, exec_lo
                                        ; implicit-def: $vgpr14
	v_cmpx_lt_i16_e32 0, v7
	s_xor_b32 s14, exec_lo, s14
	s_cbranch_execz .LBB14_226
; %bb.225:                              ;   in Loop: Header=BB14_17 Depth=1
	s_wait_loadcnt_dscnt 0x0
	flat_load_i8 v14, v[16:17]
                                        ; implicit-def: $vgpr16_vgpr17
	s_wait_loadcnt_dscnt 0x0
	v_cvt_f32_i32_e32 v14, v14
.LBB14_226:                             ;   in Loop: Header=BB14_17 Depth=1
	s_wait_xcnt 0x0
	s_and_not1_saveexec_b32 s14, s14
	s_cbranch_execz .LBB14_228
; %bb.227:                              ;   in Loop: Header=BB14_17 Depth=1
	s_wait_loadcnt_dscnt 0x0
	flat_load_u8 v14, v[16:17]
	s_wait_loadcnt_dscnt 0x0
	v_cvt_f32_ubyte0_e32 v14, v14
.LBB14_228:                             ;   in Loop: Header=BB14_17 Depth=1
	s_wait_xcnt 0x0
	s_or_b32 exec_lo, exec_lo, s14
.LBB14_229:                             ;   in Loop: Header=BB14_17 Depth=1
	s_delay_alu instid0(SALU_CYCLE_1)
	s_or_b32 exec_lo, exec_lo, s12
.LBB14_230:                             ;   in Loop: Header=BB14_17 Depth=1
	s_delay_alu instid0(SALU_CYCLE_1) | instskip(NEXT) | instid1(SALU_CYCLE_1)
	s_or_b32 exec_lo, exec_lo, s9
	s_or_b32 s13, s13, exec_lo
.LBB14_231:                             ;   in Loop: Header=BB14_17 Depth=1
	s_or_b32 exec_lo, exec_lo, s8
	s_mov_b32 s8, -1
	s_mov_b32 s14, 0
	s_mov_b32 s9, 0
	s_and_saveexec_b32 s12, s13
	s_cbranch_execz .LBB14_237
; %bb.232:                              ;   in Loop: Header=BB14_17 Depth=1
	s_add_co_i32 s8, s32, s1
	s_mov_b32 s13, 0
	s_wait_loadcnt_dscnt 0x0
	scratch_store_b32 off, v14, s8 offset:12
	s_wait_xcnt 0x0
	v_mul_lo_u32 v14, v19, v10
	v_and_b32_e32 v19, 0xff, v8
	s_mov_b32 s9, exec_lo
	s_delay_alu instid0(VALU_DEP_2) | instskip(NEXT) | instid1(VALU_DEP_2)
	v_add_nc_u64_e32 v[16:17], v[4:5], v[14:15]
                                        ; implicit-def: $vgpr14
	v_cmpx_lt_i16_e32 10, v19
	s_xor_b32 s9, exec_lo, s9
	s_cbranch_execnz .LBB14_1894
; %bb.233:                              ;   in Loop: Header=BB14_17 Depth=1
	s_and_not1_saveexec_b32 s9, s9
	s_cbranch_execnz .LBB14_1953
.LBB14_234:                             ;   in Loop: Header=BB14_17 Depth=1
	s_or_b32 exec_lo, exec_lo, s9
	s_mov_b32 s14, 0
	s_and_saveexec_b32 s9, s13
	s_cbranch_execz .LBB14_236
.LBB14_235:                             ;   in Loop: Header=BB14_17 Depth=1
	v_add_nc_u32_e32 v18, 0x200, v18
	s_mov_b32 s14, exec_lo
	s_wait_loadcnt_dscnt 0x0
	scratch_store_b32 off, v14, s8 offset:8
.LBB14_236:                             ;   in Loop: Header=BB14_17 Depth=1
	s_wait_xcnt 0x0
	s_or_b32 exec_lo, exec_lo, s9
	s_delay_alu instid0(SALU_CYCLE_1)
	s_mov_b32 s9, exec_lo
	s_xor_b32 s8, exec_lo, -1
	s_and_b32 s14, s14, exec_lo
.LBB14_237:                             ;   in Loop: Header=BB14_17 Depth=1
	s_or_b32 exec_lo, exec_lo, s12
	s_delay_alu instid0(SALU_CYCLE_1)
	s_or_not1_b32 s12, s14, exec_lo
.LBB14_238:                             ;   in Loop: Header=BB14_17 Depth=1
	s_or_b32 exec_lo, exec_lo, s10
	s_and_saveexec_b32 s10, s12
	s_cbranch_execz .LBB14_15
; %bb.239:                              ;   in Loop: Header=BB14_17 Depth=1
	s_mov_b32 s14, -1
	s_mov_b32 s15, -1
	s_mov_b32 s13, exec_lo
                                        ; implicit-def: $sgpr11
                                        ; implicit-def: $sgpr12
	v_cmpx_lt_i32_e64 v18, v6
	s_cbranch_execz .LBB14_349
; %bb.240:                              ;   in Loop: Header=BB14_17 Depth=1
	v_add_nc_u32_e32 v19, s2, v18
	s_mov_b32 s16, 0
	s_mov_b32 s11, exec_lo
	s_wait_loadcnt_dscnt 0x0
	s_delay_alu instid0(VALU_DEP_1) | instskip(NEXT) | instid1(VALU_DEP_1)
	v_mul_lo_u32 v14, v19, v9
	v_add_nc_u64_e32 v[16:17], v[2:3], v[14:15]
                                        ; implicit-def: $vgpr14
	v_cmpx_lt_i16_e32 10, v7
	s_xor_b32 s11, exec_lo, s11
	s_cbranch_execz .LBB14_300
; %bb.241:                              ;   in Loop: Header=BB14_17 Depth=1
	s_mov_b32 s15, 0
	s_mov_b32 s12, exec_lo
                                        ; implicit-def: $vgpr14
	v_cmpx_lt_i16_e32 25, v7
	s_xor_b32 s12, exec_lo, s12
	s_cbranch_execz .LBB14_273
; %bb.242:                              ;   in Loop: Header=BB14_17 Depth=1
	s_mov_b32 s16, exec_lo
                                        ; implicit-def: $vgpr14
	v_cmpx_lt_i16_e32 28, v7
	s_xor_b32 s16, exec_lo, s16
	s_cbranch_execz .LBB14_258
; %bb.243:                              ;   in Loop: Header=BB14_17 Depth=1
	s_mov_b32 s17, 0
	s_mov_b32 s15, exec_lo
                                        ; implicit-def: $vgpr14
	v_cmpx_lt_i16_e32 43, v7
	s_xor_b32 s15, exec_lo, s15
	s_cbranch_execz .LBB14_253
; %bb.244:                              ;   in Loop: Header=BB14_17 Depth=1
	s_mov_b32 s18, exec_lo
                                        ; implicit-def: $vgpr14
	v_cmpx_lt_i16_e32 45, v7
	s_xor_b32 s18, exec_lo, s18
	s_cbranch_execz .LBB14_248
; %bb.245:                              ;   in Loop: Header=BB14_17 Depth=1
	s_mov_b32 s19, exec_lo
                                        ; implicit-def: $vgpr14
	v_cmpx_eq_u16_e32 46, v7
	s_cbranch_execz .LBB14_247
; %bb.246:                              ;   in Loop: Header=BB14_17 Depth=1
	flat_load_b32 v14, v[16:17]
	s_mov_b32 s17, exec_lo
	s_wait_loadcnt_dscnt 0x0
	v_lshlrev_b32_e32 v14, 16, v14
.LBB14_247:                             ;   in Loop: Header=BB14_17 Depth=1
	s_wait_xcnt 0x0
	s_or_b32 exec_lo, exec_lo, s19
	s_delay_alu instid0(SALU_CYCLE_1)
	s_and_b32 s17, s17, exec_lo
                                        ; implicit-def: $vgpr16_vgpr17
.LBB14_248:                             ;   in Loop: Header=BB14_17 Depth=1
	s_and_not1_saveexec_b32 s18, s18
	s_cbranch_execz .LBB14_252
; %bb.249:                              ;   in Loop: Header=BB14_17 Depth=1
	s_mov_b32 s20, s17
	s_mov_b32 s19, exec_lo
                                        ; implicit-def: $vgpr14
	v_cmpx_eq_u16_e32 44, v7
	s_cbranch_execz .LBB14_251
; %bb.250:                              ;   in Loop: Header=BB14_17 Depth=1
	flat_load_u8 v14, v[16:17]
	s_or_b32 s20, s17, exec_lo
	s_wait_loadcnt_dscnt 0x0
	v_lshlrev_b32_e32 v16, 23, v14
	v_cmp_ne_u32_e32 vcc_lo, 0xff, v14
	s_delay_alu instid0(VALU_DEP_2) | instskip(SKIP_1) | instid1(VALU_DEP_2)
	v_cndmask_b32_e32 v16, 0x7f800001, v16, vcc_lo
	v_cmp_ne_u32_e32 vcc_lo, 0, v14
	v_cndmask_b32_e32 v14, 0x400000, v16, vcc_lo
.LBB14_251:                             ;   in Loop: Header=BB14_17 Depth=1
	s_or_b32 exec_lo, exec_lo, s19
	s_delay_alu instid0(SALU_CYCLE_1) | instskip(SKIP_1) | instid1(SALU_CYCLE_1)
	s_and_not1_b32 s17, s17, exec_lo
	s_and_b32 s19, s20, exec_lo
	s_or_b32 s17, s17, s19
.LBB14_252:                             ;   in Loop: Header=BB14_17 Depth=1
	s_or_b32 exec_lo, exec_lo, s18
	s_delay_alu instid0(SALU_CYCLE_1)
	s_and_b32 s17, s17, exec_lo
                                        ; implicit-def: $vgpr16_vgpr17
.LBB14_253:                             ;   in Loop: Header=BB14_17 Depth=1
	s_and_not1_saveexec_b32 s15, s15
	s_cbranch_execz .LBB14_257
; %bb.254:                              ;   in Loop: Header=BB14_17 Depth=1
	s_mov_b32 s19, s17
	s_mov_b32 s18, exec_lo
                                        ; implicit-def: $vgpr14
	v_cmpx_eq_u16_e32 29, v7
	s_cbranch_execz .LBB14_256
; %bb.255:                              ;   in Loop: Header=BB14_17 Depth=1
	flat_load_b64 v[16:17], v[16:17]
	s_or_b32 s19, s17, exec_lo
	s_wait_loadcnt_dscnt 0x0
	v_clz_i32_u32_e32 v14, v17
	s_delay_alu instid0(VALU_DEP_1) | instskip(SKIP_1) | instid1(VALU_DEP_1)
	v_min_u32_e32 v14, 32, v14
	s_wait_xcnt 0x0
	v_lshlrev_b64_e32 v[16:17], v14, v[16:17]
	v_sub_nc_u32_e32 v14, 32, v14
	s_delay_alu instid0(VALU_DEP_2) | instskip(NEXT) | instid1(VALU_DEP_1)
	v_min_u32_e32 v16, 1, v16
	v_or_b32_e32 v16, v17, v16
	s_delay_alu instid0(VALU_DEP_1) | instskip(NEXT) | instid1(VALU_DEP_1)
	v_cvt_f32_u32_e32 v16, v16
	v_ldexp_f32 v14, v16, v14
.LBB14_256:                             ;   in Loop: Header=BB14_17 Depth=1
	s_or_b32 exec_lo, exec_lo, s18
	s_delay_alu instid0(SALU_CYCLE_1) | instskip(SKIP_1) | instid1(SALU_CYCLE_1)
	s_and_not1_b32 s17, s17, exec_lo
	s_and_b32 s18, s19, exec_lo
	s_or_b32 s17, s17, s18
.LBB14_257:                             ;   in Loop: Header=BB14_17 Depth=1
	s_or_b32 exec_lo, exec_lo, s15
	s_delay_alu instid0(SALU_CYCLE_1)
	s_and_b32 s15, s17, exec_lo
                                        ; implicit-def: $vgpr16_vgpr17
.LBB14_258:                             ;   in Loop: Header=BB14_17 Depth=1
	s_and_not1_saveexec_b32 s16, s16
	s_cbranch_execz .LBB14_272
; %bb.259:                              ;   in Loop: Header=BB14_17 Depth=1
	s_mov_b32 s17, exec_lo
                                        ; implicit-def: $vgpr14
	v_cmpx_lt_i16_e32 26, v7
	s_xor_b32 s17, exec_lo, s17
	s_cbranch_execz .LBB14_265
; %bb.260:                              ;   in Loop: Header=BB14_17 Depth=1
	s_mov_b32 s18, exec_lo
                                        ; implicit-def: $vgpr14
	v_cmpx_lt_i16_e32 27, v7
	s_xor_b32 s18, exec_lo, s18
	s_cbranch_execz .LBB14_262
; %bb.261:                              ;   in Loop: Header=BB14_17 Depth=1
	flat_load_b32 v14, v[16:17]
                                        ; implicit-def: $vgpr16_vgpr17
	s_wait_loadcnt_dscnt 0x0
	v_cvt_f32_u32_e32 v14, v14
.LBB14_262:                             ;   in Loop: Header=BB14_17 Depth=1
	s_wait_xcnt 0x0
	s_and_not1_saveexec_b32 s18, s18
	s_cbranch_execz .LBB14_264
; %bb.263:                              ;   in Loop: Header=BB14_17 Depth=1
	flat_load_u16 v14, v[16:17]
	s_wait_loadcnt_dscnt 0x0
	v_cvt_f32_u32_e32 v14, v14
.LBB14_264:                             ;   in Loop: Header=BB14_17 Depth=1
	s_wait_xcnt 0x0
	s_or_b32 exec_lo, exec_lo, s18
                                        ; implicit-def: $vgpr16_vgpr17
.LBB14_265:                             ;   in Loop: Header=BB14_17 Depth=1
	s_and_not1_saveexec_b32 s17, s17
	s_cbranch_execz .LBB14_271
; %bb.266:                              ;   in Loop: Header=BB14_17 Depth=1
	flat_load_u8 v16, v[16:17]
	s_mov_b32 s18, 0
	s_mov_b32 s19, exec_lo
	s_wait_loadcnt_dscnt 0x0
	v_cmpx_lt_i16_e32 0x7f, v16
	s_xor_b32 s19, exec_lo, s19
	s_cbranch_execnz .LBB14_2314
; %bb.267:                              ;   in Loop: Header=BB14_17 Depth=1
	s_or_saveexec_b32 s19, s19
	v_mov_b32_e32 v14, 0x7f800001
	s_xor_b32 exec_lo, exec_lo, s19
	s_cbranch_execnz .LBB14_2317
.LBB14_268:                             ;   in Loop: Header=BB14_17 Depth=1
	s_or_b32 exec_lo, exec_lo, s19
	s_and_saveexec_b32 s19, s18
	s_cbranch_execz .LBB14_270
.LBB14_269:                             ;   in Loop: Header=BB14_17 Depth=1
	v_and_b32_e32 v14, 0xffff, v16
	s_delay_alu instid0(VALU_DEP_1) | instskip(SKIP_1) | instid1(VALU_DEP_2)
	v_and_b32_e32 v17, 7, v14
	v_bfe_u32 v22, v14, 3, 4
	v_clz_i32_u32_e32 v20, v17
	s_delay_alu instid0(VALU_DEP_2) | instskip(NEXT) | instid1(VALU_DEP_2)
	v_cmp_eq_u32_e32 vcc_lo, 0, v22
	v_min_u32_e32 v20, 32, v20
	s_delay_alu instid0(VALU_DEP_1) | instskip(NEXT) | instid1(VALU_DEP_1)
	v_subrev_nc_u32_e32 v21, 28, v20
	v_dual_lshlrev_b32 v14, v21, v14 :: v_dual_sub_nc_u32 v20, 29, v20
	s_delay_alu instid0(VALU_DEP_1) | instskip(NEXT) | instid1(VALU_DEP_1)
	v_dual_lshlrev_b32 v16, 24, v16 :: v_dual_bitop2_b32 v14, 7, v14 bitop3:0x40
	v_dual_cndmask_b32 v14, v17, v14, vcc_lo :: v_dual_cndmask_b32 v20, v22, v20, vcc_lo
	s_delay_alu instid0(VALU_DEP_2) | instskip(NEXT) | instid1(VALU_DEP_2)
	v_and_b32_e32 v16, 0x80000000, v16
	v_lshlrev_b32_e32 v14, 20, v14
	s_delay_alu instid0(VALU_DEP_3) | instskip(NEXT) | instid1(VALU_DEP_1)
	v_lshl_add_u32 v17, v20, 23, 0x3b800000
	v_or3_b32 v14, v16, v17, v14
.LBB14_270:                             ;   in Loop: Header=BB14_17 Depth=1
	s_or_b32 exec_lo, exec_lo, s19
.LBB14_271:                             ;   in Loop: Header=BB14_17 Depth=1
	s_delay_alu instid0(SALU_CYCLE_1) | instskip(NEXT) | instid1(SALU_CYCLE_1)
	s_or_b32 exec_lo, exec_lo, s17
	s_or_b32 s15, s15, exec_lo
.LBB14_272:                             ;   in Loop: Header=BB14_17 Depth=1
	s_or_b32 exec_lo, exec_lo, s16
	s_delay_alu instid0(SALU_CYCLE_1)
	s_and_b32 s15, s15, exec_lo
                                        ; implicit-def: $vgpr16_vgpr17
.LBB14_273:                             ;   in Loop: Header=BB14_17 Depth=1
	s_and_not1_saveexec_b32 s12, s12
	s_cbranch_execz .LBB14_299
; %bb.274:                              ;   in Loop: Header=BB14_17 Depth=1
	s_mov_b32 s17, s15
	s_mov_b32 s16, exec_lo
                                        ; implicit-def: $vgpr14
	v_cmpx_lt_i16_e32 22, v7
	s_xor_b32 s16, exec_lo, s16
	s_cbranch_execz .LBB14_288
; %bb.275:                              ;   in Loop: Header=BB14_17 Depth=1
	s_mov_b32 s17, exec_lo
                                        ; implicit-def: $vgpr14
	v_cmpx_lt_i16_e32 23, v7
	s_xor_b32 s17, exec_lo, s17
	s_cbranch_execz .LBB14_285
; %bb.276:                              ;   in Loop: Header=BB14_17 Depth=1
	;; [unrolled: 6-line block ×3, first 2 shown]
	flat_load_u8 v16, v[16:17]
	s_mov_b32 s19, 0
	s_mov_b32 s20, exec_lo
	s_wait_loadcnt_dscnt 0x0
	v_cmpx_lt_i16_e32 0x7f, v16
	s_xor_b32 s20, exec_lo, s20
	s_cbranch_execnz .LBB14_2426
; %bb.278:                              ;   in Loop: Header=BB14_17 Depth=1
	s_or_saveexec_b32 s20, s20
	v_mov_b32_e32 v14, 0x7f800001
	s_xor_b32 exec_lo, exec_lo, s20
	s_cbranch_execnz .LBB14_2429
.LBB14_279:                             ;   in Loop: Header=BB14_17 Depth=1
	s_or_b32 exec_lo, exec_lo, s20
	s_and_saveexec_b32 s20, s19
	s_cbranch_execz .LBB14_281
.LBB14_280:                             ;   in Loop: Header=BB14_17 Depth=1
	v_and_b32_e32 v14, 0xffff, v16
	s_delay_alu instid0(VALU_DEP_1) | instskip(SKIP_1) | instid1(VALU_DEP_2)
	v_and_b32_e32 v17, 3, v14
	v_bfe_u32 v22, v14, 2, 5
	v_clz_i32_u32_e32 v20, v17
	s_delay_alu instid0(VALU_DEP_2) | instskip(NEXT) | instid1(VALU_DEP_2)
	v_cmp_eq_u32_e32 vcc_lo, 0, v22
	v_min_u32_e32 v20, 32, v20
	s_delay_alu instid0(VALU_DEP_1) | instskip(NEXT) | instid1(VALU_DEP_1)
	v_subrev_nc_u32_e32 v21, 29, v20
	v_dual_lshlrev_b32 v14, v21, v14 :: v_dual_sub_nc_u32 v20, 30, v20
	s_delay_alu instid0(VALU_DEP_1) | instskip(NEXT) | instid1(VALU_DEP_1)
	v_dual_lshlrev_b32 v16, 24, v16 :: v_dual_bitop2_b32 v14, 3, v14 bitop3:0x40
	v_dual_cndmask_b32 v14, v17, v14, vcc_lo :: v_dual_cndmask_b32 v20, v22, v20, vcc_lo
	s_delay_alu instid0(VALU_DEP_2) | instskip(NEXT) | instid1(VALU_DEP_2)
	v_and_b32_e32 v16, 0x80000000, v16
	v_lshlrev_b32_e32 v14, 21, v14
	s_delay_alu instid0(VALU_DEP_3) | instskip(NEXT) | instid1(VALU_DEP_1)
	v_lshl_add_u32 v17, v20, 23, 0x37800000
	v_or3_b32 v14, v16, v17, v14
.LBB14_281:                             ;   in Loop: Header=BB14_17 Depth=1
	s_or_b32 exec_lo, exec_lo, s20
                                        ; implicit-def: $vgpr16_vgpr17
.LBB14_282:                             ;   in Loop: Header=BB14_17 Depth=1
	s_and_not1_saveexec_b32 s18, s18
	s_cbranch_execz .LBB14_284
; %bb.283:                              ;   in Loop: Header=BB14_17 Depth=1
	flat_load_u8 v14, v[16:17]
	s_wait_loadcnt_dscnt 0x0
	v_lshlrev_b32_e32 v14, 24, v14
	s_wait_xcnt 0x0
	s_delay_alu instid0(VALU_DEP_1) | instskip(NEXT) | instid1(VALU_DEP_1)
	v_and_b32_e32 v16, 0x7f000000, v14
	v_clz_i32_u32_e32 v17, v16
	v_cmp_ne_u32_e32 vcc_lo, 0, v16
	v_add_nc_u32_e32 v21, 0x1000000, v16
	s_delay_alu instid0(VALU_DEP_3) | instskip(NEXT) | instid1(VALU_DEP_1)
	v_min_u32_e32 v17, 32, v17
	v_sub_nc_u32_e64 v17, v17, 4 clamp
	s_delay_alu instid0(VALU_DEP_1) | instskip(NEXT) | instid1(VALU_DEP_1)
	v_dual_lshlrev_b32 v20, v17, v16 :: v_dual_lshlrev_b32 v17, 23, v17
	v_lshrrev_b32_e32 v20, 4, v20
	s_delay_alu instid0(VALU_DEP_1) | instskip(SKIP_1) | instid1(VALU_DEP_2)
	v_sub_nc_u32_e32 v17, v20, v17
	v_ashrrev_i32_e32 v20, 8, v21
	v_add_nc_u32_e32 v17, 0x3c000000, v17
	s_delay_alu instid0(VALU_DEP_1) | instskip(NEXT) | instid1(VALU_DEP_1)
	v_and_or_b32 v17, 0x7f800000, v20, v17
	v_cndmask_b32_e32 v16, 0, v17, vcc_lo
	s_delay_alu instid0(VALU_DEP_1)
	v_and_or_b32 v14, 0x80000000, v14, v16
.LBB14_284:                             ;   in Loop: Header=BB14_17 Depth=1
	s_or_b32 exec_lo, exec_lo, s18
                                        ; implicit-def: $vgpr16_vgpr17
.LBB14_285:                             ;   in Loop: Header=BB14_17 Depth=1
	s_and_not1_saveexec_b32 s17, s17
	s_cbranch_execz .LBB14_287
; %bb.286:                              ;   in Loop: Header=BB14_17 Depth=1
	flat_load_u8 v14, v[16:17]
	s_wait_loadcnt_dscnt 0x0
	v_lshlrev_b32_e32 v16, 25, v14
	v_lshlrev_b16 v14, 8, v14
	s_delay_alu instid0(VALU_DEP_1) | instskip(SKIP_1) | instid1(VALU_DEP_2)
	v_and_or_b32 v20, 0x7f00, v14, 0.5
	v_bfe_i32 v14, v14, 0, 16
	v_add_f32_e32 v20, -0.5, v20
	v_lshrrev_b32_e32 v17, 4, v16
	v_cmp_gt_u32_e32 vcc_lo, 0x8000000, v16
	s_delay_alu instid0(VALU_DEP_2) | instskip(NEXT) | instid1(VALU_DEP_1)
	v_or_b32_e32 v17, 0x70000000, v17
	v_mul_f32_e32 v17, 0x7800000, v17
	s_delay_alu instid0(VALU_DEP_1) | instskip(NEXT) | instid1(VALU_DEP_1)
	v_cndmask_b32_e32 v16, v17, v20, vcc_lo
	v_and_or_b32 v14, 0x80000000, v14, v16
.LBB14_287:                             ;   in Loop: Header=BB14_17 Depth=1
	s_or_b32 exec_lo, exec_lo, s17
	s_delay_alu instid0(SALU_CYCLE_1)
	s_or_b32 s17, s15, exec_lo
                                        ; implicit-def: $vgpr16_vgpr17
.LBB14_288:                             ;   in Loop: Header=BB14_17 Depth=1
	s_and_not1_saveexec_b32 s16, s16
	s_cbranch_execz .LBB14_298
; %bb.289:                              ;   in Loop: Header=BB14_17 Depth=1
	s_mov_b32 s18, s17
	s_mov_b32 s19, exec_lo
                                        ; implicit-def: $vgpr14
	v_cmpx_lt_i16_e32 14, v7
	s_xor_b32 s19, exec_lo, s19
	s_cbranch_execz .LBB14_293
; %bb.290:                              ;   in Loop: Header=BB14_17 Depth=1
	s_mov_b32 s18, s17
	s_mov_b32 s20, exec_lo
                                        ; implicit-def: $vgpr14
	v_cmpx_eq_u16_e32 15, v7
	s_cbranch_execz .LBB14_292
; %bb.291:                              ;   in Loop: Header=BB14_17 Depth=1
	flat_load_u16 v14, v[16:17]
	s_or_b32 s18, s17, exec_lo
	s_wait_loadcnt_dscnt 0x0
	v_lshlrev_b32_e32 v14, 16, v14
.LBB14_292:                             ;   in Loop: Header=BB14_17 Depth=1
	s_wait_xcnt 0x0
	s_or_b32 exec_lo, exec_lo, s20
	s_delay_alu instid0(SALU_CYCLE_1) | instskip(SKIP_1) | instid1(SALU_CYCLE_1)
	s_and_not1_b32 s20, s17, exec_lo
	s_and_b32 s18, s18, exec_lo
                                        ; implicit-def: $vgpr16_vgpr17
	s_or_b32 s18, s20, s18
.LBB14_293:                             ;   in Loop: Header=BB14_17 Depth=1
	s_and_not1_saveexec_b32 s19, s19
	s_cbranch_execz .LBB14_297
; %bb.294:                              ;   in Loop: Header=BB14_17 Depth=1
	s_mov_b32 s20, s18
	s_mov_b32 s21, exec_lo
                                        ; implicit-def: $vgpr14
	v_cmpx_eq_u16_e32 11, v7
	s_cbranch_execz .LBB14_296
; %bb.295:                              ;   in Loop: Header=BB14_17 Depth=1
	flat_load_u8 v14, v[16:17]
	s_or_b32 s20, s18, exec_lo
	s_wait_loadcnt_dscnt 0x0
	v_cmp_ne_u16_e32 vcc_lo, 0, v14
	v_cndmask_b32_e64 v14, 0, 1.0, vcc_lo
.LBB14_296:                             ;   in Loop: Header=BB14_17 Depth=1
	s_wait_xcnt 0x0
	s_or_b32 exec_lo, exec_lo, s21
	s_delay_alu instid0(SALU_CYCLE_1) | instskip(SKIP_1) | instid1(SALU_CYCLE_1)
	s_and_not1_b32 s18, s18, exec_lo
	s_and_b32 s20, s20, exec_lo
	s_or_b32 s18, s18, s20
.LBB14_297:                             ;   in Loop: Header=BB14_17 Depth=1
	s_or_b32 exec_lo, exec_lo, s19
	s_delay_alu instid0(SALU_CYCLE_1) | instskip(SKIP_1) | instid1(SALU_CYCLE_1)
	s_and_not1_b32 s17, s17, exec_lo
	s_and_b32 s18, s18, exec_lo
	s_or_b32 s17, s17, s18
.LBB14_298:                             ;   in Loop: Header=BB14_17 Depth=1
	s_or_b32 exec_lo, exec_lo, s16
	s_delay_alu instid0(SALU_CYCLE_1) | instskip(SKIP_1) | instid1(SALU_CYCLE_1)
	s_and_not1_b32 s15, s15, exec_lo
	s_and_b32 s16, s17, exec_lo
	s_or_b32 s15, s15, s16
.LBB14_299:                             ;   in Loop: Header=BB14_17 Depth=1
	s_or_b32 exec_lo, exec_lo, s12
	s_delay_alu instid0(SALU_CYCLE_1)
	s_and_b32 s16, s15, exec_lo
                                        ; implicit-def: $vgpr16_vgpr17
.LBB14_300:                             ;   in Loop: Header=BB14_17 Depth=1
	s_and_not1_saveexec_b32 s11, s11
	s_cbranch_execz .LBB14_342
; %bb.301:                              ;   in Loop: Header=BB14_17 Depth=1
	s_mov_b32 s12, exec_lo
                                        ; implicit-def: $vgpr14
	v_cmpx_lt_i16_e32 4, v7
	s_xor_b32 s12, exec_lo, s12
	s_cbranch_execz .LBB14_323
; %bb.302:                              ;   in Loop: Header=BB14_17 Depth=1
	s_mov_b32 s15, exec_lo
                                        ; implicit-def: $vgpr14
	v_cmpx_lt_i16_e32 7, v7
	s_xor_b32 s15, exec_lo, s15
	;; [unrolled: 6-line block ×4, first 2 shown]
	s_cbranch_execz .LBB14_306
; %bb.305:                              ;   in Loop: Header=BB14_17 Depth=1
	flat_load_b64 v[16:17], v[16:17]
	s_wait_loadcnt_dscnt 0x0
	v_cvt_f32_f64_e32 v14, v[16:17]
                                        ; implicit-def: $vgpr16_vgpr17
.LBB14_306:                             ;   in Loop: Header=BB14_17 Depth=1
	s_wait_xcnt 0x0
	s_and_not1_saveexec_b32 s18, s18
	s_cbranch_execz .LBB14_308
; %bb.307:                              ;   in Loop: Header=BB14_17 Depth=1
	flat_load_b32 v14, v[16:17]
.LBB14_308:                             ;   in Loop: Header=BB14_17 Depth=1
	s_wait_xcnt 0x0
	s_or_b32 exec_lo, exec_lo, s18
                                        ; implicit-def: $vgpr16_vgpr17
.LBB14_309:                             ;   in Loop: Header=BB14_17 Depth=1
	s_and_not1_saveexec_b32 s17, s17
	s_cbranch_execz .LBB14_311
; %bb.310:                              ;   in Loop: Header=BB14_17 Depth=1
	s_wait_loadcnt_dscnt 0x0
	flat_load_b32 v14, v[16:17]
	s_wait_loadcnt_dscnt 0x0
	v_cvt_f32_f16_e32 v14, v14
.LBB14_311:                             ;   in Loop: Header=BB14_17 Depth=1
	s_wait_xcnt 0x0
	s_or_b32 exec_lo, exec_lo, s17
                                        ; implicit-def: $vgpr16_vgpr17
.LBB14_312:                             ;   in Loop: Header=BB14_17 Depth=1
	s_and_not1_saveexec_b32 s15, s15
	s_cbranch_execz .LBB14_322
; %bb.313:                              ;   in Loop: Header=BB14_17 Depth=1
	s_mov_b32 s17, exec_lo
                                        ; implicit-def: $vgpr14
	v_cmpx_lt_i16_e32 5, v7
	s_xor_b32 s17, exec_lo, s17
	s_cbranch_execz .LBB14_319
; %bb.314:                              ;   in Loop: Header=BB14_17 Depth=1
	s_mov_b32 s18, exec_lo
                                        ; implicit-def: $vgpr14
	v_cmpx_lt_i16_e32 6, v7
	s_xor_b32 s18, exec_lo, s18
	s_cbranch_execz .LBB14_316
; %bb.315:                              ;   in Loop: Header=BB14_17 Depth=1
	flat_load_b64 v[16:17], v[16:17]
	s_wait_loadcnt_dscnt 0x0
	v_cvt_f32_f64_e32 v14, v[16:17]
                                        ; implicit-def: $vgpr16_vgpr17
.LBB14_316:                             ;   in Loop: Header=BB14_17 Depth=1
	s_wait_xcnt 0x0
	s_and_not1_saveexec_b32 s18, s18
	s_cbranch_execz .LBB14_318
; %bb.317:                              ;   in Loop: Header=BB14_17 Depth=1
	s_wait_loadcnt_dscnt 0x0
	flat_load_b32 v14, v[16:17]
.LBB14_318:                             ;   in Loop: Header=BB14_17 Depth=1
	s_wait_xcnt 0x0
	s_or_b32 exec_lo, exec_lo, s18
                                        ; implicit-def: $vgpr16_vgpr17
.LBB14_319:                             ;   in Loop: Header=BB14_17 Depth=1
	s_and_not1_saveexec_b32 s17, s17
	s_cbranch_execz .LBB14_321
; %bb.320:                              ;   in Loop: Header=BB14_17 Depth=1
	s_wait_loadcnt_dscnt 0x0
	flat_load_u16 v14, v[16:17]
	s_wait_loadcnt_dscnt 0x0
	v_cvt_f32_f16_e32 v14, v14
.LBB14_321:                             ;   in Loop: Header=BB14_17 Depth=1
	s_wait_xcnt 0x0
	s_or_b32 exec_lo, exec_lo, s17
.LBB14_322:                             ;   in Loop: Header=BB14_17 Depth=1
	s_delay_alu instid0(SALU_CYCLE_1)
	s_or_b32 exec_lo, exec_lo, s15
                                        ; implicit-def: $vgpr16_vgpr17
.LBB14_323:                             ;   in Loop: Header=BB14_17 Depth=1
	s_and_not1_saveexec_b32 s12, s12
	s_cbranch_execz .LBB14_341
; %bb.324:                              ;   in Loop: Header=BB14_17 Depth=1
	s_mov_b32 s15, exec_lo
                                        ; implicit-def: $vgpr14
	v_cmpx_lt_i16_e32 1, v7
	s_xor_b32 s15, exec_lo, s15
	s_cbranch_execz .LBB14_334
; %bb.325:                              ;   in Loop: Header=BB14_17 Depth=1
	s_mov_b32 s17, exec_lo
                                        ; implicit-def: $vgpr14
	v_cmpx_lt_i16_e32 2, v7
	s_xor_b32 s17, exec_lo, s17
	s_cbranch_execz .LBB14_331
; %bb.326:                              ;   in Loop: Header=BB14_17 Depth=1
	s_mov_b32 s18, exec_lo
                                        ; implicit-def: $vgpr14
	v_cmpx_lt_i16_e32 3, v7
	s_xor_b32 s18, exec_lo, s18
	s_cbranch_execz .LBB14_328
; %bb.327:                              ;   in Loop: Header=BB14_17 Depth=1
	flat_load_b64 v[16:17], v[16:17]
	s_wait_loadcnt_dscnt 0x0
	v_xor_b32_e32 v14, v16, v17
	v_cls_i32_e32 v20, v17
	s_delay_alu instid0(VALU_DEP_2) | instskip(NEXT) | instid1(VALU_DEP_1)
	v_ashrrev_i32_e32 v14, 31, v14
	v_add_nc_u32_e32 v14, 32, v14
	s_delay_alu instid0(VALU_DEP_1) | instskip(SKIP_1) | instid1(VALU_DEP_1)
	v_add_min_u32_e64 v14, v20, -1, v14
	s_wait_xcnt 0x0
	v_lshlrev_b64_e32 v[16:17], v14, v[16:17]
	v_sub_nc_u32_e32 v14, 32, v14
	s_delay_alu instid0(VALU_DEP_2) | instskip(NEXT) | instid1(VALU_DEP_1)
	v_min_u32_e32 v16, 1, v16
	v_or_b32_e32 v16, v17, v16
	s_delay_alu instid0(VALU_DEP_1) | instskip(NEXT) | instid1(VALU_DEP_1)
	v_cvt_f32_i32_e32 v16, v16
	v_ldexp_f32 v14, v16, v14
                                        ; implicit-def: $vgpr16_vgpr17
.LBB14_328:                             ;   in Loop: Header=BB14_17 Depth=1
	s_and_not1_saveexec_b32 s18, s18
	s_cbranch_execz .LBB14_330
; %bb.329:                              ;   in Loop: Header=BB14_17 Depth=1
	s_wait_loadcnt_dscnt 0x0
	flat_load_b32 v14, v[16:17]
	s_wait_loadcnt_dscnt 0x0
	v_cvt_f32_i32_e32 v14, v14
.LBB14_330:                             ;   in Loop: Header=BB14_17 Depth=1
	s_wait_xcnt 0x0
	s_or_b32 exec_lo, exec_lo, s18
                                        ; implicit-def: $vgpr16_vgpr17
.LBB14_331:                             ;   in Loop: Header=BB14_17 Depth=1
	s_and_not1_saveexec_b32 s17, s17
	s_cbranch_execz .LBB14_333
; %bb.332:                              ;   in Loop: Header=BB14_17 Depth=1
	s_wait_loadcnt_dscnt 0x0
	flat_load_i16 v14, v[16:17]
	s_wait_loadcnt_dscnt 0x0
	v_cvt_f32_i32_e32 v14, v14
.LBB14_333:                             ;   in Loop: Header=BB14_17 Depth=1
	s_wait_xcnt 0x0
	s_or_b32 exec_lo, exec_lo, s17
                                        ; implicit-def: $vgpr16_vgpr17
.LBB14_334:                             ;   in Loop: Header=BB14_17 Depth=1
	s_and_not1_saveexec_b32 s15, s15
	s_cbranch_execz .LBB14_340
; %bb.335:                              ;   in Loop: Header=BB14_17 Depth=1
	s_mov_b32 s17, exec_lo
                                        ; implicit-def: $vgpr14
	v_cmpx_lt_i16_e32 0, v7
	s_xor_b32 s17, exec_lo, s17
	s_cbranch_execz .LBB14_337
; %bb.336:                              ;   in Loop: Header=BB14_17 Depth=1
	s_wait_loadcnt_dscnt 0x0
	flat_load_i8 v14, v[16:17]
                                        ; implicit-def: $vgpr16_vgpr17
	s_wait_loadcnt_dscnt 0x0
	v_cvt_f32_i32_e32 v14, v14
.LBB14_337:                             ;   in Loop: Header=BB14_17 Depth=1
	s_wait_xcnt 0x0
	s_and_not1_saveexec_b32 s17, s17
	s_cbranch_execz .LBB14_339
; %bb.338:                              ;   in Loop: Header=BB14_17 Depth=1
	s_wait_loadcnt_dscnt 0x0
	flat_load_u8 v14, v[16:17]
	s_wait_loadcnt_dscnt 0x0
	v_cvt_f32_ubyte0_e32 v14, v14
.LBB14_339:                             ;   in Loop: Header=BB14_17 Depth=1
	s_wait_xcnt 0x0
	s_or_b32 exec_lo, exec_lo, s17
.LBB14_340:                             ;   in Loop: Header=BB14_17 Depth=1
	s_delay_alu instid0(SALU_CYCLE_1)
	s_or_b32 exec_lo, exec_lo, s15
.LBB14_341:                             ;   in Loop: Header=BB14_17 Depth=1
	s_delay_alu instid0(SALU_CYCLE_1) | instskip(NEXT) | instid1(SALU_CYCLE_1)
	s_or_b32 exec_lo, exec_lo, s12
	s_or_b32 s16, s16, exec_lo
.LBB14_342:                             ;   in Loop: Header=BB14_17 Depth=1
	s_or_b32 exec_lo, exec_lo, s11
	s_mov_b32 s11, -1
	s_mov_b32 s17, 0
	s_mov_b32 s12, 0
	s_and_saveexec_b32 s15, s16
	s_cbranch_execz .LBB14_348
; %bb.343:                              ;   in Loop: Header=BB14_17 Depth=1
	s_add_co_i32 s11, s32, s1
	s_mov_b32 s16, 0
	s_wait_loadcnt_dscnt 0x0
	scratch_store_b32 off, v14, s11 offset:20
	s_wait_xcnt 0x0
	v_mul_lo_u32 v14, v19, v10
	v_and_b32_e32 v19, 0xff, v8
	s_mov_b32 s12, exec_lo
	s_delay_alu instid0(VALU_DEP_2) | instskip(NEXT) | instid1(VALU_DEP_2)
	v_add_nc_u64_e32 v[16:17], v[4:5], v[14:15]
                                        ; implicit-def: $vgpr14
	v_cmpx_lt_i16_e32 10, v19
	s_xor_b32 s12, exec_lo, s12
	s_cbranch_execnz .LBB14_1994
; %bb.344:                              ;   in Loop: Header=BB14_17 Depth=1
	s_and_not1_saveexec_b32 s12, s12
	s_cbranch_execnz .LBB14_2053
.LBB14_345:                             ;   in Loop: Header=BB14_17 Depth=1
	s_or_b32 exec_lo, exec_lo, s12
	s_mov_b32 s17, 0
	s_and_saveexec_b32 s12, s16
	s_cbranch_execz .LBB14_347
.LBB14_346:                             ;   in Loop: Header=BB14_17 Depth=1
	v_add_nc_u32_e32 v18, 0x200, v18
	s_mov_b32 s17, exec_lo
	s_wait_loadcnt_dscnt 0x0
	scratch_store_b32 off, v14, s11 offset:16
.LBB14_347:                             ;   in Loop: Header=BB14_17 Depth=1
	s_wait_xcnt 0x0
	s_or_b32 exec_lo, exec_lo, s12
	s_delay_alu instid0(SALU_CYCLE_1)
	s_mov_b32 s12, exec_lo
	s_xor_b32 s11, exec_lo, -1
	s_and_b32 s17, s17, exec_lo
.LBB14_348:                             ;   in Loop: Header=BB14_17 Depth=1
	s_or_b32 exec_lo, exec_lo, s15
	s_delay_alu instid0(SALU_CYCLE_1)
	s_or_not1_b32 s15, s17, exec_lo
.LBB14_349:                             ;   in Loop: Header=BB14_17 Depth=1
	s_or_b32 exec_lo, exec_lo, s13
	s_and_saveexec_b32 s13, s15
	s_cbranch_execz .LBB14_14
; %bb.350:                              ;   in Loop: Header=BB14_17 Depth=1
	s_mov_b32 s17, -1
	s_mov_b32 s18, -1
	s_mov_b32 s16, exec_lo
                                        ; implicit-def: $sgpr14
                                        ; implicit-def: $sgpr15
	v_cmpx_lt_i32_e64 v18, v6
	s_cbranch_execz .LBB14_460
; %bb.351:                              ;   in Loop: Header=BB14_17 Depth=1
	v_add_nc_u32_e32 v19, s2, v18
	s_mov_b32 s19, 0
	s_mov_b32 s14, exec_lo
	s_wait_loadcnt_dscnt 0x0
	s_delay_alu instid0(VALU_DEP_1) | instskip(NEXT) | instid1(VALU_DEP_1)
	v_mul_lo_u32 v14, v19, v9
	v_add_nc_u64_e32 v[16:17], v[2:3], v[14:15]
                                        ; implicit-def: $vgpr14
	v_cmpx_lt_i16_e32 10, v7
	s_xor_b32 s14, exec_lo, s14
	s_cbranch_execz .LBB14_411
; %bb.352:                              ;   in Loop: Header=BB14_17 Depth=1
	s_mov_b32 s18, 0
	s_mov_b32 s15, exec_lo
                                        ; implicit-def: $vgpr14
	v_cmpx_lt_i16_e32 25, v7
	s_xor_b32 s15, exec_lo, s15
	s_cbranch_execz .LBB14_384
; %bb.353:                              ;   in Loop: Header=BB14_17 Depth=1
	s_mov_b32 s19, exec_lo
                                        ; implicit-def: $vgpr14
	v_cmpx_lt_i16_e32 28, v7
	s_xor_b32 s19, exec_lo, s19
	s_cbranch_execz .LBB14_369
; %bb.354:                              ;   in Loop: Header=BB14_17 Depth=1
	s_mov_b32 s20, 0
	s_mov_b32 s18, exec_lo
                                        ; implicit-def: $vgpr14
	v_cmpx_lt_i16_e32 43, v7
	s_xor_b32 s18, exec_lo, s18
	s_cbranch_execz .LBB14_364
; %bb.355:                              ;   in Loop: Header=BB14_17 Depth=1
	s_mov_b32 s21, exec_lo
                                        ; implicit-def: $vgpr14
	v_cmpx_lt_i16_e32 45, v7
	s_xor_b32 s21, exec_lo, s21
	s_cbranch_execz .LBB14_359
; %bb.356:                              ;   in Loop: Header=BB14_17 Depth=1
	s_mov_b32 s22, exec_lo
                                        ; implicit-def: $vgpr14
	v_cmpx_eq_u16_e32 46, v7
	s_cbranch_execz .LBB14_358
; %bb.357:                              ;   in Loop: Header=BB14_17 Depth=1
	flat_load_b32 v14, v[16:17]
	s_mov_b32 s20, exec_lo
	s_wait_loadcnt_dscnt 0x0
	v_lshlrev_b32_e32 v14, 16, v14
.LBB14_358:                             ;   in Loop: Header=BB14_17 Depth=1
	s_wait_xcnt 0x0
	s_or_b32 exec_lo, exec_lo, s22
	s_delay_alu instid0(SALU_CYCLE_1)
	s_and_b32 s20, s20, exec_lo
                                        ; implicit-def: $vgpr16_vgpr17
.LBB14_359:                             ;   in Loop: Header=BB14_17 Depth=1
	s_and_not1_saveexec_b32 s21, s21
	s_cbranch_execz .LBB14_363
; %bb.360:                              ;   in Loop: Header=BB14_17 Depth=1
	s_mov_b32 s23, s20
	s_mov_b32 s22, exec_lo
                                        ; implicit-def: $vgpr14
	v_cmpx_eq_u16_e32 44, v7
	s_cbranch_execz .LBB14_362
; %bb.361:                              ;   in Loop: Header=BB14_17 Depth=1
	flat_load_u8 v14, v[16:17]
	s_or_b32 s23, s20, exec_lo
	s_wait_loadcnt_dscnt 0x0
	v_lshlrev_b32_e32 v16, 23, v14
	v_cmp_ne_u32_e32 vcc_lo, 0xff, v14
	s_delay_alu instid0(VALU_DEP_2) | instskip(SKIP_1) | instid1(VALU_DEP_2)
	v_cndmask_b32_e32 v16, 0x7f800001, v16, vcc_lo
	v_cmp_ne_u32_e32 vcc_lo, 0, v14
	v_cndmask_b32_e32 v14, 0x400000, v16, vcc_lo
.LBB14_362:                             ;   in Loop: Header=BB14_17 Depth=1
	s_or_b32 exec_lo, exec_lo, s22
	s_delay_alu instid0(SALU_CYCLE_1) | instskip(SKIP_1) | instid1(SALU_CYCLE_1)
	s_and_not1_b32 s20, s20, exec_lo
	s_and_b32 s22, s23, exec_lo
	s_or_b32 s20, s20, s22
.LBB14_363:                             ;   in Loop: Header=BB14_17 Depth=1
	s_or_b32 exec_lo, exec_lo, s21
	s_delay_alu instid0(SALU_CYCLE_1)
	s_and_b32 s20, s20, exec_lo
                                        ; implicit-def: $vgpr16_vgpr17
.LBB14_364:                             ;   in Loop: Header=BB14_17 Depth=1
	s_and_not1_saveexec_b32 s18, s18
	s_cbranch_execz .LBB14_368
; %bb.365:                              ;   in Loop: Header=BB14_17 Depth=1
	s_mov_b32 s22, s20
	s_mov_b32 s21, exec_lo
                                        ; implicit-def: $vgpr14
	v_cmpx_eq_u16_e32 29, v7
	s_cbranch_execz .LBB14_367
; %bb.366:                              ;   in Loop: Header=BB14_17 Depth=1
	flat_load_b64 v[16:17], v[16:17]
	s_or_b32 s22, s20, exec_lo
	s_wait_loadcnt_dscnt 0x0
	v_clz_i32_u32_e32 v14, v17
	s_delay_alu instid0(VALU_DEP_1) | instskip(SKIP_1) | instid1(VALU_DEP_1)
	v_min_u32_e32 v14, 32, v14
	s_wait_xcnt 0x0
	v_lshlrev_b64_e32 v[16:17], v14, v[16:17]
	v_sub_nc_u32_e32 v14, 32, v14
	s_delay_alu instid0(VALU_DEP_2) | instskip(NEXT) | instid1(VALU_DEP_1)
	v_min_u32_e32 v16, 1, v16
	v_or_b32_e32 v16, v17, v16
	s_delay_alu instid0(VALU_DEP_1) | instskip(NEXT) | instid1(VALU_DEP_1)
	v_cvt_f32_u32_e32 v16, v16
	v_ldexp_f32 v14, v16, v14
.LBB14_367:                             ;   in Loop: Header=BB14_17 Depth=1
	s_or_b32 exec_lo, exec_lo, s21
	s_delay_alu instid0(SALU_CYCLE_1) | instskip(SKIP_1) | instid1(SALU_CYCLE_1)
	s_and_not1_b32 s20, s20, exec_lo
	s_and_b32 s21, s22, exec_lo
	s_or_b32 s20, s20, s21
.LBB14_368:                             ;   in Loop: Header=BB14_17 Depth=1
	s_or_b32 exec_lo, exec_lo, s18
	s_delay_alu instid0(SALU_CYCLE_1)
	s_and_b32 s18, s20, exec_lo
                                        ; implicit-def: $vgpr16_vgpr17
.LBB14_369:                             ;   in Loop: Header=BB14_17 Depth=1
	s_and_not1_saveexec_b32 s19, s19
	s_cbranch_execz .LBB14_383
; %bb.370:                              ;   in Loop: Header=BB14_17 Depth=1
	s_mov_b32 s20, exec_lo
                                        ; implicit-def: $vgpr14
	v_cmpx_lt_i16_e32 26, v7
	s_xor_b32 s20, exec_lo, s20
	s_cbranch_execz .LBB14_376
; %bb.371:                              ;   in Loop: Header=BB14_17 Depth=1
	s_mov_b32 s21, exec_lo
                                        ; implicit-def: $vgpr14
	v_cmpx_lt_i16_e32 27, v7
	s_xor_b32 s21, exec_lo, s21
	s_cbranch_execz .LBB14_373
; %bb.372:                              ;   in Loop: Header=BB14_17 Depth=1
	flat_load_b32 v14, v[16:17]
                                        ; implicit-def: $vgpr16_vgpr17
	s_wait_loadcnt_dscnt 0x0
	v_cvt_f32_u32_e32 v14, v14
.LBB14_373:                             ;   in Loop: Header=BB14_17 Depth=1
	s_wait_xcnt 0x0
	s_and_not1_saveexec_b32 s21, s21
	s_cbranch_execz .LBB14_375
; %bb.374:                              ;   in Loop: Header=BB14_17 Depth=1
	flat_load_u16 v14, v[16:17]
	s_wait_loadcnt_dscnt 0x0
	v_cvt_f32_u32_e32 v14, v14
.LBB14_375:                             ;   in Loop: Header=BB14_17 Depth=1
	s_wait_xcnt 0x0
	s_or_b32 exec_lo, exec_lo, s21
                                        ; implicit-def: $vgpr16_vgpr17
.LBB14_376:                             ;   in Loop: Header=BB14_17 Depth=1
	s_and_not1_saveexec_b32 s20, s20
	s_cbranch_execz .LBB14_382
; %bb.377:                              ;   in Loop: Header=BB14_17 Depth=1
	flat_load_u8 v16, v[16:17]
	s_mov_b32 s21, 0
	s_mov_b32 s22, exec_lo
	s_wait_loadcnt_dscnt 0x0
	v_cmpx_lt_i16_e32 0x7f, v16
	s_xor_b32 s22, exec_lo, s22
	s_cbranch_execnz .LBB14_2430
; %bb.378:                              ;   in Loop: Header=BB14_17 Depth=1
	s_or_saveexec_b32 s22, s22
	v_mov_b32_e32 v14, 0x7f800001
	s_xor_b32 exec_lo, exec_lo, s22
	s_cbranch_execnz .LBB14_2433
.LBB14_379:                             ;   in Loop: Header=BB14_17 Depth=1
	s_or_b32 exec_lo, exec_lo, s22
	s_and_saveexec_b32 s22, s21
	s_cbranch_execz .LBB14_381
.LBB14_380:                             ;   in Loop: Header=BB14_17 Depth=1
	v_and_b32_e32 v14, 0xffff, v16
	s_delay_alu instid0(VALU_DEP_1) | instskip(SKIP_1) | instid1(VALU_DEP_2)
	v_and_b32_e32 v17, 7, v14
	v_bfe_u32 v22, v14, 3, 4
	v_clz_i32_u32_e32 v20, v17
	s_delay_alu instid0(VALU_DEP_2) | instskip(NEXT) | instid1(VALU_DEP_2)
	v_cmp_eq_u32_e32 vcc_lo, 0, v22
	v_min_u32_e32 v20, 32, v20
	s_delay_alu instid0(VALU_DEP_1) | instskip(NEXT) | instid1(VALU_DEP_1)
	v_subrev_nc_u32_e32 v21, 28, v20
	v_dual_lshlrev_b32 v14, v21, v14 :: v_dual_sub_nc_u32 v20, 29, v20
	s_delay_alu instid0(VALU_DEP_1) | instskip(NEXT) | instid1(VALU_DEP_1)
	v_dual_lshlrev_b32 v16, 24, v16 :: v_dual_bitop2_b32 v14, 7, v14 bitop3:0x40
	v_dual_cndmask_b32 v14, v17, v14, vcc_lo :: v_dual_cndmask_b32 v20, v22, v20, vcc_lo
	s_delay_alu instid0(VALU_DEP_2) | instskip(NEXT) | instid1(VALU_DEP_2)
	v_and_b32_e32 v16, 0x80000000, v16
	v_lshlrev_b32_e32 v14, 20, v14
	s_delay_alu instid0(VALU_DEP_3) | instskip(NEXT) | instid1(VALU_DEP_1)
	v_lshl_add_u32 v17, v20, 23, 0x3b800000
	v_or3_b32 v14, v16, v17, v14
.LBB14_381:                             ;   in Loop: Header=BB14_17 Depth=1
	s_or_b32 exec_lo, exec_lo, s22
.LBB14_382:                             ;   in Loop: Header=BB14_17 Depth=1
	s_delay_alu instid0(SALU_CYCLE_1) | instskip(NEXT) | instid1(SALU_CYCLE_1)
	s_or_b32 exec_lo, exec_lo, s20
	s_or_b32 s18, s18, exec_lo
.LBB14_383:                             ;   in Loop: Header=BB14_17 Depth=1
	s_or_b32 exec_lo, exec_lo, s19
	s_delay_alu instid0(SALU_CYCLE_1)
	s_and_b32 s18, s18, exec_lo
                                        ; implicit-def: $vgpr16_vgpr17
.LBB14_384:                             ;   in Loop: Header=BB14_17 Depth=1
	s_and_not1_saveexec_b32 s15, s15
	s_cbranch_execz .LBB14_410
; %bb.385:                              ;   in Loop: Header=BB14_17 Depth=1
	s_mov_b32 s20, s18
	s_mov_b32 s19, exec_lo
                                        ; implicit-def: $vgpr14
	v_cmpx_lt_i16_e32 22, v7
	s_xor_b32 s19, exec_lo, s19
	s_cbranch_execz .LBB14_399
; %bb.386:                              ;   in Loop: Header=BB14_17 Depth=1
	s_mov_b32 s20, exec_lo
                                        ; implicit-def: $vgpr14
	v_cmpx_lt_i16_e32 23, v7
	s_xor_b32 s20, exec_lo, s20
	s_cbranch_execz .LBB14_396
; %bb.387:                              ;   in Loop: Header=BB14_17 Depth=1
	s_mov_b32 s21, exec_lo
                                        ; implicit-def: $vgpr14
	v_cmpx_lt_i16_e32 24, v7
	s_xor_b32 s21, exec_lo, s21
	s_cbranch_execz .LBB14_393
; %bb.388:                              ;   in Loop: Header=BB14_17 Depth=1
	flat_load_u8 v16, v[16:17]
	s_mov_b32 s22, 0
	s_mov_b32 s23, exec_lo
	s_wait_loadcnt_dscnt 0x0
	v_cmpx_lt_i16_e32 0x7f, v16
	s_xor_b32 s23, exec_lo, s23
	s_cbranch_execnz .LBB14_2542
; %bb.389:                              ;   in Loop: Header=BB14_17 Depth=1
	s_or_saveexec_b32 s23, s23
	v_mov_b32_e32 v14, 0x7f800001
	s_xor_b32 exec_lo, exec_lo, s23
	s_cbranch_execnz .LBB14_2545
.LBB14_390:                             ;   in Loop: Header=BB14_17 Depth=1
	s_or_b32 exec_lo, exec_lo, s23
	s_and_saveexec_b32 s23, s22
	s_cbranch_execz .LBB14_392
.LBB14_391:                             ;   in Loop: Header=BB14_17 Depth=1
	v_and_b32_e32 v14, 0xffff, v16
	s_delay_alu instid0(VALU_DEP_1) | instskip(SKIP_1) | instid1(VALU_DEP_2)
	v_and_b32_e32 v17, 3, v14
	v_bfe_u32 v22, v14, 2, 5
	v_clz_i32_u32_e32 v20, v17
	s_delay_alu instid0(VALU_DEP_2) | instskip(NEXT) | instid1(VALU_DEP_2)
	v_cmp_eq_u32_e32 vcc_lo, 0, v22
	v_min_u32_e32 v20, 32, v20
	s_delay_alu instid0(VALU_DEP_1) | instskip(NEXT) | instid1(VALU_DEP_1)
	v_subrev_nc_u32_e32 v21, 29, v20
	v_dual_lshlrev_b32 v14, v21, v14 :: v_dual_sub_nc_u32 v20, 30, v20
	s_delay_alu instid0(VALU_DEP_1) | instskip(NEXT) | instid1(VALU_DEP_1)
	v_dual_lshlrev_b32 v16, 24, v16 :: v_dual_bitop2_b32 v14, 3, v14 bitop3:0x40
	v_dual_cndmask_b32 v14, v17, v14, vcc_lo :: v_dual_cndmask_b32 v20, v22, v20, vcc_lo
	s_delay_alu instid0(VALU_DEP_2) | instskip(NEXT) | instid1(VALU_DEP_2)
	v_and_b32_e32 v16, 0x80000000, v16
	v_lshlrev_b32_e32 v14, 21, v14
	s_delay_alu instid0(VALU_DEP_3) | instskip(NEXT) | instid1(VALU_DEP_1)
	v_lshl_add_u32 v17, v20, 23, 0x37800000
	v_or3_b32 v14, v16, v17, v14
.LBB14_392:                             ;   in Loop: Header=BB14_17 Depth=1
	s_or_b32 exec_lo, exec_lo, s23
                                        ; implicit-def: $vgpr16_vgpr17
.LBB14_393:                             ;   in Loop: Header=BB14_17 Depth=1
	s_and_not1_saveexec_b32 s21, s21
	s_cbranch_execz .LBB14_395
; %bb.394:                              ;   in Loop: Header=BB14_17 Depth=1
	flat_load_u8 v14, v[16:17]
	s_wait_loadcnt_dscnt 0x0
	v_lshlrev_b32_e32 v14, 24, v14
	s_wait_xcnt 0x0
	s_delay_alu instid0(VALU_DEP_1) | instskip(NEXT) | instid1(VALU_DEP_1)
	v_and_b32_e32 v16, 0x7f000000, v14
	v_clz_i32_u32_e32 v17, v16
	v_cmp_ne_u32_e32 vcc_lo, 0, v16
	v_add_nc_u32_e32 v21, 0x1000000, v16
	s_delay_alu instid0(VALU_DEP_3) | instskip(NEXT) | instid1(VALU_DEP_1)
	v_min_u32_e32 v17, 32, v17
	v_sub_nc_u32_e64 v17, v17, 4 clamp
	s_delay_alu instid0(VALU_DEP_1) | instskip(NEXT) | instid1(VALU_DEP_1)
	v_dual_lshlrev_b32 v20, v17, v16 :: v_dual_lshlrev_b32 v17, 23, v17
	v_lshrrev_b32_e32 v20, 4, v20
	s_delay_alu instid0(VALU_DEP_1) | instskip(SKIP_1) | instid1(VALU_DEP_2)
	v_sub_nc_u32_e32 v17, v20, v17
	v_ashrrev_i32_e32 v20, 8, v21
	v_add_nc_u32_e32 v17, 0x3c000000, v17
	s_delay_alu instid0(VALU_DEP_1) | instskip(NEXT) | instid1(VALU_DEP_1)
	v_and_or_b32 v17, 0x7f800000, v20, v17
	v_cndmask_b32_e32 v16, 0, v17, vcc_lo
	s_delay_alu instid0(VALU_DEP_1)
	v_and_or_b32 v14, 0x80000000, v14, v16
.LBB14_395:                             ;   in Loop: Header=BB14_17 Depth=1
	s_or_b32 exec_lo, exec_lo, s21
                                        ; implicit-def: $vgpr16_vgpr17
.LBB14_396:                             ;   in Loop: Header=BB14_17 Depth=1
	s_and_not1_saveexec_b32 s20, s20
	s_cbranch_execz .LBB14_398
; %bb.397:                              ;   in Loop: Header=BB14_17 Depth=1
	flat_load_u8 v14, v[16:17]
	s_wait_loadcnt_dscnt 0x0
	v_lshlrev_b32_e32 v16, 25, v14
	v_lshlrev_b16 v14, 8, v14
	s_delay_alu instid0(VALU_DEP_1) | instskip(SKIP_1) | instid1(VALU_DEP_2)
	v_and_or_b32 v20, 0x7f00, v14, 0.5
	v_bfe_i32 v14, v14, 0, 16
	v_add_f32_e32 v20, -0.5, v20
	v_lshrrev_b32_e32 v17, 4, v16
	v_cmp_gt_u32_e32 vcc_lo, 0x8000000, v16
	s_delay_alu instid0(VALU_DEP_2) | instskip(NEXT) | instid1(VALU_DEP_1)
	v_or_b32_e32 v17, 0x70000000, v17
	v_mul_f32_e32 v17, 0x7800000, v17
	s_delay_alu instid0(VALU_DEP_1) | instskip(NEXT) | instid1(VALU_DEP_1)
	v_cndmask_b32_e32 v16, v17, v20, vcc_lo
	v_and_or_b32 v14, 0x80000000, v14, v16
.LBB14_398:                             ;   in Loop: Header=BB14_17 Depth=1
	s_or_b32 exec_lo, exec_lo, s20
	s_delay_alu instid0(SALU_CYCLE_1)
	s_or_b32 s20, s18, exec_lo
                                        ; implicit-def: $vgpr16_vgpr17
.LBB14_399:                             ;   in Loop: Header=BB14_17 Depth=1
	s_and_not1_saveexec_b32 s19, s19
	s_cbranch_execz .LBB14_409
; %bb.400:                              ;   in Loop: Header=BB14_17 Depth=1
	s_mov_b32 s21, s20
	s_mov_b32 s22, exec_lo
                                        ; implicit-def: $vgpr14
	v_cmpx_lt_i16_e32 14, v7
	s_xor_b32 s22, exec_lo, s22
	s_cbranch_execz .LBB14_404
; %bb.401:                              ;   in Loop: Header=BB14_17 Depth=1
	s_mov_b32 s21, s20
	s_mov_b32 s23, exec_lo
                                        ; implicit-def: $vgpr14
	v_cmpx_eq_u16_e32 15, v7
	s_cbranch_execz .LBB14_403
; %bb.402:                              ;   in Loop: Header=BB14_17 Depth=1
	flat_load_u16 v14, v[16:17]
	s_or_b32 s21, s20, exec_lo
	s_wait_loadcnt_dscnt 0x0
	v_lshlrev_b32_e32 v14, 16, v14
.LBB14_403:                             ;   in Loop: Header=BB14_17 Depth=1
	s_wait_xcnt 0x0
	s_or_b32 exec_lo, exec_lo, s23
	s_delay_alu instid0(SALU_CYCLE_1) | instskip(SKIP_1) | instid1(SALU_CYCLE_1)
	s_and_not1_b32 s23, s20, exec_lo
	s_and_b32 s21, s21, exec_lo
                                        ; implicit-def: $vgpr16_vgpr17
	s_or_b32 s21, s23, s21
.LBB14_404:                             ;   in Loop: Header=BB14_17 Depth=1
	s_and_not1_saveexec_b32 s22, s22
	s_cbranch_execz .LBB14_408
; %bb.405:                              ;   in Loop: Header=BB14_17 Depth=1
	s_mov_b32 s23, s21
	s_mov_b32 s24, exec_lo
                                        ; implicit-def: $vgpr14
	v_cmpx_eq_u16_e32 11, v7
	s_cbranch_execz .LBB14_407
; %bb.406:                              ;   in Loop: Header=BB14_17 Depth=1
	flat_load_u8 v14, v[16:17]
	s_or_b32 s23, s21, exec_lo
	s_wait_loadcnt_dscnt 0x0
	v_cmp_ne_u16_e32 vcc_lo, 0, v14
	v_cndmask_b32_e64 v14, 0, 1.0, vcc_lo
.LBB14_407:                             ;   in Loop: Header=BB14_17 Depth=1
	s_wait_xcnt 0x0
	s_or_b32 exec_lo, exec_lo, s24
	s_delay_alu instid0(SALU_CYCLE_1) | instskip(SKIP_1) | instid1(SALU_CYCLE_1)
	s_and_not1_b32 s21, s21, exec_lo
	s_and_b32 s23, s23, exec_lo
	s_or_b32 s21, s21, s23
.LBB14_408:                             ;   in Loop: Header=BB14_17 Depth=1
	s_or_b32 exec_lo, exec_lo, s22
	s_delay_alu instid0(SALU_CYCLE_1) | instskip(SKIP_1) | instid1(SALU_CYCLE_1)
	s_and_not1_b32 s20, s20, exec_lo
	s_and_b32 s21, s21, exec_lo
	s_or_b32 s20, s20, s21
.LBB14_409:                             ;   in Loop: Header=BB14_17 Depth=1
	s_or_b32 exec_lo, exec_lo, s19
	s_delay_alu instid0(SALU_CYCLE_1) | instskip(SKIP_1) | instid1(SALU_CYCLE_1)
	s_and_not1_b32 s18, s18, exec_lo
	s_and_b32 s19, s20, exec_lo
	s_or_b32 s18, s18, s19
.LBB14_410:                             ;   in Loop: Header=BB14_17 Depth=1
	s_or_b32 exec_lo, exec_lo, s15
	s_delay_alu instid0(SALU_CYCLE_1)
	s_and_b32 s19, s18, exec_lo
                                        ; implicit-def: $vgpr16_vgpr17
.LBB14_411:                             ;   in Loop: Header=BB14_17 Depth=1
	s_and_not1_saveexec_b32 s14, s14
	s_cbranch_execz .LBB14_453
; %bb.412:                              ;   in Loop: Header=BB14_17 Depth=1
	s_mov_b32 s15, exec_lo
                                        ; implicit-def: $vgpr14
	v_cmpx_lt_i16_e32 4, v7
	s_xor_b32 s15, exec_lo, s15
	s_cbranch_execz .LBB14_434
; %bb.413:                              ;   in Loop: Header=BB14_17 Depth=1
	s_mov_b32 s18, exec_lo
                                        ; implicit-def: $vgpr14
	v_cmpx_lt_i16_e32 7, v7
	s_xor_b32 s18, exec_lo, s18
	s_cbranch_execz .LBB14_423
; %bb.414:                              ;   in Loop: Header=BB14_17 Depth=1
	s_mov_b32 s20, exec_lo
                                        ; implicit-def: $vgpr14
	v_cmpx_lt_i16_e32 8, v7
	s_xor_b32 s20, exec_lo, s20
	s_cbranch_execz .LBB14_420
; %bb.415:                              ;   in Loop: Header=BB14_17 Depth=1
	s_mov_b32 s21, exec_lo
                                        ; implicit-def: $vgpr14
	v_cmpx_lt_i16_e32 9, v7
	s_xor_b32 s21, exec_lo, s21
	s_cbranch_execz .LBB14_417
; %bb.416:                              ;   in Loop: Header=BB14_17 Depth=1
	flat_load_b64 v[16:17], v[16:17]
	s_wait_loadcnt_dscnt 0x0
	v_cvt_f32_f64_e32 v14, v[16:17]
                                        ; implicit-def: $vgpr16_vgpr17
.LBB14_417:                             ;   in Loop: Header=BB14_17 Depth=1
	s_wait_xcnt 0x0
	s_and_not1_saveexec_b32 s21, s21
	s_cbranch_execz .LBB14_419
; %bb.418:                              ;   in Loop: Header=BB14_17 Depth=1
	flat_load_b32 v14, v[16:17]
.LBB14_419:                             ;   in Loop: Header=BB14_17 Depth=1
	s_wait_xcnt 0x0
	s_or_b32 exec_lo, exec_lo, s21
                                        ; implicit-def: $vgpr16_vgpr17
.LBB14_420:                             ;   in Loop: Header=BB14_17 Depth=1
	s_and_not1_saveexec_b32 s20, s20
	s_cbranch_execz .LBB14_422
; %bb.421:                              ;   in Loop: Header=BB14_17 Depth=1
	s_wait_loadcnt_dscnt 0x0
	flat_load_b32 v14, v[16:17]
	s_wait_loadcnt_dscnt 0x0
	v_cvt_f32_f16_e32 v14, v14
.LBB14_422:                             ;   in Loop: Header=BB14_17 Depth=1
	s_wait_xcnt 0x0
	s_or_b32 exec_lo, exec_lo, s20
                                        ; implicit-def: $vgpr16_vgpr17
.LBB14_423:                             ;   in Loop: Header=BB14_17 Depth=1
	s_and_not1_saveexec_b32 s18, s18
	s_cbranch_execz .LBB14_433
; %bb.424:                              ;   in Loop: Header=BB14_17 Depth=1
	s_mov_b32 s20, exec_lo
                                        ; implicit-def: $vgpr14
	v_cmpx_lt_i16_e32 5, v7
	s_xor_b32 s20, exec_lo, s20
	s_cbranch_execz .LBB14_430
; %bb.425:                              ;   in Loop: Header=BB14_17 Depth=1
	s_mov_b32 s21, exec_lo
                                        ; implicit-def: $vgpr14
	v_cmpx_lt_i16_e32 6, v7
	s_xor_b32 s21, exec_lo, s21
	s_cbranch_execz .LBB14_427
; %bb.426:                              ;   in Loop: Header=BB14_17 Depth=1
	flat_load_b64 v[16:17], v[16:17]
	s_wait_loadcnt_dscnt 0x0
	v_cvt_f32_f64_e32 v14, v[16:17]
                                        ; implicit-def: $vgpr16_vgpr17
.LBB14_427:                             ;   in Loop: Header=BB14_17 Depth=1
	s_wait_xcnt 0x0
	s_and_not1_saveexec_b32 s21, s21
	s_cbranch_execz .LBB14_429
; %bb.428:                              ;   in Loop: Header=BB14_17 Depth=1
	s_wait_loadcnt_dscnt 0x0
	flat_load_b32 v14, v[16:17]
.LBB14_429:                             ;   in Loop: Header=BB14_17 Depth=1
	s_wait_xcnt 0x0
	s_or_b32 exec_lo, exec_lo, s21
                                        ; implicit-def: $vgpr16_vgpr17
.LBB14_430:                             ;   in Loop: Header=BB14_17 Depth=1
	s_and_not1_saveexec_b32 s20, s20
	s_cbranch_execz .LBB14_432
; %bb.431:                              ;   in Loop: Header=BB14_17 Depth=1
	s_wait_loadcnt_dscnt 0x0
	flat_load_u16 v14, v[16:17]
	s_wait_loadcnt_dscnt 0x0
	v_cvt_f32_f16_e32 v14, v14
.LBB14_432:                             ;   in Loop: Header=BB14_17 Depth=1
	s_wait_xcnt 0x0
	s_or_b32 exec_lo, exec_lo, s20
.LBB14_433:                             ;   in Loop: Header=BB14_17 Depth=1
	s_delay_alu instid0(SALU_CYCLE_1)
	s_or_b32 exec_lo, exec_lo, s18
                                        ; implicit-def: $vgpr16_vgpr17
.LBB14_434:                             ;   in Loop: Header=BB14_17 Depth=1
	s_and_not1_saveexec_b32 s15, s15
	s_cbranch_execz .LBB14_452
; %bb.435:                              ;   in Loop: Header=BB14_17 Depth=1
	s_mov_b32 s18, exec_lo
                                        ; implicit-def: $vgpr14
	v_cmpx_lt_i16_e32 1, v7
	s_xor_b32 s18, exec_lo, s18
	s_cbranch_execz .LBB14_445
; %bb.436:                              ;   in Loop: Header=BB14_17 Depth=1
	s_mov_b32 s20, exec_lo
                                        ; implicit-def: $vgpr14
	v_cmpx_lt_i16_e32 2, v7
	s_xor_b32 s20, exec_lo, s20
	;; [unrolled: 6-line block ×3, first 2 shown]
	s_cbranch_execz .LBB14_439
; %bb.438:                              ;   in Loop: Header=BB14_17 Depth=1
	flat_load_b64 v[16:17], v[16:17]
	s_wait_loadcnt_dscnt 0x0
	v_xor_b32_e32 v14, v16, v17
	v_cls_i32_e32 v20, v17
	s_delay_alu instid0(VALU_DEP_2) | instskip(NEXT) | instid1(VALU_DEP_1)
	v_ashrrev_i32_e32 v14, 31, v14
	v_add_nc_u32_e32 v14, 32, v14
	s_delay_alu instid0(VALU_DEP_1) | instskip(SKIP_1) | instid1(VALU_DEP_1)
	v_add_min_u32_e64 v14, v20, -1, v14
	s_wait_xcnt 0x0
	v_lshlrev_b64_e32 v[16:17], v14, v[16:17]
	v_sub_nc_u32_e32 v14, 32, v14
	s_delay_alu instid0(VALU_DEP_2) | instskip(NEXT) | instid1(VALU_DEP_1)
	v_min_u32_e32 v16, 1, v16
	v_or_b32_e32 v16, v17, v16
	s_delay_alu instid0(VALU_DEP_1) | instskip(NEXT) | instid1(VALU_DEP_1)
	v_cvt_f32_i32_e32 v16, v16
	v_ldexp_f32 v14, v16, v14
                                        ; implicit-def: $vgpr16_vgpr17
.LBB14_439:                             ;   in Loop: Header=BB14_17 Depth=1
	s_and_not1_saveexec_b32 s21, s21
	s_cbranch_execz .LBB14_441
; %bb.440:                              ;   in Loop: Header=BB14_17 Depth=1
	s_wait_loadcnt_dscnt 0x0
	flat_load_b32 v14, v[16:17]
	s_wait_loadcnt_dscnt 0x0
	v_cvt_f32_i32_e32 v14, v14
.LBB14_441:                             ;   in Loop: Header=BB14_17 Depth=1
	s_wait_xcnt 0x0
	s_or_b32 exec_lo, exec_lo, s21
                                        ; implicit-def: $vgpr16_vgpr17
.LBB14_442:                             ;   in Loop: Header=BB14_17 Depth=1
	s_and_not1_saveexec_b32 s20, s20
	s_cbranch_execz .LBB14_444
; %bb.443:                              ;   in Loop: Header=BB14_17 Depth=1
	s_wait_loadcnt_dscnt 0x0
	flat_load_i16 v14, v[16:17]
	s_wait_loadcnt_dscnt 0x0
	v_cvt_f32_i32_e32 v14, v14
.LBB14_444:                             ;   in Loop: Header=BB14_17 Depth=1
	s_wait_xcnt 0x0
	s_or_b32 exec_lo, exec_lo, s20
                                        ; implicit-def: $vgpr16_vgpr17
.LBB14_445:                             ;   in Loop: Header=BB14_17 Depth=1
	s_and_not1_saveexec_b32 s18, s18
	s_cbranch_execz .LBB14_451
; %bb.446:                              ;   in Loop: Header=BB14_17 Depth=1
	s_mov_b32 s20, exec_lo
                                        ; implicit-def: $vgpr14
	v_cmpx_lt_i16_e32 0, v7
	s_xor_b32 s20, exec_lo, s20
	s_cbranch_execz .LBB14_448
; %bb.447:                              ;   in Loop: Header=BB14_17 Depth=1
	s_wait_loadcnt_dscnt 0x0
	flat_load_i8 v14, v[16:17]
                                        ; implicit-def: $vgpr16_vgpr17
	s_wait_loadcnt_dscnt 0x0
	v_cvt_f32_i32_e32 v14, v14
.LBB14_448:                             ;   in Loop: Header=BB14_17 Depth=1
	s_wait_xcnt 0x0
	s_and_not1_saveexec_b32 s20, s20
	s_cbranch_execz .LBB14_450
; %bb.449:                              ;   in Loop: Header=BB14_17 Depth=1
	s_wait_loadcnt_dscnt 0x0
	flat_load_u8 v14, v[16:17]
	s_wait_loadcnt_dscnt 0x0
	v_cvt_f32_ubyte0_e32 v14, v14
.LBB14_450:                             ;   in Loop: Header=BB14_17 Depth=1
	s_wait_xcnt 0x0
	s_or_b32 exec_lo, exec_lo, s20
.LBB14_451:                             ;   in Loop: Header=BB14_17 Depth=1
	s_delay_alu instid0(SALU_CYCLE_1)
	s_or_b32 exec_lo, exec_lo, s18
.LBB14_452:                             ;   in Loop: Header=BB14_17 Depth=1
	s_delay_alu instid0(SALU_CYCLE_1) | instskip(NEXT) | instid1(SALU_CYCLE_1)
	s_or_b32 exec_lo, exec_lo, s15
	s_or_b32 s19, s19, exec_lo
.LBB14_453:                             ;   in Loop: Header=BB14_17 Depth=1
	s_or_b32 exec_lo, exec_lo, s14
	s_mov_b32 s14, -1
	s_mov_b32 s20, 0
	s_mov_b32 s15, 0
	s_and_saveexec_b32 s18, s19
	s_cbranch_execz .LBB14_459
; %bb.454:                              ;   in Loop: Header=BB14_17 Depth=1
	s_add_co_i32 s14, s32, s1
	s_mov_b32 s19, 0
	s_wait_loadcnt_dscnt 0x0
	scratch_store_b32 off, v14, s14 offset:28
	s_wait_xcnt 0x0
	v_mul_lo_u32 v14, v19, v10
	v_and_b32_e32 v19, 0xff, v8
	s_mov_b32 s15, exec_lo
	s_delay_alu instid0(VALU_DEP_2) | instskip(NEXT) | instid1(VALU_DEP_2)
	v_add_nc_u64_e32 v[16:17], v[4:5], v[14:15]
                                        ; implicit-def: $vgpr14
	v_cmpx_lt_i16_e32 10, v19
	s_xor_b32 s15, exec_lo, s15
	s_cbranch_execnz .LBB14_2098
; %bb.455:                              ;   in Loop: Header=BB14_17 Depth=1
	s_and_not1_saveexec_b32 s15, s15
	s_cbranch_execnz .LBB14_2157
.LBB14_456:                             ;   in Loop: Header=BB14_17 Depth=1
	s_or_b32 exec_lo, exec_lo, s15
	s_mov_b32 s20, 0
	s_and_saveexec_b32 s15, s19
	s_cbranch_execz .LBB14_458
.LBB14_457:                             ;   in Loop: Header=BB14_17 Depth=1
	v_add_nc_u32_e32 v18, 0x200, v18
	s_mov_b32 s20, exec_lo
	s_wait_loadcnt_dscnt 0x0
	scratch_store_b32 off, v14, s14 offset:24
.LBB14_458:                             ;   in Loop: Header=BB14_17 Depth=1
	s_wait_xcnt 0x0
	s_or_b32 exec_lo, exec_lo, s15
	s_delay_alu instid0(SALU_CYCLE_1)
	s_mov_b32 s15, exec_lo
	s_xor_b32 s14, exec_lo, -1
	s_and_b32 s20, s20, exec_lo
.LBB14_459:                             ;   in Loop: Header=BB14_17 Depth=1
	s_or_b32 exec_lo, exec_lo, s18
	s_delay_alu instid0(SALU_CYCLE_1)
	s_or_not1_b32 s18, s20, exec_lo
.LBB14_460:                             ;   in Loop: Header=BB14_17 Depth=1
	s_or_b32 exec_lo, exec_lo, s16
	s_and_saveexec_b32 s16, s18
	s_cbranch_execz .LBB14_13
; %bb.461:                              ;   in Loop: Header=BB14_17 Depth=1
	s_mov_b32 s20, -1
	s_mov_b32 s21, -1
	s_mov_b32 s19, exec_lo
                                        ; implicit-def: $sgpr17
                                        ; implicit-def: $sgpr18
	v_cmpx_lt_i32_e64 v18, v6
	s_cbranch_execz .LBB14_571
; %bb.462:                              ;   in Loop: Header=BB14_17 Depth=1
	v_add_nc_u32_e32 v19, s2, v18
	s_mov_b32 s22, 0
	s_mov_b32 s17, exec_lo
	s_wait_loadcnt_dscnt 0x0
	s_delay_alu instid0(VALU_DEP_1) | instskip(NEXT) | instid1(VALU_DEP_1)
	v_mul_lo_u32 v14, v19, v9
	v_add_nc_u64_e32 v[16:17], v[2:3], v[14:15]
                                        ; implicit-def: $vgpr14
	v_cmpx_lt_i16_e32 10, v7
	s_xor_b32 s17, exec_lo, s17
	s_cbranch_execz .LBB14_522
; %bb.463:                              ;   in Loop: Header=BB14_17 Depth=1
	s_mov_b32 s21, 0
	s_mov_b32 s18, exec_lo
                                        ; implicit-def: $vgpr14
	v_cmpx_lt_i16_e32 25, v7
	s_xor_b32 s18, exec_lo, s18
	s_cbranch_execz .LBB14_495
; %bb.464:                              ;   in Loop: Header=BB14_17 Depth=1
	s_mov_b32 s22, exec_lo
                                        ; implicit-def: $vgpr14
	v_cmpx_lt_i16_e32 28, v7
	s_xor_b32 s22, exec_lo, s22
	s_cbranch_execz .LBB14_480
; %bb.465:                              ;   in Loop: Header=BB14_17 Depth=1
	s_mov_b32 s23, 0
	s_mov_b32 s21, exec_lo
                                        ; implicit-def: $vgpr14
	v_cmpx_lt_i16_e32 43, v7
	s_xor_b32 s21, exec_lo, s21
	s_cbranch_execz .LBB14_475
; %bb.466:                              ;   in Loop: Header=BB14_17 Depth=1
	s_mov_b32 s24, exec_lo
                                        ; implicit-def: $vgpr14
	v_cmpx_lt_i16_e32 45, v7
	s_xor_b32 s24, exec_lo, s24
	s_cbranch_execz .LBB14_470
; %bb.467:                              ;   in Loop: Header=BB14_17 Depth=1
	s_mov_b32 s25, exec_lo
                                        ; implicit-def: $vgpr14
	v_cmpx_eq_u16_e32 46, v7
	s_cbranch_execz .LBB14_469
; %bb.468:                              ;   in Loop: Header=BB14_17 Depth=1
	flat_load_b32 v14, v[16:17]
	s_mov_b32 s23, exec_lo
	s_wait_loadcnt_dscnt 0x0
	v_lshlrev_b32_e32 v14, 16, v14
.LBB14_469:                             ;   in Loop: Header=BB14_17 Depth=1
	s_wait_xcnt 0x0
	s_or_b32 exec_lo, exec_lo, s25
	s_delay_alu instid0(SALU_CYCLE_1)
	s_and_b32 s23, s23, exec_lo
                                        ; implicit-def: $vgpr16_vgpr17
.LBB14_470:                             ;   in Loop: Header=BB14_17 Depth=1
	s_and_not1_saveexec_b32 s24, s24
	s_cbranch_execz .LBB14_474
; %bb.471:                              ;   in Loop: Header=BB14_17 Depth=1
	s_mov_b32 s26, s23
	s_mov_b32 s25, exec_lo
                                        ; implicit-def: $vgpr14
	v_cmpx_eq_u16_e32 44, v7
	s_cbranch_execz .LBB14_473
; %bb.472:                              ;   in Loop: Header=BB14_17 Depth=1
	flat_load_u8 v14, v[16:17]
	s_or_b32 s26, s23, exec_lo
	s_wait_loadcnt_dscnt 0x0
	v_lshlrev_b32_e32 v16, 23, v14
	v_cmp_ne_u32_e32 vcc_lo, 0xff, v14
	s_delay_alu instid0(VALU_DEP_2) | instskip(SKIP_1) | instid1(VALU_DEP_2)
	v_cndmask_b32_e32 v16, 0x7f800001, v16, vcc_lo
	v_cmp_ne_u32_e32 vcc_lo, 0, v14
	v_cndmask_b32_e32 v14, 0x400000, v16, vcc_lo
.LBB14_473:                             ;   in Loop: Header=BB14_17 Depth=1
	s_or_b32 exec_lo, exec_lo, s25
	s_delay_alu instid0(SALU_CYCLE_1) | instskip(SKIP_1) | instid1(SALU_CYCLE_1)
	s_and_not1_b32 s23, s23, exec_lo
	s_and_b32 s25, s26, exec_lo
	s_or_b32 s23, s23, s25
.LBB14_474:                             ;   in Loop: Header=BB14_17 Depth=1
	s_or_b32 exec_lo, exec_lo, s24
	s_delay_alu instid0(SALU_CYCLE_1)
	s_and_b32 s23, s23, exec_lo
                                        ; implicit-def: $vgpr16_vgpr17
.LBB14_475:                             ;   in Loop: Header=BB14_17 Depth=1
	s_and_not1_saveexec_b32 s21, s21
	s_cbranch_execz .LBB14_479
; %bb.476:                              ;   in Loop: Header=BB14_17 Depth=1
	s_mov_b32 s25, s23
	s_mov_b32 s24, exec_lo
                                        ; implicit-def: $vgpr14
	v_cmpx_eq_u16_e32 29, v7
	s_cbranch_execz .LBB14_478
; %bb.477:                              ;   in Loop: Header=BB14_17 Depth=1
	flat_load_b64 v[16:17], v[16:17]
	s_or_b32 s25, s23, exec_lo
	s_wait_loadcnt_dscnt 0x0
	v_clz_i32_u32_e32 v14, v17
	s_delay_alu instid0(VALU_DEP_1) | instskip(SKIP_1) | instid1(VALU_DEP_1)
	v_min_u32_e32 v14, 32, v14
	s_wait_xcnt 0x0
	v_lshlrev_b64_e32 v[16:17], v14, v[16:17]
	v_sub_nc_u32_e32 v14, 32, v14
	s_delay_alu instid0(VALU_DEP_2) | instskip(NEXT) | instid1(VALU_DEP_1)
	v_min_u32_e32 v16, 1, v16
	v_or_b32_e32 v16, v17, v16
	s_delay_alu instid0(VALU_DEP_1) | instskip(NEXT) | instid1(VALU_DEP_1)
	v_cvt_f32_u32_e32 v16, v16
	v_ldexp_f32 v14, v16, v14
.LBB14_478:                             ;   in Loop: Header=BB14_17 Depth=1
	s_or_b32 exec_lo, exec_lo, s24
	s_delay_alu instid0(SALU_CYCLE_1) | instskip(SKIP_1) | instid1(SALU_CYCLE_1)
	s_and_not1_b32 s23, s23, exec_lo
	s_and_b32 s24, s25, exec_lo
	s_or_b32 s23, s23, s24
.LBB14_479:                             ;   in Loop: Header=BB14_17 Depth=1
	s_or_b32 exec_lo, exec_lo, s21
	s_delay_alu instid0(SALU_CYCLE_1)
	s_and_b32 s21, s23, exec_lo
                                        ; implicit-def: $vgpr16_vgpr17
.LBB14_480:                             ;   in Loop: Header=BB14_17 Depth=1
	s_and_not1_saveexec_b32 s22, s22
	s_cbranch_execz .LBB14_494
; %bb.481:                              ;   in Loop: Header=BB14_17 Depth=1
	s_mov_b32 s23, exec_lo
                                        ; implicit-def: $vgpr14
	v_cmpx_lt_i16_e32 26, v7
	s_xor_b32 s23, exec_lo, s23
	s_cbranch_execz .LBB14_487
; %bb.482:                              ;   in Loop: Header=BB14_17 Depth=1
	s_mov_b32 s24, exec_lo
                                        ; implicit-def: $vgpr14
	v_cmpx_lt_i16_e32 27, v7
	s_xor_b32 s24, exec_lo, s24
	s_cbranch_execz .LBB14_484
; %bb.483:                              ;   in Loop: Header=BB14_17 Depth=1
	flat_load_b32 v14, v[16:17]
                                        ; implicit-def: $vgpr16_vgpr17
	s_wait_loadcnt_dscnt 0x0
	v_cvt_f32_u32_e32 v14, v14
.LBB14_484:                             ;   in Loop: Header=BB14_17 Depth=1
	s_wait_xcnt 0x0
	s_and_not1_saveexec_b32 s24, s24
	s_cbranch_execz .LBB14_486
; %bb.485:                              ;   in Loop: Header=BB14_17 Depth=1
	flat_load_u16 v14, v[16:17]
	s_wait_loadcnt_dscnt 0x0
	v_cvt_f32_u32_e32 v14, v14
.LBB14_486:                             ;   in Loop: Header=BB14_17 Depth=1
	s_wait_xcnt 0x0
	s_or_b32 exec_lo, exec_lo, s24
                                        ; implicit-def: $vgpr16_vgpr17
.LBB14_487:                             ;   in Loop: Header=BB14_17 Depth=1
	s_and_not1_saveexec_b32 s23, s23
	s_cbranch_execz .LBB14_493
; %bb.488:                              ;   in Loop: Header=BB14_17 Depth=1
	flat_load_u8 v16, v[16:17]
	s_mov_b32 s24, 0
	s_mov_b32 s25, exec_lo
	s_wait_loadcnt_dscnt 0x0
	v_cmpx_lt_i16_e32 0x7f, v16
	s_xor_b32 s25, exec_lo, s25
	s_cbranch_execnz .LBB14_2546
; %bb.489:                              ;   in Loop: Header=BB14_17 Depth=1
	s_or_saveexec_b32 s25, s25
	v_mov_b32_e32 v14, 0x7f800001
	s_xor_b32 exec_lo, exec_lo, s25
	s_cbranch_execnz .LBB14_2549
.LBB14_490:                             ;   in Loop: Header=BB14_17 Depth=1
	s_or_b32 exec_lo, exec_lo, s25
	s_and_saveexec_b32 s25, s24
	s_cbranch_execz .LBB14_492
.LBB14_491:                             ;   in Loop: Header=BB14_17 Depth=1
	v_and_b32_e32 v14, 0xffff, v16
	s_delay_alu instid0(VALU_DEP_1) | instskip(SKIP_1) | instid1(VALU_DEP_2)
	v_and_b32_e32 v17, 7, v14
	v_bfe_u32 v22, v14, 3, 4
	v_clz_i32_u32_e32 v20, v17
	s_delay_alu instid0(VALU_DEP_2) | instskip(NEXT) | instid1(VALU_DEP_2)
	v_cmp_eq_u32_e32 vcc_lo, 0, v22
	v_min_u32_e32 v20, 32, v20
	s_delay_alu instid0(VALU_DEP_1) | instskip(NEXT) | instid1(VALU_DEP_1)
	v_subrev_nc_u32_e32 v21, 28, v20
	v_dual_lshlrev_b32 v14, v21, v14 :: v_dual_sub_nc_u32 v20, 29, v20
	s_delay_alu instid0(VALU_DEP_1) | instskip(NEXT) | instid1(VALU_DEP_1)
	v_dual_lshlrev_b32 v16, 24, v16 :: v_dual_bitop2_b32 v14, 7, v14 bitop3:0x40
	v_dual_cndmask_b32 v14, v17, v14, vcc_lo :: v_dual_cndmask_b32 v20, v22, v20, vcc_lo
	s_delay_alu instid0(VALU_DEP_2) | instskip(NEXT) | instid1(VALU_DEP_2)
	v_and_b32_e32 v16, 0x80000000, v16
	v_lshlrev_b32_e32 v14, 20, v14
	s_delay_alu instid0(VALU_DEP_3) | instskip(NEXT) | instid1(VALU_DEP_1)
	v_lshl_add_u32 v17, v20, 23, 0x3b800000
	v_or3_b32 v14, v16, v17, v14
.LBB14_492:                             ;   in Loop: Header=BB14_17 Depth=1
	s_or_b32 exec_lo, exec_lo, s25
.LBB14_493:                             ;   in Loop: Header=BB14_17 Depth=1
	s_delay_alu instid0(SALU_CYCLE_1) | instskip(NEXT) | instid1(SALU_CYCLE_1)
	s_or_b32 exec_lo, exec_lo, s23
	s_or_b32 s21, s21, exec_lo
.LBB14_494:                             ;   in Loop: Header=BB14_17 Depth=1
	s_or_b32 exec_lo, exec_lo, s22
	s_delay_alu instid0(SALU_CYCLE_1)
	s_and_b32 s21, s21, exec_lo
                                        ; implicit-def: $vgpr16_vgpr17
.LBB14_495:                             ;   in Loop: Header=BB14_17 Depth=1
	s_and_not1_saveexec_b32 s18, s18
	s_cbranch_execz .LBB14_521
; %bb.496:                              ;   in Loop: Header=BB14_17 Depth=1
	s_mov_b32 s23, s21
	s_mov_b32 s22, exec_lo
                                        ; implicit-def: $vgpr14
	v_cmpx_lt_i16_e32 22, v7
	s_xor_b32 s22, exec_lo, s22
	s_cbranch_execz .LBB14_510
; %bb.497:                              ;   in Loop: Header=BB14_17 Depth=1
	s_mov_b32 s23, exec_lo
                                        ; implicit-def: $vgpr14
	v_cmpx_lt_i16_e32 23, v7
	s_xor_b32 s23, exec_lo, s23
	s_cbranch_execz .LBB14_507
; %bb.498:                              ;   in Loop: Header=BB14_17 Depth=1
	;; [unrolled: 6-line block ×3, first 2 shown]
	flat_load_u8 v16, v[16:17]
	s_mov_b32 s25, 0
	s_mov_b32 s26, exec_lo
	s_wait_loadcnt_dscnt 0x0
	v_cmpx_lt_i16_e32 0x7f, v16
	s_xor_b32 s26, exec_lo, s26
	s_cbranch_execnz .LBB14_2658
; %bb.500:                              ;   in Loop: Header=BB14_17 Depth=1
	s_or_saveexec_b32 s26, s26
	v_mov_b32_e32 v14, 0x7f800001
	s_xor_b32 exec_lo, exec_lo, s26
	s_cbranch_execnz .LBB14_2661
.LBB14_501:                             ;   in Loop: Header=BB14_17 Depth=1
	s_or_b32 exec_lo, exec_lo, s26
	s_and_saveexec_b32 s26, s25
	s_cbranch_execz .LBB14_503
.LBB14_502:                             ;   in Loop: Header=BB14_17 Depth=1
	v_and_b32_e32 v14, 0xffff, v16
	s_delay_alu instid0(VALU_DEP_1) | instskip(SKIP_1) | instid1(VALU_DEP_2)
	v_and_b32_e32 v17, 3, v14
	v_bfe_u32 v22, v14, 2, 5
	v_clz_i32_u32_e32 v20, v17
	s_delay_alu instid0(VALU_DEP_2) | instskip(NEXT) | instid1(VALU_DEP_2)
	v_cmp_eq_u32_e32 vcc_lo, 0, v22
	v_min_u32_e32 v20, 32, v20
	s_delay_alu instid0(VALU_DEP_1) | instskip(NEXT) | instid1(VALU_DEP_1)
	v_subrev_nc_u32_e32 v21, 29, v20
	v_dual_lshlrev_b32 v14, v21, v14 :: v_dual_sub_nc_u32 v20, 30, v20
	s_delay_alu instid0(VALU_DEP_1) | instskip(NEXT) | instid1(VALU_DEP_1)
	v_dual_lshlrev_b32 v16, 24, v16 :: v_dual_bitop2_b32 v14, 3, v14 bitop3:0x40
	v_dual_cndmask_b32 v14, v17, v14, vcc_lo :: v_dual_cndmask_b32 v20, v22, v20, vcc_lo
	s_delay_alu instid0(VALU_DEP_2) | instskip(NEXT) | instid1(VALU_DEP_2)
	v_and_b32_e32 v16, 0x80000000, v16
	v_lshlrev_b32_e32 v14, 21, v14
	s_delay_alu instid0(VALU_DEP_3) | instskip(NEXT) | instid1(VALU_DEP_1)
	v_lshl_add_u32 v17, v20, 23, 0x37800000
	v_or3_b32 v14, v16, v17, v14
.LBB14_503:                             ;   in Loop: Header=BB14_17 Depth=1
	s_or_b32 exec_lo, exec_lo, s26
                                        ; implicit-def: $vgpr16_vgpr17
.LBB14_504:                             ;   in Loop: Header=BB14_17 Depth=1
	s_and_not1_saveexec_b32 s24, s24
	s_cbranch_execz .LBB14_506
; %bb.505:                              ;   in Loop: Header=BB14_17 Depth=1
	flat_load_u8 v14, v[16:17]
	s_wait_loadcnt_dscnt 0x0
	v_lshlrev_b32_e32 v14, 24, v14
	s_wait_xcnt 0x0
	s_delay_alu instid0(VALU_DEP_1) | instskip(NEXT) | instid1(VALU_DEP_1)
	v_and_b32_e32 v16, 0x7f000000, v14
	v_clz_i32_u32_e32 v17, v16
	v_cmp_ne_u32_e32 vcc_lo, 0, v16
	v_add_nc_u32_e32 v21, 0x1000000, v16
	s_delay_alu instid0(VALU_DEP_3) | instskip(NEXT) | instid1(VALU_DEP_1)
	v_min_u32_e32 v17, 32, v17
	v_sub_nc_u32_e64 v17, v17, 4 clamp
	s_delay_alu instid0(VALU_DEP_1) | instskip(NEXT) | instid1(VALU_DEP_1)
	v_dual_lshlrev_b32 v20, v17, v16 :: v_dual_lshlrev_b32 v17, 23, v17
	v_lshrrev_b32_e32 v20, 4, v20
	s_delay_alu instid0(VALU_DEP_1) | instskip(SKIP_1) | instid1(VALU_DEP_2)
	v_sub_nc_u32_e32 v17, v20, v17
	v_ashrrev_i32_e32 v20, 8, v21
	v_add_nc_u32_e32 v17, 0x3c000000, v17
	s_delay_alu instid0(VALU_DEP_1) | instskip(NEXT) | instid1(VALU_DEP_1)
	v_and_or_b32 v17, 0x7f800000, v20, v17
	v_cndmask_b32_e32 v16, 0, v17, vcc_lo
	s_delay_alu instid0(VALU_DEP_1)
	v_and_or_b32 v14, 0x80000000, v14, v16
.LBB14_506:                             ;   in Loop: Header=BB14_17 Depth=1
	s_or_b32 exec_lo, exec_lo, s24
                                        ; implicit-def: $vgpr16_vgpr17
.LBB14_507:                             ;   in Loop: Header=BB14_17 Depth=1
	s_and_not1_saveexec_b32 s23, s23
	s_cbranch_execz .LBB14_509
; %bb.508:                              ;   in Loop: Header=BB14_17 Depth=1
	flat_load_u8 v14, v[16:17]
	s_wait_loadcnt_dscnt 0x0
	v_lshlrev_b32_e32 v16, 25, v14
	v_lshlrev_b16 v14, 8, v14
	s_delay_alu instid0(VALU_DEP_1) | instskip(SKIP_1) | instid1(VALU_DEP_2)
	v_and_or_b32 v20, 0x7f00, v14, 0.5
	v_bfe_i32 v14, v14, 0, 16
	v_add_f32_e32 v20, -0.5, v20
	v_lshrrev_b32_e32 v17, 4, v16
	v_cmp_gt_u32_e32 vcc_lo, 0x8000000, v16
	s_delay_alu instid0(VALU_DEP_2) | instskip(NEXT) | instid1(VALU_DEP_1)
	v_or_b32_e32 v17, 0x70000000, v17
	v_mul_f32_e32 v17, 0x7800000, v17
	s_delay_alu instid0(VALU_DEP_1) | instskip(NEXT) | instid1(VALU_DEP_1)
	v_cndmask_b32_e32 v16, v17, v20, vcc_lo
	v_and_or_b32 v14, 0x80000000, v14, v16
.LBB14_509:                             ;   in Loop: Header=BB14_17 Depth=1
	s_or_b32 exec_lo, exec_lo, s23
	s_delay_alu instid0(SALU_CYCLE_1)
	s_or_b32 s23, s21, exec_lo
                                        ; implicit-def: $vgpr16_vgpr17
.LBB14_510:                             ;   in Loop: Header=BB14_17 Depth=1
	s_and_not1_saveexec_b32 s22, s22
	s_cbranch_execz .LBB14_520
; %bb.511:                              ;   in Loop: Header=BB14_17 Depth=1
	s_mov_b32 s24, s23
	s_mov_b32 s25, exec_lo
                                        ; implicit-def: $vgpr14
	v_cmpx_lt_i16_e32 14, v7
	s_xor_b32 s25, exec_lo, s25
	s_cbranch_execz .LBB14_515
; %bb.512:                              ;   in Loop: Header=BB14_17 Depth=1
	s_mov_b32 s24, s23
	s_mov_b32 s26, exec_lo
                                        ; implicit-def: $vgpr14
	v_cmpx_eq_u16_e32 15, v7
	s_cbranch_execz .LBB14_514
; %bb.513:                              ;   in Loop: Header=BB14_17 Depth=1
	flat_load_u16 v14, v[16:17]
	s_or_b32 s24, s23, exec_lo
	s_wait_loadcnt_dscnt 0x0
	v_lshlrev_b32_e32 v14, 16, v14
.LBB14_514:                             ;   in Loop: Header=BB14_17 Depth=1
	s_wait_xcnt 0x0
	s_or_b32 exec_lo, exec_lo, s26
	s_delay_alu instid0(SALU_CYCLE_1) | instskip(SKIP_1) | instid1(SALU_CYCLE_1)
	s_and_not1_b32 s26, s23, exec_lo
	s_and_b32 s24, s24, exec_lo
                                        ; implicit-def: $vgpr16_vgpr17
	s_or_b32 s24, s26, s24
.LBB14_515:                             ;   in Loop: Header=BB14_17 Depth=1
	s_and_not1_saveexec_b32 s25, s25
	s_cbranch_execz .LBB14_519
; %bb.516:                              ;   in Loop: Header=BB14_17 Depth=1
	s_mov_b32 s26, s24
	s_mov_b32 s27, exec_lo
                                        ; implicit-def: $vgpr14
	v_cmpx_eq_u16_e32 11, v7
	s_cbranch_execz .LBB14_518
; %bb.517:                              ;   in Loop: Header=BB14_17 Depth=1
	flat_load_u8 v14, v[16:17]
	s_or_b32 s26, s24, exec_lo
	s_wait_loadcnt_dscnt 0x0
	v_cmp_ne_u16_e32 vcc_lo, 0, v14
	v_cndmask_b32_e64 v14, 0, 1.0, vcc_lo
.LBB14_518:                             ;   in Loop: Header=BB14_17 Depth=1
	s_wait_xcnt 0x0
	s_or_b32 exec_lo, exec_lo, s27
	s_delay_alu instid0(SALU_CYCLE_1) | instskip(SKIP_1) | instid1(SALU_CYCLE_1)
	s_and_not1_b32 s24, s24, exec_lo
	s_and_b32 s26, s26, exec_lo
	s_or_b32 s24, s24, s26
.LBB14_519:                             ;   in Loop: Header=BB14_17 Depth=1
	s_or_b32 exec_lo, exec_lo, s25
	s_delay_alu instid0(SALU_CYCLE_1) | instskip(SKIP_1) | instid1(SALU_CYCLE_1)
	s_and_not1_b32 s23, s23, exec_lo
	s_and_b32 s24, s24, exec_lo
	s_or_b32 s23, s23, s24
.LBB14_520:                             ;   in Loop: Header=BB14_17 Depth=1
	s_or_b32 exec_lo, exec_lo, s22
	s_delay_alu instid0(SALU_CYCLE_1) | instskip(SKIP_1) | instid1(SALU_CYCLE_1)
	s_and_not1_b32 s21, s21, exec_lo
	s_and_b32 s22, s23, exec_lo
	s_or_b32 s21, s21, s22
.LBB14_521:                             ;   in Loop: Header=BB14_17 Depth=1
	s_or_b32 exec_lo, exec_lo, s18
	s_delay_alu instid0(SALU_CYCLE_1)
	s_and_b32 s22, s21, exec_lo
                                        ; implicit-def: $vgpr16_vgpr17
.LBB14_522:                             ;   in Loop: Header=BB14_17 Depth=1
	s_and_not1_saveexec_b32 s17, s17
	s_cbranch_execz .LBB14_564
; %bb.523:                              ;   in Loop: Header=BB14_17 Depth=1
	s_mov_b32 s18, exec_lo
                                        ; implicit-def: $vgpr14
	v_cmpx_lt_i16_e32 4, v7
	s_xor_b32 s18, exec_lo, s18
	s_cbranch_execz .LBB14_545
; %bb.524:                              ;   in Loop: Header=BB14_17 Depth=1
	s_mov_b32 s21, exec_lo
                                        ; implicit-def: $vgpr14
	v_cmpx_lt_i16_e32 7, v7
	s_xor_b32 s21, exec_lo, s21
	;; [unrolled: 6-line block ×4, first 2 shown]
	s_cbranch_execz .LBB14_528
; %bb.527:                              ;   in Loop: Header=BB14_17 Depth=1
	flat_load_b64 v[16:17], v[16:17]
	s_wait_loadcnt_dscnt 0x0
	v_cvt_f32_f64_e32 v14, v[16:17]
                                        ; implicit-def: $vgpr16_vgpr17
.LBB14_528:                             ;   in Loop: Header=BB14_17 Depth=1
	s_wait_xcnt 0x0
	s_and_not1_saveexec_b32 s24, s24
	s_cbranch_execz .LBB14_530
; %bb.529:                              ;   in Loop: Header=BB14_17 Depth=1
	flat_load_b32 v14, v[16:17]
.LBB14_530:                             ;   in Loop: Header=BB14_17 Depth=1
	s_wait_xcnt 0x0
	s_or_b32 exec_lo, exec_lo, s24
                                        ; implicit-def: $vgpr16_vgpr17
.LBB14_531:                             ;   in Loop: Header=BB14_17 Depth=1
	s_and_not1_saveexec_b32 s23, s23
	s_cbranch_execz .LBB14_533
; %bb.532:                              ;   in Loop: Header=BB14_17 Depth=1
	s_wait_loadcnt_dscnt 0x0
	flat_load_b32 v14, v[16:17]
	s_wait_loadcnt_dscnt 0x0
	v_cvt_f32_f16_e32 v14, v14
.LBB14_533:                             ;   in Loop: Header=BB14_17 Depth=1
	s_wait_xcnt 0x0
	s_or_b32 exec_lo, exec_lo, s23
                                        ; implicit-def: $vgpr16_vgpr17
.LBB14_534:                             ;   in Loop: Header=BB14_17 Depth=1
	s_and_not1_saveexec_b32 s21, s21
	s_cbranch_execz .LBB14_544
; %bb.535:                              ;   in Loop: Header=BB14_17 Depth=1
	s_mov_b32 s23, exec_lo
                                        ; implicit-def: $vgpr14
	v_cmpx_lt_i16_e32 5, v7
	s_xor_b32 s23, exec_lo, s23
	s_cbranch_execz .LBB14_541
; %bb.536:                              ;   in Loop: Header=BB14_17 Depth=1
	s_mov_b32 s24, exec_lo
                                        ; implicit-def: $vgpr14
	v_cmpx_lt_i16_e32 6, v7
	s_xor_b32 s24, exec_lo, s24
	s_cbranch_execz .LBB14_538
; %bb.537:                              ;   in Loop: Header=BB14_17 Depth=1
	flat_load_b64 v[16:17], v[16:17]
	s_wait_loadcnt_dscnt 0x0
	v_cvt_f32_f64_e32 v14, v[16:17]
                                        ; implicit-def: $vgpr16_vgpr17
.LBB14_538:                             ;   in Loop: Header=BB14_17 Depth=1
	s_wait_xcnt 0x0
	s_and_not1_saveexec_b32 s24, s24
	s_cbranch_execz .LBB14_540
; %bb.539:                              ;   in Loop: Header=BB14_17 Depth=1
	s_wait_loadcnt_dscnt 0x0
	flat_load_b32 v14, v[16:17]
.LBB14_540:                             ;   in Loop: Header=BB14_17 Depth=1
	s_wait_xcnt 0x0
	s_or_b32 exec_lo, exec_lo, s24
                                        ; implicit-def: $vgpr16_vgpr17
.LBB14_541:                             ;   in Loop: Header=BB14_17 Depth=1
	s_and_not1_saveexec_b32 s23, s23
	s_cbranch_execz .LBB14_543
; %bb.542:                              ;   in Loop: Header=BB14_17 Depth=1
	s_wait_loadcnt_dscnt 0x0
	flat_load_u16 v14, v[16:17]
	s_wait_loadcnt_dscnt 0x0
	v_cvt_f32_f16_e32 v14, v14
.LBB14_543:                             ;   in Loop: Header=BB14_17 Depth=1
	s_wait_xcnt 0x0
	s_or_b32 exec_lo, exec_lo, s23
.LBB14_544:                             ;   in Loop: Header=BB14_17 Depth=1
	s_delay_alu instid0(SALU_CYCLE_1)
	s_or_b32 exec_lo, exec_lo, s21
                                        ; implicit-def: $vgpr16_vgpr17
.LBB14_545:                             ;   in Loop: Header=BB14_17 Depth=1
	s_and_not1_saveexec_b32 s18, s18
	s_cbranch_execz .LBB14_563
; %bb.546:                              ;   in Loop: Header=BB14_17 Depth=1
	s_mov_b32 s21, exec_lo
                                        ; implicit-def: $vgpr14
	v_cmpx_lt_i16_e32 1, v7
	s_xor_b32 s21, exec_lo, s21
	s_cbranch_execz .LBB14_556
; %bb.547:                              ;   in Loop: Header=BB14_17 Depth=1
	s_mov_b32 s23, exec_lo
                                        ; implicit-def: $vgpr14
	v_cmpx_lt_i16_e32 2, v7
	s_xor_b32 s23, exec_lo, s23
	;; [unrolled: 6-line block ×3, first 2 shown]
	s_cbranch_execz .LBB14_550
; %bb.549:                              ;   in Loop: Header=BB14_17 Depth=1
	flat_load_b64 v[16:17], v[16:17]
	s_wait_loadcnt_dscnt 0x0
	v_xor_b32_e32 v14, v16, v17
	v_cls_i32_e32 v20, v17
	s_delay_alu instid0(VALU_DEP_2) | instskip(NEXT) | instid1(VALU_DEP_1)
	v_ashrrev_i32_e32 v14, 31, v14
	v_add_nc_u32_e32 v14, 32, v14
	s_delay_alu instid0(VALU_DEP_1) | instskip(SKIP_1) | instid1(VALU_DEP_1)
	v_add_min_u32_e64 v14, v20, -1, v14
	s_wait_xcnt 0x0
	v_lshlrev_b64_e32 v[16:17], v14, v[16:17]
	v_sub_nc_u32_e32 v14, 32, v14
	s_delay_alu instid0(VALU_DEP_2) | instskip(NEXT) | instid1(VALU_DEP_1)
	v_min_u32_e32 v16, 1, v16
	v_or_b32_e32 v16, v17, v16
	s_delay_alu instid0(VALU_DEP_1) | instskip(NEXT) | instid1(VALU_DEP_1)
	v_cvt_f32_i32_e32 v16, v16
	v_ldexp_f32 v14, v16, v14
                                        ; implicit-def: $vgpr16_vgpr17
.LBB14_550:                             ;   in Loop: Header=BB14_17 Depth=1
	s_and_not1_saveexec_b32 s24, s24
	s_cbranch_execz .LBB14_552
; %bb.551:                              ;   in Loop: Header=BB14_17 Depth=1
	s_wait_loadcnt_dscnt 0x0
	flat_load_b32 v14, v[16:17]
	s_wait_loadcnt_dscnt 0x0
	v_cvt_f32_i32_e32 v14, v14
.LBB14_552:                             ;   in Loop: Header=BB14_17 Depth=1
	s_wait_xcnt 0x0
	s_or_b32 exec_lo, exec_lo, s24
                                        ; implicit-def: $vgpr16_vgpr17
.LBB14_553:                             ;   in Loop: Header=BB14_17 Depth=1
	s_and_not1_saveexec_b32 s23, s23
	s_cbranch_execz .LBB14_555
; %bb.554:                              ;   in Loop: Header=BB14_17 Depth=1
	s_wait_loadcnt_dscnt 0x0
	flat_load_i16 v14, v[16:17]
	s_wait_loadcnt_dscnt 0x0
	v_cvt_f32_i32_e32 v14, v14
.LBB14_555:                             ;   in Loop: Header=BB14_17 Depth=1
	s_wait_xcnt 0x0
	s_or_b32 exec_lo, exec_lo, s23
                                        ; implicit-def: $vgpr16_vgpr17
.LBB14_556:                             ;   in Loop: Header=BB14_17 Depth=1
	s_and_not1_saveexec_b32 s21, s21
	s_cbranch_execz .LBB14_562
; %bb.557:                              ;   in Loop: Header=BB14_17 Depth=1
	s_mov_b32 s23, exec_lo
                                        ; implicit-def: $vgpr14
	v_cmpx_lt_i16_e32 0, v7
	s_xor_b32 s23, exec_lo, s23
	s_cbranch_execz .LBB14_559
; %bb.558:                              ;   in Loop: Header=BB14_17 Depth=1
	s_wait_loadcnt_dscnt 0x0
	flat_load_i8 v14, v[16:17]
                                        ; implicit-def: $vgpr16_vgpr17
	s_wait_loadcnt_dscnt 0x0
	v_cvt_f32_i32_e32 v14, v14
.LBB14_559:                             ;   in Loop: Header=BB14_17 Depth=1
	s_wait_xcnt 0x0
	s_and_not1_saveexec_b32 s23, s23
	s_cbranch_execz .LBB14_561
; %bb.560:                              ;   in Loop: Header=BB14_17 Depth=1
	s_wait_loadcnt_dscnt 0x0
	flat_load_u8 v14, v[16:17]
	s_wait_loadcnt_dscnt 0x0
	v_cvt_f32_ubyte0_e32 v14, v14
.LBB14_561:                             ;   in Loop: Header=BB14_17 Depth=1
	s_wait_xcnt 0x0
	s_or_b32 exec_lo, exec_lo, s23
.LBB14_562:                             ;   in Loop: Header=BB14_17 Depth=1
	s_delay_alu instid0(SALU_CYCLE_1)
	s_or_b32 exec_lo, exec_lo, s21
.LBB14_563:                             ;   in Loop: Header=BB14_17 Depth=1
	s_delay_alu instid0(SALU_CYCLE_1) | instskip(NEXT) | instid1(SALU_CYCLE_1)
	s_or_b32 exec_lo, exec_lo, s18
	s_or_b32 s22, s22, exec_lo
.LBB14_564:                             ;   in Loop: Header=BB14_17 Depth=1
	s_or_b32 exec_lo, exec_lo, s17
	s_mov_b32 s17, -1
	s_mov_b32 s23, 0
	s_mov_b32 s18, 0
	s_and_saveexec_b32 s21, s22
	s_cbranch_execz .LBB14_570
; %bb.565:                              ;   in Loop: Header=BB14_17 Depth=1
	s_add_co_i32 s17, s32, s1
	s_mov_b32 s22, 0
	s_wait_loadcnt_dscnt 0x0
	scratch_store_b32 off, v14, s17 offset:36
	s_wait_xcnt 0x0
	v_mul_lo_u32 v14, v19, v10
	v_and_b32_e32 v19, 0xff, v8
	s_mov_b32 s18, exec_lo
	s_delay_alu instid0(VALU_DEP_2) | instskip(NEXT) | instid1(VALU_DEP_2)
	v_add_nc_u64_e32 v[16:17], v[4:5], v[14:15]
                                        ; implicit-def: $vgpr14
	v_cmpx_lt_i16_e32 10, v19
	s_xor_b32 s18, exec_lo, s18
	s_cbranch_execnz .LBB14_2206
; %bb.566:                              ;   in Loop: Header=BB14_17 Depth=1
	s_and_not1_saveexec_b32 s18, s18
	s_cbranch_execnz .LBB14_2265
.LBB14_567:                             ;   in Loop: Header=BB14_17 Depth=1
	s_or_b32 exec_lo, exec_lo, s18
	s_mov_b32 s23, 0
	s_and_saveexec_b32 s18, s22
	s_cbranch_execz .LBB14_569
.LBB14_568:                             ;   in Loop: Header=BB14_17 Depth=1
	v_add_nc_u32_e32 v18, 0x200, v18
	s_mov_b32 s23, exec_lo
	s_wait_loadcnt_dscnt 0x0
	scratch_store_b32 off, v14, s17 offset:32
.LBB14_569:                             ;   in Loop: Header=BB14_17 Depth=1
	s_wait_xcnt 0x0
	s_or_b32 exec_lo, exec_lo, s18
	s_delay_alu instid0(SALU_CYCLE_1)
	s_mov_b32 s18, exec_lo
	s_xor_b32 s17, exec_lo, -1
	s_and_b32 s23, s23, exec_lo
.LBB14_570:                             ;   in Loop: Header=BB14_17 Depth=1
	s_or_b32 exec_lo, exec_lo, s21
	s_delay_alu instid0(SALU_CYCLE_1)
	s_or_not1_b32 s21, s23, exec_lo
.LBB14_571:                             ;   in Loop: Header=BB14_17 Depth=1
	s_or_b32 exec_lo, exec_lo, s19
	s_and_saveexec_b32 s19, s21
	s_cbranch_execz .LBB14_12
; %bb.572:                              ;   in Loop: Header=BB14_17 Depth=1
	s_mov_b32 s23, -1
	s_mov_b32 s24, -1
	s_mov_b32 s22, exec_lo
                                        ; implicit-def: $sgpr20
                                        ; implicit-def: $sgpr21
	v_cmpx_lt_i32_e64 v18, v6
	s_cbranch_execz .LBB14_682
; %bb.573:                              ;   in Loop: Header=BB14_17 Depth=1
	v_add_nc_u32_e32 v19, s2, v18
	s_mov_b32 s25, 0
	s_mov_b32 s20, exec_lo
	s_wait_loadcnt_dscnt 0x0
	s_delay_alu instid0(VALU_DEP_1) | instskip(NEXT) | instid1(VALU_DEP_1)
	v_mul_lo_u32 v14, v19, v9
	v_add_nc_u64_e32 v[16:17], v[2:3], v[14:15]
                                        ; implicit-def: $vgpr14
	v_cmpx_lt_i16_e32 10, v7
	s_xor_b32 s20, exec_lo, s20
	s_cbranch_execz .LBB14_633
; %bb.574:                              ;   in Loop: Header=BB14_17 Depth=1
	s_mov_b32 s24, 0
	s_mov_b32 s21, exec_lo
                                        ; implicit-def: $vgpr14
	v_cmpx_lt_i16_e32 25, v7
	s_xor_b32 s21, exec_lo, s21
	s_cbranch_execz .LBB14_606
; %bb.575:                              ;   in Loop: Header=BB14_17 Depth=1
	s_mov_b32 s25, exec_lo
                                        ; implicit-def: $vgpr14
	v_cmpx_lt_i16_e32 28, v7
	s_xor_b32 s25, exec_lo, s25
	s_cbranch_execz .LBB14_591
; %bb.576:                              ;   in Loop: Header=BB14_17 Depth=1
	s_mov_b32 s26, 0
	s_mov_b32 s24, exec_lo
                                        ; implicit-def: $vgpr14
	v_cmpx_lt_i16_e32 43, v7
	s_xor_b32 s24, exec_lo, s24
	s_cbranch_execz .LBB14_586
; %bb.577:                              ;   in Loop: Header=BB14_17 Depth=1
	s_mov_b32 s27, exec_lo
                                        ; implicit-def: $vgpr14
	v_cmpx_lt_i16_e32 45, v7
	s_xor_b32 s27, exec_lo, s27
	s_cbranch_execz .LBB14_581
; %bb.578:                              ;   in Loop: Header=BB14_17 Depth=1
	s_mov_b32 s28, exec_lo
                                        ; implicit-def: $vgpr14
	v_cmpx_eq_u16_e32 46, v7
	s_cbranch_execz .LBB14_580
; %bb.579:                              ;   in Loop: Header=BB14_17 Depth=1
	flat_load_b32 v14, v[16:17]
	s_mov_b32 s26, exec_lo
	s_wait_loadcnt_dscnt 0x0
	v_lshlrev_b32_e32 v14, 16, v14
.LBB14_580:                             ;   in Loop: Header=BB14_17 Depth=1
	s_wait_xcnt 0x0
	s_or_b32 exec_lo, exec_lo, s28
	s_delay_alu instid0(SALU_CYCLE_1)
	s_and_b32 s26, s26, exec_lo
                                        ; implicit-def: $vgpr16_vgpr17
.LBB14_581:                             ;   in Loop: Header=BB14_17 Depth=1
	s_and_not1_saveexec_b32 s27, s27
	s_cbranch_execz .LBB14_585
; %bb.582:                              ;   in Loop: Header=BB14_17 Depth=1
	s_mov_b32 s29, s26
	s_mov_b32 s28, exec_lo
                                        ; implicit-def: $vgpr14
	v_cmpx_eq_u16_e32 44, v7
	s_cbranch_execz .LBB14_584
; %bb.583:                              ;   in Loop: Header=BB14_17 Depth=1
	flat_load_u8 v14, v[16:17]
	s_or_b32 s29, s26, exec_lo
	s_wait_loadcnt_dscnt 0x0
	v_lshlrev_b32_e32 v16, 23, v14
	v_cmp_ne_u32_e32 vcc_lo, 0xff, v14
	s_delay_alu instid0(VALU_DEP_2) | instskip(SKIP_1) | instid1(VALU_DEP_2)
	v_cndmask_b32_e32 v16, 0x7f800001, v16, vcc_lo
	v_cmp_ne_u32_e32 vcc_lo, 0, v14
	v_cndmask_b32_e32 v14, 0x400000, v16, vcc_lo
.LBB14_584:                             ;   in Loop: Header=BB14_17 Depth=1
	s_or_b32 exec_lo, exec_lo, s28
	s_delay_alu instid0(SALU_CYCLE_1) | instskip(SKIP_1) | instid1(SALU_CYCLE_1)
	s_and_not1_b32 s26, s26, exec_lo
	s_and_b32 s28, s29, exec_lo
	s_or_b32 s26, s26, s28
.LBB14_585:                             ;   in Loop: Header=BB14_17 Depth=1
	s_or_b32 exec_lo, exec_lo, s27
	s_delay_alu instid0(SALU_CYCLE_1)
	s_and_b32 s26, s26, exec_lo
                                        ; implicit-def: $vgpr16_vgpr17
.LBB14_586:                             ;   in Loop: Header=BB14_17 Depth=1
	s_and_not1_saveexec_b32 s24, s24
	s_cbranch_execz .LBB14_590
; %bb.587:                              ;   in Loop: Header=BB14_17 Depth=1
	s_mov_b32 s28, s26
	s_mov_b32 s27, exec_lo
                                        ; implicit-def: $vgpr14
	v_cmpx_eq_u16_e32 29, v7
	s_cbranch_execz .LBB14_589
; %bb.588:                              ;   in Loop: Header=BB14_17 Depth=1
	flat_load_b64 v[16:17], v[16:17]
	s_or_b32 s28, s26, exec_lo
	s_wait_loadcnt_dscnt 0x0
	v_clz_i32_u32_e32 v14, v17
	s_delay_alu instid0(VALU_DEP_1) | instskip(SKIP_1) | instid1(VALU_DEP_1)
	v_min_u32_e32 v14, 32, v14
	s_wait_xcnt 0x0
	v_lshlrev_b64_e32 v[16:17], v14, v[16:17]
	v_sub_nc_u32_e32 v14, 32, v14
	s_delay_alu instid0(VALU_DEP_2) | instskip(NEXT) | instid1(VALU_DEP_1)
	v_min_u32_e32 v16, 1, v16
	v_or_b32_e32 v16, v17, v16
	s_delay_alu instid0(VALU_DEP_1) | instskip(NEXT) | instid1(VALU_DEP_1)
	v_cvt_f32_u32_e32 v16, v16
	v_ldexp_f32 v14, v16, v14
.LBB14_589:                             ;   in Loop: Header=BB14_17 Depth=1
	s_or_b32 exec_lo, exec_lo, s27
	s_delay_alu instid0(SALU_CYCLE_1) | instskip(SKIP_1) | instid1(SALU_CYCLE_1)
	s_and_not1_b32 s26, s26, exec_lo
	s_and_b32 s27, s28, exec_lo
	s_or_b32 s26, s26, s27
.LBB14_590:                             ;   in Loop: Header=BB14_17 Depth=1
	s_or_b32 exec_lo, exec_lo, s24
	s_delay_alu instid0(SALU_CYCLE_1)
	s_and_b32 s24, s26, exec_lo
                                        ; implicit-def: $vgpr16_vgpr17
.LBB14_591:                             ;   in Loop: Header=BB14_17 Depth=1
	s_and_not1_saveexec_b32 s25, s25
	s_cbranch_execz .LBB14_605
; %bb.592:                              ;   in Loop: Header=BB14_17 Depth=1
	s_mov_b32 s26, exec_lo
                                        ; implicit-def: $vgpr14
	v_cmpx_lt_i16_e32 26, v7
	s_xor_b32 s26, exec_lo, s26
	s_cbranch_execz .LBB14_598
; %bb.593:                              ;   in Loop: Header=BB14_17 Depth=1
	s_mov_b32 s27, exec_lo
                                        ; implicit-def: $vgpr14
	v_cmpx_lt_i16_e32 27, v7
	s_xor_b32 s27, exec_lo, s27
	s_cbranch_execz .LBB14_595
; %bb.594:                              ;   in Loop: Header=BB14_17 Depth=1
	flat_load_b32 v14, v[16:17]
                                        ; implicit-def: $vgpr16_vgpr17
	s_wait_loadcnt_dscnt 0x0
	v_cvt_f32_u32_e32 v14, v14
.LBB14_595:                             ;   in Loop: Header=BB14_17 Depth=1
	s_wait_xcnt 0x0
	s_and_not1_saveexec_b32 s27, s27
	s_cbranch_execz .LBB14_597
; %bb.596:                              ;   in Loop: Header=BB14_17 Depth=1
	flat_load_u16 v14, v[16:17]
	s_wait_loadcnt_dscnt 0x0
	v_cvt_f32_u32_e32 v14, v14
.LBB14_597:                             ;   in Loop: Header=BB14_17 Depth=1
	s_wait_xcnt 0x0
	s_or_b32 exec_lo, exec_lo, s27
                                        ; implicit-def: $vgpr16_vgpr17
.LBB14_598:                             ;   in Loop: Header=BB14_17 Depth=1
	s_and_not1_saveexec_b32 s26, s26
	s_cbranch_execz .LBB14_604
; %bb.599:                              ;   in Loop: Header=BB14_17 Depth=1
	flat_load_u8 v16, v[16:17]
	s_mov_b32 s27, 0
	s_mov_b32 s28, exec_lo
	s_wait_loadcnt_dscnt 0x0
	v_cmpx_lt_i16_e32 0x7f, v16
	s_xor_b32 s28, exec_lo, s28
	s_cbranch_execnz .LBB14_2662
; %bb.600:                              ;   in Loop: Header=BB14_17 Depth=1
	s_or_saveexec_b32 s28, s28
	v_mov_b32_e32 v14, 0x7f800001
	s_xor_b32 exec_lo, exec_lo, s28
	s_cbranch_execnz .LBB14_2665
.LBB14_601:                             ;   in Loop: Header=BB14_17 Depth=1
	s_or_b32 exec_lo, exec_lo, s28
	s_and_saveexec_b32 s28, s27
	s_cbranch_execz .LBB14_603
.LBB14_602:                             ;   in Loop: Header=BB14_17 Depth=1
	v_and_b32_e32 v14, 0xffff, v16
	s_delay_alu instid0(VALU_DEP_1) | instskip(SKIP_1) | instid1(VALU_DEP_2)
	v_and_b32_e32 v17, 7, v14
	v_bfe_u32 v22, v14, 3, 4
	v_clz_i32_u32_e32 v20, v17
	s_delay_alu instid0(VALU_DEP_2) | instskip(NEXT) | instid1(VALU_DEP_2)
	v_cmp_eq_u32_e32 vcc_lo, 0, v22
	v_min_u32_e32 v20, 32, v20
	s_delay_alu instid0(VALU_DEP_1) | instskip(NEXT) | instid1(VALU_DEP_1)
	v_subrev_nc_u32_e32 v21, 28, v20
	v_dual_lshlrev_b32 v14, v21, v14 :: v_dual_sub_nc_u32 v20, 29, v20
	s_delay_alu instid0(VALU_DEP_1) | instskip(NEXT) | instid1(VALU_DEP_1)
	v_dual_lshlrev_b32 v16, 24, v16 :: v_dual_bitop2_b32 v14, 7, v14 bitop3:0x40
	v_dual_cndmask_b32 v14, v17, v14, vcc_lo :: v_dual_cndmask_b32 v20, v22, v20, vcc_lo
	s_delay_alu instid0(VALU_DEP_2) | instskip(NEXT) | instid1(VALU_DEP_2)
	v_and_b32_e32 v16, 0x80000000, v16
	v_lshlrev_b32_e32 v14, 20, v14
	s_delay_alu instid0(VALU_DEP_3) | instskip(NEXT) | instid1(VALU_DEP_1)
	v_lshl_add_u32 v17, v20, 23, 0x3b800000
	v_or3_b32 v14, v16, v17, v14
.LBB14_603:                             ;   in Loop: Header=BB14_17 Depth=1
	s_or_b32 exec_lo, exec_lo, s28
.LBB14_604:                             ;   in Loop: Header=BB14_17 Depth=1
	s_delay_alu instid0(SALU_CYCLE_1) | instskip(NEXT) | instid1(SALU_CYCLE_1)
	s_or_b32 exec_lo, exec_lo, s26
	s_or_b32 s24, s24, exec_lo
.LBB14_605:                             ;   in Loop: Header=BB14_17 Depth=1
	s_or_b32 exec_lo, exec_lo, s25
	s_delay_alu instid0(SALU_CYCLE_1)
	s_and_b32 s24, s24, exec_lo
                                        ; implicit-def: $vgpr16_vgpr17
.LBB14_606:                             ;   in Loop: Header=BB14_17 Depth=1
	s_and_not1_saveexec_b32 s21, s21
	s_cbranch_execz .LBB14_632
; %bb.607:                              ;   in Loop: Header=BB14_17 Depth=1
	s_mov_b32 s26, s24
	s_mov_b32 s25, exec_lo
                                        ; implicit-def: $vgpr14
	v_cmpx_lt_i16_e32 22, v7
	s_xor_b32 s25, exec_lo, s25
	s_cbranch_execz .LBB14_621
; %bb.608:                              ;   in Loop: Header=BB14_17 Depth=1
	s_mov_b32 s26, exec_lo
                                        ; implicit-def: $vgpr14
	v_cmpx_lt_i16_e32 23, v7
	s_xor_b32 s26, exec_lo, s26
	s_cbranch_execz .LBB14_618
; %bb.609:                              ;   in Loop: Header=BB14_17 Depth=1
	;; [unrolled: 6-line block ×3, first 2 shown]
	flat_load_u8 v16, v[16:17]
	s_mov_b32 s28, 0
	s_mov_b32 s29, exec_lo
	s_wait_loadcnt_dscnt 0x0
	v_cmpx_lt_i16_e32 0x7f, v16
	s_xor_b32 s29, exec_lo, s29
	s_cbranch_execnz .LBB14_2774
; %bb.611:                              ;   in Loop: Header=BB14_17 Depth=1
	s_or_saveexec_b32 s29, s29
	v_mov_b32_e32 v14, 0x7f800001
	s_xor_b32 exec_lo, exec_lo, s29
	s_cbranch_execnz .LBB14_2777
.LBB14_612:                             ;   in Loop: Header=BB14_17 Depth=1
	s_or_b32 exec_lo, exec_lo, s29
	s_and_saveexec_b32 s29, s28
	s_cbranch_execz .LBB14_614
.LBB14_613:                             ;   in Loop: Header=BB14_17 Depth=1
	v_and_b32_e32 v14, 0xffff, v16
	s_delay_alu instid0(VALU_DEP_1) | instskip(SKIP_1) | instid1(VALU_DEP_2)
	v_and_b32_e32 v17, 3, v14
	v_bfe_u32 v22, v14, 2, 5
	v_clz_i32_u32_e32 v20, v17
	s_delay_alu instid0(VALU_DEP_2) | instskip(NEXT) | instid1(VALU_DEP_2)
	v_cmp_eq_u32_e32 vcc_lo, 0, v22
	v_min_u32_e32 v20, 32, v20
	s_delay_alu instid0(VALU_DEP_1) | instskip(NEXT) | instid1(VALU_DEP_1)
	v_subrev_nc_u32_e32 v21, 29, v20
	v_dual_lshlrev_b32 v14, v21, v14 :: v_dual_sub_nc_u32 v20, 30, v20
	s_delay_alu instid0(VALU_DEP_1) | instskip(NEXT) | instid1(VALU_DEP_1)
	v_dual_lshlrev_b32 v16, 24, v16 :: v_dual_bitop2_b32 v14, 3, v14 bitop3:0x40
	v_dual_cndmask_b32 v14, v17, v14, vcc_lo :: v_dual_cndmask_b32 v20, v22, v20, vcc_lo
	s_delay_alu instid0(VALU_DEP_2) | instskip(NEXT) | instid1(VALU_DEP_2)
	v_and_b32_e32 v16, 0x80000000, v16
	v_lshlrev_b32_e32 v14, 21, v14
	s_delay_alu instid0(VALU_DEP_3) | instskip(NEXT) | instid1(VALU_DEP_1)
	v_lshl_add_u32 v17, v20, 23, 0x37800000
	v_or3_b32 v14, v16, v17, v14
.LBB14_614:                             ;   in Loop: Header=BB14_17 Depth=1
	s_or_b32 exec_lo, exec_lo, s29
                                        ; implicit-def: $vgpr16_vgpr17
.LBB14_615:                             ;   in Loop: Header=BB14_17 Depth=1
	s_and_not1_saveexec_b32 s27, s27
	s_cbranch_execz .LBB14_617
; %bb.616:                              ;   in Loop: Header=BB14_17 Depth=1
	flat_load_u8 v14, v[16:17]
	s_wait_loadcnt_dscnt 0x0
	v_lshlrev_b32_e32 v14, 24, v14
	s_wait_xcnt 0x0
	s_delay_alu instid0(VALU_DEP_1) | instskip(NEXT) | instid1(VALU_DEP_1)
	v_and_b32_e32 v16, 0x7f000000, v14
	v_clz_i32_u32_e32 v17, v16
	v_cmp_ne_u32_e32 vcc_lo, 0, v16
	v_add_nc_u32_e32 v21, 0x1000000, v16
	s_delay_alu instid0(VALU_DEP_3) | instskip(NEXT) | instid1(VALU_DEP_1)
	v_min_u32_e32 v17, 32, v17
	v_sub_nc_u32_e64 v17, v17, 4 clamp
	s_delay_alu instid0(VALU_DEP_1) | instskip(NEXT) | instid1(VALU_DEP_1)
	v_dual_lshlrev_b32 v20, v17, v16 :: v_dual_lshlrev_b32 v17, 23, v17
	v_lshrrev_b32_e32 v20, 4, v20
	s_delay_alu instid0(VALU_DEP_1) | instskip(SKIP_1) | instid1(VALU_DEP_2)
	v_sub_nc_u32_e32 v17, v20, v17
	v_ashrrev_i32_e32 v20, 8, v21
	v_add_nc_u32_e32 v17, 0x3c000000, v17
	s_delay_alu instid0(VALU_DEP_1) | instskip(NEXT) | instid1(VALU_DEP_1)
	v_and_or_b32 v17, 0x7f800000, v20, v17
	v_cndmask_b32_e32 v16, 0, v17, vcc_lo
	s_delay_alu instid0(VALU_DEP_1)
	v_and_or_b32 v14, 0x80000000, v14, v16
.LBB14_617:                             ;   in Loop: Header=BB14_17 Depth=1
	s_or_b32 exec_lo, exec_lo, s27
                                        ; implicit-def: $vgpr16_vgpr17
.LBB14_618:                             ;   in Loop: Header=BB14_17 Depth=1
	s_and_not1_saveexec_b32 s26, s26
	s_cbranch_execz .LBB14_620
; %bb.619:                              ;   in Loop: Header=BB14_17 Depth=1
	flat_load_u8 v14, v[16:17]
	s_wait_loadcnt_dscnt 0x0
	v_lshlrev_b32_e32 v16, 25, v14
	v_lshlrev_b16 v14, 8, v14
	s_delay_alu instid0(VALU_DEP_1) | instskip(SKIP_1) | instid1(VALU_DEP_2)
	v_and_or_b32 v20, 0x7f00, v14, 0.5
	v_bfe_i32 v14, v14, 0, 16
	v_add_f32_e32 v20, -0.5, v20
	v_lshrrev_b32_e32 v17, 4, v16
	v_cmp_gt_u32_e32 vcc_lo, 0x8000000, v16
	s_delay_alu instid0(VALU_DEP_2) | instskip(NEXT) | instid1(VALU_DEP_1)
	v_or_b32_e32 v17, 0x70000000, v17
	v_mul_f32_e32 v17, 0x7800000, v17
	s_delay_alu instid0(VALU_DEP_1) | instskip(NEXT) | instid1(VALU_DEP_1)
	v_cndmask_b32_e32 v16, v17, v20, vcc_lo
	v_and_or_b32 v14, 0x80000000, v14, v16
.LBB14_620:                             ;   in Loop: Header=BB14_17 Depth=1
	s_or_b32 exec_lo, exec_lo, s26
	s_delay_alu instid0(SALU_CYCLE_1)
	s_or_b32 s26, s24, exec_lo
                                        ; implicit-def: $vgpr16_vgpr17
.LBB14_621:                             ;   in Loop: Header=BB14_17 Depth=1
	s_and_not1_saveexec_b32 s25, s25
	s_cbranch_execz .LBB14_631
; %bb.622:                              ;   in Loop: Header=BB14_17 Depth=1
	s_mov_b32 s27, s26
	s_mov_b32 s28, exec_lo
                                        ; implicit-def: $vgpr14
	v_cmpx_lt_i16_e32 14, v7
	s_xor_b32 s28, exec_lo, s28
	s_cbranch_execz .LBB14_626
; %bb.623:                              ;   in Loop: Header=BB14_17 Depth=1
	s_mov_b32 s27, s26
	s_mov_b32 s29, exec_lo
                                        ; implicit-def: $vgpr14
	v_cmpx_eq_u16_e32 15, v7
	s_cbranch_execz .LBB14_625
; %bb.624:                              ;   in Loop: Header=BB14_17 Depth=1
	flat_load_u16 v14, v[16:17]
	s_or_b32 s27, s26, exec_lo
	s_wait_loadcnt_dscnt 0x0
	v_lshlrev_b32_e32 v14, 16, v14
.LBB14_625:                             ;   in Loop: Header=BB14_17 Depth=1
	s_wait_xcnt 0x0
	s_or_b32 exec_lo, exec_lo, s29
	s_delay_alu instid0(SALU_CYCLE_1) | instskip(SKIP_1) | instid1(SALU_CYCLE_1)
	s_and_not1_b32 s29, s26, exec_lo
	s_and_b32 s27, s27, exec_lo
                                        ; implicit-def: $vgpr16_vgpr17
	s_or_b32 s27, s29, s27
.LBB14_626:                             ;   in Loop: Header=BB14_17 Depth=1
	s_and_not1_saveexec_b32 s28, s28
	s_cbranch_execz .LBB14_630
; %bb.627:                              ;   in Loop: Header=BB14_17 Depth=1
	s_mov_b32 s29, s27
	s_mov_b32 s40, exec_lo
                                        ; implicit-def: $vgpr14
	v_cmpx_eq_u16_e32 11, v7
	s_cbranch_execz .LBB14_629
; %bb.628:                              ;   in Loop: Header=BB14_17 Depth=1
	flat_load_u8 v14, v[16:17]
	s_or_b32 s29, s27, exec_lo
	s_wait_loadcnt_dscnt 0x0
	v_cmp_ne_u16_e32 vcc_lo, 0, v14
	v_cndmask_b32_e64 v14, 0, 1.0, vcc_lo
.LBB14_629:                             ;   in Loop: Header=BB14_17 Depth=1
	s_wait_xcnt 0x0
	s_or_b32 exec_lo, exec_lo, s40
	s_delay_alu instid0(SALU_CYCLE_1) | instskip(SKIP_1) | instid1(SALU_CYCLE_1)
	s_and_not1_b32 s27, s27, exec_lo
	s_and_b32 s29, s29, exec_lo
	s_or_b32 s27, s27, s29
.LBB14_630:                             ;   in Loop: Header=BB14_17 Depth=1
	s_or_b32 exec_lo, exec_lo, s28
	s_delay_alu instid0(SALU_CYCLE_1) | instskip(SKIP_1) | instid1(SALU_CYCLE_1)
	s_and_not1_b32 s26, s26, exec_lo
	s_and_b32 s27, s27, exec_lo
	s_or_b32 s26, s26, s27
.LBB14_631:                             ;   in Loop: Header=BB14_17 Depth=1
	s_or_b32 exec_lo, exec_lo, s25
	s_delay_alu instid0(SALU_CYCLE_1) | instskip(SKIP_1) | instid1(SALU_CYCLE_1)
	s_and_not1_b32 s24, s24, exec_lo
	s_and_b32 s25, s26, exec_lo
	s_or_b32 s24, s24, s25
.LBB14_632:                             ;   in Loop: Header=BB14_17 Depth=1
	s_or_b32 exec_lo, exec_lo, s21
	s_delay_alu instid0(SALU_CYCLE_1)
	s_and_b32 s25, s24, exec_lo
                                        ; implicit-def: $vgpr16_vgpr17
.LBB14_633:                             ;   in Loop: Header=BB14_17 Depth=1
	s_and_not1_saveexec_b32 s20, s20
	s_cbranch_execz .LBB14_675
; %bb.634:                              ;   in Loop: Header=BB14_17 Depth=1
	s_mov_b32 s21, exec_lo
                                        ; implicit-def: $vgpr14
	v_cmpx_lt_i16_e32 4, v7
	s_xor_b32 s21, exec_lo, s21
	s_cbranch_execz .LBB14_656
; %bb.635:                              ;   in Loop: Header=BB14_17 Depth=1
	s_mov_b32 s24, exec_lo
                                        ; implicit-def: $vgpr14
	v_cmpx_lt_i16_e32 7, v7
	s_xor_b32 s24, exec_lo, s24
	;; [unrolled: 6-line block ×4, first 2 shown]
	s_cbranch_execz .LBB14_639
; %bb.638:                              ;   in Loop: Header=BB14_17 Depth=1
	flat_load_b64 v[16:17], v[16:17]
	s_wait_loadcnt_dscnt 0x0
	v_cvt_f32_f64_e32 v14, v[16:17]
                                        ; implicit-def: $vgpr16_vgpr17
.LBB14_639:                             ;   in Loop: Header=BB14_17 Depth=1
	s_wait_xcnt 0x0
	s_and_not1_saveexec_b32 s27, s27
	s_cbranch_execz .LBB14_641
; %bb.640:                              ;   in Loop: Header=BB14_17 Depth=1
	flat_load_b32 v14, v[16:17]
.LBB14_641:                             ;   in Loop: Header=BB14_17 Depth=1
	s_wait_xcnt 0x0
	s_or_b32 exec_lo, exec_lo, s27
                                        ; implicit-def: $vgpr16_vgpr17
.LBB14_642:                             ;   in Loop: Header=BB14_17 Depth=1
	s_and_not1_saveexec_b32 s26, s26
	s_cbranch_execz .LBB14_644
; %bb.643:                              ;   in Loop: Header=BB14_17 Depth=1
	s_wait_loadcnt_dscnt 0x0
	flat_load_b32 v14, v[16:17]
	s_wait_loadcnt_dscnt 0x0
	v_cvt_f32_f16_e32 v14, v14
.LBB14_644:                             ;   in Loop: Header=BB14_17 Depth=1
	s_wait_xcnt 0x0
	s_or_b32 exec_lo, exec_lo, s26
                                        ; implicit-def: $vgpr16_vgpr17
.LBB14_645:                             ;   in Loop: Header=BB14_17 Depth=1
	s_and_not1_saveexec_b32 s24, s24
	s_cbranch_execz .LBB14_655
; %bb.646:                              ;   in Loop: Header=BB14_17 Depth=1
	s_mov_b32 s26, exec_lo
                                        ; implicit-def: $vgpr14
	v_cmpx_lt_i16_e32 5, v7
	s_xor_b32 s26, exec_lo, s26
	s_cbranch_execz .LBB14_652
; %bb.647:                              ;   in Loop: Header=BB14_17 Depth=1
	s_mov_b32 s27, exec_lo
                                        ; implicit-def: $vgpr14
	v_cmpx_lt_i16_e32 6, v7
	s_xor_b32 s27, exec_lo, s27
	s_cbranch_execz .LBB14_649
; %bb.648:                              ;   in Loop: Header=BB14_17 Depth=1
	flat_load_b64 v[16:17], v[16:17]
	s_wait_loadcnt_dscnt 0x0
	v_cvt_f32_f64_e32 v14, v[16:17]
                                        ; implicit-def: $vgpr16_vgpr17
.LBB14_649:                             ;   in Loop: Header=BB14_17 Depth=1
	s_wait_xcnt 0x0
	s_and_not1_saveexec_b32 s27, s27
	s_cbranch_execz .LBB14_651
; %bb.650:                              ;   in Loop: Header=BB14_17 Depth=1
	s_wait_loadcnt_dscnt 0x0
	flat_load_b32 v14, v[16:17]
.LBB14_651:                             ;   in Loop: Header=BB14_17 Depth=1
	s_wait_xcnt 0x0
	s_or_b32 exec_lo, exec_lo, s27
                                        ; implicit-def: $vgpr16_vgpr17
.LBB14_652:                             ;   in Loop: Header=BB14_17 Depth=1
	s_and_not1_saveexec_b32 s26, s26
	s_cbranch_execz .LBB14_654
; %bb.653:                              ;   in Loop: Header=BB14_17 Depth=1
	s_wait_loadcnt_dscnt 0x0
	flat_load_u16 v14, v[16:17]
	s_wait_loadcnt_dscnt 0x0
	v_cvt_f32_f16_e32 v14, v14
.LBB14_654:                             ;   in Loop: Header=BB14_17 Depth=1
	s_wait_xcnt 0x0
	s_or_b32 exec_lo, exec_lo, s26
.LBB14_655:                             ;   in Loop: Header=BB14_17 Depth=1
	s_delay_alu instid0(SALU_CYCLE_1)
	s_or_b32 exec_lo, exec_lo, s24
                                        ; implicit-def: $vgpr16_vgpr17
.LBB14_656:                             ;   in Loop: Header=BB14_17 Depth=1
	s_and_not1_saveexec_b32 s21, s21
	s_cbranch_execz .LBB14_674
; %bb.657:                              ;   in Loop: Header=BB14_17 Depth=1
	s_mov_b32 s24, exec_lo
                                        ; implicit-def: $vgpr14
	v_cmpx_lt_i16_e32 1, v7
	s_xor_b32 s24, exec_lo, s24
	s_cbranch_execz .LBB14_667
; %bb.658:                              ;   in Loop: Header=BB14_17 Depth=1
	s_mov_b32 s26, exec_lo
                                        ; implicit-def: $vgpr14
	v_cmpx_lt_i16_e32 2, v7
	s_xor_b32 s26, exec_lo, s26
	;; [unrolled: 6-line block ×3, first 2 shown]
	s_cbranch_execz .LBB14_661
; %bb.660:                              ;   in Loop: Header=BB14_17 Depth=1
	flat_load_b64 v[16:17], v[16:17]
	s_wait_loadcnt_dscnt 0x0
	v_xor_b32_e32 v14, v16, v17
	v_cls_i32_e32 v20, v17
	s_delay_alu instid0(VALU_DEP_2) | instskip(NEXT) | instid1(VALU_DEP_1)
	v_ashrrev_i32_e32 v14, 31, v14
	v_add_nc_u32_e32 v14, 32, v14
	s_delay_alu instid0(VALU_DEP_1) | instskip(SKIP_1) | instid1(VALU_DEP_1)
	v_add_min_u32_e64 v14, v20, -1, v14
	s_wait_xcnt 0x0
	v_lshlrev_b64_e32 v[16:17], v14, v[16:17]
	v_sub_nc_u32_e32 v14, 32, v14
	s_delay_alu instid0(VALU_DEP_2) | instskip(NEXT) | instid1(VALU_DEP_1)
	v_min_u32_e32 v16, 1, v16
	v_or_b32_e32 v16, v17, v16
	s_delay_alu instid0(VALU_DEP_1) | instskip(NEXT) | instid1(VALU_DEP_1)
	v_cvt_f32_i32_e32 v16, v16
	v_ldexp_f32 v14, v16, v14
                                        ; implicit-def: $vgpr16_vgpr17
.LBB14_661:                             ;   in Loop: Header=BB14_17 Depth=1
	s_and_not1_saveexec_b32 s27, s27
	s_cbranch_execz .LBB14_663
; %bb.662:                              ;   in Loop: Header=BB14_17 Depth=1
	s_wait_loadcnt_dscnt 0x0
	flat_load_b32 v14, v[16:17]
	s_wait_loadcnt_dscnt 0x0
	v_cvt_f32_i32_e32 v14, v14
.LBB14_663:                             ;   in Loop: Header=BB14_17 Depth=1
	s_wait_xcnt 0x0
	s_or_b32 exec_lo, exec_lo, s27
                                        ; implicit-def: $vgpr16_vgpr17
.LBB14_664:                             ;   in Loop: Header=BB14_17 Depth=1
	s_and_not1_saveexec_b32 s26, s26
	s_cbranch_execz .LBB14_666
; %bb.665:                              ;   in Loop: Header=BB14_17 Depth=1
	s_wait_loadcnt_dscnt 0x0
	flat_load_i16 v14, v[16:17]
	s_wait_loadcnt_dscnt 0x0
	v_cvt_f32_i32_e32 v14, v14
.LBB14_666:                             ;   in Loop: Header=BB14_17 Depth=1
	s_wait_xcnt 0x0
	s_or_b32 exec_lo, exec_lo, s26
                                        ; implicit-def: $vgpr16_vgpr17
.LBB14_667:                             ;   in Loop: Header=BB14_17 Depth=1
	s_and_not1_saveexec_b32 s24, s24
	s_cbranch_execz .LBB14_673
; %bb.668:                              ;   in Loop: Header=BB14_17 Depth=1
	s_mov_b32 s26, exec_lo
                                        ; implicit-def: $vgpr14
	v_cmpx_lt_i16_e32 0, v7
	s_xor_b32 s26, exec_lo, s26
	s_cbranch_execz .LBB14_670
; %bb.669:                              ;   in Loop: Header=BB14_17 Depth=1
	s_wait_loadcnt_dscnt 0x0
	flat_load_i8 v14, v[16:17]
                                        ; implicit-def: $vgpr16_vgpr17
	s_wait_loadcnt_dscnt 0x0
	v_cvt_f32_i32_e32 v14, v14
.LBB14_670:                             ;   in Loop: Header=BB14_17 Depth=1
	s_wait_xcnt 0x0
	s_and_not1_saveexec_b32 s26, s26
	s_cbranch_execz .LBB14_672
; %bb.671:                              ;   in Loop: Header=BB14_17 Depth=1
	s_wait_loadcnt_dscnt 0x0
	flat_load_u8 v14, v[16:17]
	s_wait_loadcnt_dscnt 0x0
	v_cvt_f32_ubyte0_e32 v14, v14
.LBB14_672:                             ;   in Loop: Header=BB14_17 Depth=1
	s_wait_xcnt 0x0
	s_or_b32 exec_lo, exec_lo, s26
.LBB14_673:                             ;   in Loop: Header=BB14_17 Depth=1
	s_delay_alu instid0(SALU_CYCLE_1)
	s_or_b32 exec_lo, exec_lo, s24
.LBB14_674:                             ;   in Loop: Header=BB14_17 Depth=1
	s_delay_alu instid0(SALU_CYCLE_1) | instskip(NEXT) | instid1(SALU_CYCLE_1)
	s_or_b32 exec_lo, exec_lo, s21
	s_or_b32 s25, s25, exec_lo
.LBB14_675:                             ;   in Loop: Header=BB14_17 Depth=1
	s_or_b32 exec_lo, exec_lo, s20
	s_mov_b32 s20, -1
	s_mov_b32 s26, 0
	s_mov_b32 s21, 0
	s_and_saveexec_b32 s24, s25
	s_cbranch_execz .LBB14_681
; %bb.676:                              ;   in Loop: Header=BB14_17 Depth=1
	s_add_co_i32 s20, s32, s1
	s_mov_b32 s25, 0
	s_wait_loadcnt_dscnt 0x0
	scratch_store_b32 off, v14, s20 offset:44
	s_wait_xcnt 0x0
	v_mul_lo_u32 v14, v19, v10
	v_and_b32_e32 v19, 0xff, v8
	s_mov_b32 s21, exec_lo
	s_delay_alu instid0(VALU_DEP_2) | instskip(NEXT) | instid1(VALU_DEP_2)
	v_add_nc_u64_e32 v[16:17], v[4:5], v[14:15]
                                        ; implicit-def: $vgpr14
	v_cmpx_lt_i16_e32 10, v19
	s_xor_b32 s21, exec_lo, s21
	s_cbranch_execnz .LBB14_2318
; %bb.677:                              ;   in Loop: Header=BB14_17 Depth=1
	s_and_not1_saveexec_b32 s21, s21
	s_cbranch_execnz .LBB14_2377
.LBB14_678:                             ;   in Loop: Header=BB14_17 Depth=1
	s_or_b32 exec_lo, exec_lo, s21
	s_mov_b32 s26, 0
	s_and_saveexec_b32 s21, s25
	s_cbranch_execz .LBB14_680
.LBB14_679:                             ;   in Loop: Header=BB14_17 Depth=1
	v_add_nc_u32_e32 v18, 0x200, v18
	s_mov_b32 s26, exec_lo
	s_wait_loadcnt_dscnt 0x0
	scratch_store_b32 off, v14, s20 offset:40
.LBB14_680:                             ;   in Loop: Header=BB14_17 Depth=1
	s_wait_xcnt 0x0
	s_or_b32 exec_lo, exec_lo, s21
	s_delay_alu instid0(SALU_CYCLE_1)
	s_mov_b32 s21, exec_lo
	s_xor_b32 s20, exec_lo, -1
	s_and_b32 s26, s26, exec_lo
.LBB14_681:                             ;   in Loop: Header=BB14_17 Depth=1
	s_or_b32 exec_lo, exec_lo, s24
	s_delay_alu instid0(SALU_CYCLE_1)
	s_or_not1_b32 s24, s26, exec_lo
.LBB14_682:                             ;   in Loop: Header=BB14_17 Depth=1
	s_or_b32 exec_lo, exec_lo, s22
	s_and_saveexec_b32 s22, s24
	s_cbranch_execz .LBB14_11
; %bb.683:                              ;   in Loop: Header=BB14_17 Depth=1
	s_mov_b32 s26, -1
	s_mov_b32 s27, -1
	s_mov_b32 s25, exec_lo
                                        ; implicit-def: $sgpr23
                                        ; implicit-def: $sgpr24
	v_cmpx_lt_i32_e64 v18, v6
	s_cbranch_execz .LBB14_793
; %bb.684:                              ;   in Loop: Header=BB14_17 Depth=1
	v_add_nc_u32_e32 v19, s2, v18
	s_mov_b32 s28, 0
	s_mov_b32 s23, exec_lo
	s_wait_loadcnt_dscnt 0x0
	s_delay_alu instid0(VALU_DEP_1) | instskip(NEXT) | instid1(VALU_DEP_1)
	v_mul_lo_u32 v14, v19, v9
	v_add_nc_u64_e32 v[16:17], v[2:3], v[14:15]
                                        ; implicit-def: $vgpr14
	v_cmpx_lt_i16_e32 10, v7
	s_xor_b32 s23, exec_lo, s23
	s_cbranch_execz .LBB14_744
; %bb.685:                              ;   in Loop: Header=BB14_17 Depth=1
	s_mov_b32 s27, 0
	s_mov_b32 s24, exec_lo
                                        ; implicit-def: $vgpr14
	v_cmpx_lt_i16_e32 25, v7
	s_xor_b32 s24, exec_lo, s24
	s_cbranch_execz .LBB14_717
; %bb.686:                              ;   in Loop: Header=BB14_17 Depth=1
	s_mov_b32 s28, exec_lo
                                        ; implicit-def: $vgpr14
	v_cmpx_lt_i16_e32 28, v7
	s_xor_b32 s28, exec_lo, s28
	s_cbranch_execz .LBB14_702
; %bb.687:                              ;   in Loop: Header=BB14_17 Depth=1
	s_mov_b32 s29, 0
	s_mov_b32 s27, exec_lo
                                        ; implicit-def: $vgpr14
	v_cmpx_lt_i16_e32 43, v7
	s_xor_b32 s27, exec_lo, s27
	s_cbranch_execz .LBB14_697
; %bb.688:                              ;   in Loop: Header=BB14_17 Depth=1
	s_mov_b32 s40, exec_lo
                                        ; implicit-def: $vgpr14
	v_cmpx_lt_i16_e32 45, v7
	s_xor_b32 s40, exec_lo, s40
	s_cbranch_execz .LBB14_692
; %bb.689:                              ;   in Loop: Header=BB14_17 Depth=1
	s_mov_b32 s41, exec_lo
                                        ; implicit-def: $vgpr14
	v_cmpx_eq_u16_e32 46, v7
	s_cbranch_execz .LBB14_691
; %bb.690:                              ;   in Loop: Header=BB14_17 Depth=1
	flat_load_b32 v14, v[16:17]
	s_mov_b32 s29, exec_lo
	s_wait_loadcnt_dscnt 0x0
	v_lshlrev_b32_e32 v14, 16, v14
.LBB14_691:                             ;   in Loop: Header=BB14_17 Depth=1
	s_wait_xcnt 0x0
	s_or_b32 exec_lo, exec_lo, s41
	s_delay_alu instid0(SALU_CYCLE_1)
	s_and_b32 s29, s29, exec_lo
                                        ; implicit-def: $vgpr16_vgpr17
.LBB14_692:                             ;   in Loop: Header=BB14_17 Depth=1
	s_and_not1_saveexec_b32 s40, s40
	s_cbranch_execz .LBB14_696
; %bb.693:                              ;   in Loop: Header=BB14_17 Depth=1
	s_mov_b32 s42, s29
	s_mov_b32 s41, exec_lo
                                        ; implicit-def: $vgpr14
	v_cmpx_eq_u16_e32 44, v7
	s_cbranch_execz .LBB14_695
; %bb.694:                              ;   in Loop: Header=BB14_17 Depth=1
	flat_load_u8 v14, v[16:17]
	s_or_b32 s42, s29, exec_lo
	s_wait_loadcnt_dscnt 0x0
	v_lshlrev_b32_e32 v16, 23, v14
	v_cmp_ne_u32_e32 vcc_lo, 0xff, v14
	s_delay_alu instid0(VALU_DEP_2) | instskip(SKIP_1) | instid1(VALU_DEP_2)
	v_cndmask_b32_e32 v16, 0x7f800001, v16, vcc_lo
	v_cmp_ne_u32_e32 vcc_lo, 0, v14
	v_cndmask_b32_e32 v14, 0x400000, v16, vcc_lo
.LBB14_695:                             ;   in Loop: Header=BB14_17 Depth=1
	s_or_b32 exec_lo, exec_lo, s41
	s_delay_alu instid0(SALU_CYCLE_1) | instskip(SKIP_1) | instid1(SALU_CYCLE_1)
	s_and_not1_b32 s29, s29, exec_lo
	s_and_b32 s41, s42, exec_lo
	s_or_b32 s29, s29, s41
.LBB14_696:                             ;   in Loop: Header=BB14_17 Depth=1
	s_or_b32 exec_lo, exec_lo, s40
	s_delay_alu instid0(SALU_CYCLE_1)
	s_and_b32 s29, s29, exec_lo
                                        ; implicit-def: $vgpr16_vgpr17
.LBB14_697:                             ;   in Loop: Header=BB14_17 Depth=1
	s_and_not1_saveexec_b32 s27, s27
	s_cbranch_execz .LBB14_701
; %bb.698:                              ;   in Loop: Header=BB14_17 Depth=1
	s_mov_b32 s41, s29
	s_mov_b32 s40, exec_lo
                                        ; implicit-def: $vgpr14
	v_cmpx_eq_u16_e32 29, v7
	s_cbranch_execz .LBB14_700
; %bb.699:                              ;   in Loop: Header=BB14_17 Depth=1
	flat_load_b64 v[16:17], v[16:17]
	s_or_b32 s41, s29, exec_lo
	s_wait_loadcnt_dscnt 0x0
	v_clz_i32_u32_e32 v14, v17
	s_delay_alu instid0(VALU_DEP_1) | instskip(SKIP_1) | instid1(VALU_DEP_1)
	v_min_u32_e32 v14, 32, v14
	s_wait_xcnt 0x0
	v_lshlrev_b64_e32 v[16:17], v14, v[16:17]
	v_sub_nc_u32_e32 v14, 32, v14
	s_delay_alu instid0(VALU_DEP_2) | instskip(NEXT) | instid1(VALU_DEP_1)
	v_min_u32_e32 v16, 1, v16
	v_or_b32_e32 v16, v17, v16
	s_delay_alu instid0(VALU_DEP_1) | instskip(NEXT) | instid1(VALU_DEP_1)
	v_cvt_f32_u32_e32 v16, v16
	v_ldexp_f32 v14, v16, v14
.LBB14_700:                             ;   in Loop: Header=BB14_17 Depth=1
	s_or_b32 exec_lo, exec_lo, s40
	s_delay_alu instid0(SALU_CYCLE_1) | instskip(SKIP_1) | instid1(SALU_CYCLE_1)
	s_and_not1_b32 s29, s29, exec_lo
	s_and_b32 s40, s41, exec_lo
	s_or_b32 s29, s29, s40
.LBB14_701:                             ;   in Loop: Header=BB14_17 Depth=1
	s_or_b32 exec_lo, exec_lo, s27
	s_delay_alu instid0(SALU_CYCLE_1)
	s_and_b32 s27, s29, exec_lo
                                        ; implicit-def: $vgpr16_vgpr17
.LBB14_702:                             ;   in Loop: Header=BB14_17 Depth=1
	s_and_not1_saveexec_b32 s28, s28
	s_cbranch_execz .LBB14_716
; %bb.703:                              ;   in Loop: Header=BB14_17 Depth=1
	s_mov_b32 s29, exec_lo
                                        ; implicit-def: $vgpr14
	v_cmpx_lt_i16_e32 26, v7
	s_xor_b32 s29, exec_lo, s29
	s_cbranch_execz .LBB14_709
; %bb.704:                              ;   in Loop: Header=BB14_17 Depth=1
	s_mov_b32 s40, exec_lo
                                        ; implicit-def: $vgpr14
	v_cmpx_lt_i16_e32 27, v7
	s_xor_b32 s40, exec_lo, s40
	s_cbranch_execz .LBB14_706
; %bb.705:                              ;   in Loop: Header=BB14_17 Depth=1
	flat_load_b32 v14, v[16:17]
                                        ; implicit-def: $vgpr16_vgpr17
	s_wait_loadcnt_dscnt 0x0
	v_cvt_f32_u32_e32 v14, v14
.LBB14_706:                             ;   in Loop: Header=BB14_17 Depth=1
	s_wait_xcnt 0x0
	s_and_not1_saveexec_b32 s40, s40
	s_cbranch_execz .LBB14_708
; %bb.707:                              ;   in Loop: Header=BB14_17 Depth=1
	flat_load_u16 v14, v[16:17]
	s_wait_loadcnt_dscnt 0x0
	v_cvt_f32_u32_e32 v14, v14
.LBB14_708:                             ;   in Loop: Header=BB14_17 Depth=1
	s_wait_xcnt 0x0
	s_or_b32 exec_lo, exec_lo, s40
                                        ; implicit-def: $vgpr16_vgpr17
.LBB14_709:                             ;   in Loop: Header=BB14_17 Depth=1
	s_and_not1_saveexec_b32 s29, s29
	s_cbranch_execz .LBB14_715
; %bb.710:                              ;   in Loop: Header=BB14_17 Depth=1
	flat_load_u8 v16, v[16:17]
	s_mov_b32 s40, 0
	s_mov_b32 s41, exec_lo
	s_wait_loadcnt_dscnt 0x0
	v_cmpx_lt_i16_e32 0x7f, v16
	s_xor_b32 s41, exec_lo, s41
	s_cbranch_execnz .LBB14_2778
; %bb.711:                              ;   in Loop: Header=BB14_17 Depth=1
	s_or_saveexec_b32 s41, s41
	v_mov_b32_e32 v14, 0x7f800001
	s_xor_b32 exec_lo, exec_lo, s41
	s_cbranch_execnz .LBB14_2781
.LBB14_712:                             ;   in Loop: Header=BB14_17 Depth=1
	s_or_b32 exec_lo, exec_lo, s41
	s_and_saveexec_b32 s41, s40
	s_cbranch_execz .LBB14_714
.LBB14_713:                             ;   in Loop: Header=BB14_17 Depth=1
	v_and_b32_e32 v14, 0xffff, v16
	s_delay_alu instid0(VALU_DEP_1) | instskip(SKIP_1) | instid1(VALU_DEP_2)
	v_and_b32_e32 v17, 7, v14
	v_bfe_u32 v22, v14, 3, 4
	v_clz_i32_u32_e32 v20, v17
	s_delay_alu instid0(VALU_DEP_2) | instskip(NEXT) | instid1(VALU_DEP_2)
	v_cmp_eq_u32_e32 vcc_lo, 0, v22
	v_min_u32_e32 v20, 32, v20
	s_delay_alu instid0(VALU_DEP_1) | instskip(NEXT) | instid1(VALU_DEP_1)
	v_subrev_nc_u32_e32 v21, 28, v20
	v_dual_lshlrev_b32 v14, v21, v14 :: v_dual_sub_nc_u32 v20, 29, v20
	s_delay_alu instid0(VALU_DEP_1) | instskip(NEXT) | instid1(VALU_DEP_1)
	v_dual_lshlrev_b32 v16, 24, v16 :: v_dual_bitop2_b32 v14, 7, v14 bitop3:0x40
	v_dual_cndmask_b32 v14, v17, v14, vcc_lo :: v_dual_cndmask_b32 v20, v22, v20, vcc_lo
	s_delay_alu instid0(VALU_DEP_2) | instskip(NEXT) | instid1(VALU_DEP_2)
	v_and_b32_e32 v16, 0x80000000, v16
	v_lshlrev_b32_e32 v14, 20, v14
	s_delay_alu instid0(VALU_DEP_3) | instskip(NEXT) | instid1(VALU_DEP_1)
	v_lshl_add_u32 v17, v20, 23, 0x3b800000
	v_or3_b32 v14, v16, v17, v14
.LBB14_714:                             ;   in Loop: Header=BB14_17 Depth=1
	s_or_b32 exec_lo, exec_lo, s41
.LBB14_715:                             ;   in Loop: Header=BB14_17 Depth=1
	s_delay_alu instid0(SALU_CYCLE_1) | instskip(NEXT) | instid1(SALU_CYCLE_1)
	s_or_b32 exec_lo, exec_lo, s29
	s_or_b32 s27, s27, exec_lo
.LBB14_716:                             ;   in Loop: Header=BB14_17 Depth=1
	s_or_b32 exec_lo, exec_lo, s28
	s_delay_alu instid0(SALU_CYCLE_1)
	s_and_b32 s27, s27, exec_lo
                                        ; implicit-def: $vgpr16_vgpr17
.LBB14_717:                             ;   in Loop: Header=BB14_17 Depth=1
	s_and_not1_saveexec_b32 s24, s24
	s_cbranch_execz .LBB14_743
; %bb.718:                              ;   in Loop: Header=BB14_17 Depth=1
	s_mov_b32 s29, s27
	s_mov_b32 s28, exec_lo
                                        ; implicit-def: $vgpr14
	v_cmpx_lt_i16_e32 22, v7
	s_xor_b32 s28, exec_lo, s28
	s_cbranch_execz .LBB14_732
; %bb.719:                              ;   in Loop: Header=BB14_17 Depth=1
	s_mov_b32 s29, exec_lo
                                        ; implicit-def: $vgpr14
	v_cmpx_lt_i16_e32 23, v7
	s_xor_b32 s29, exec_lo, s29
	s_cbranch_execz .LBB14_729
; %bb.720:                              ;   in Loop: Header=BB14_17 Depth=1
	;; [unrolled: 6-line block ×3, first 2 shown]
	flat_load_u8 v16, v[16:17]
	s_mov_b32 s41, 0
	s_mov_b32 s42, exec_lo
	s_wait_loadcnt_dscnt 0x0
	v_cmpx_lt_i16_e32 0x7f, v16
	s_xor_b32 s42, exec_lo, s42
	s_cbranch_execnz .LBB14_2890
; %bb.722:                              ;   in Loop: Header=BB14_17 Depth=1
	s_or_saveexec_b32 s42, s42
	v_mov_b32_e32 v14, 0x7f800001
	s_xor_b32 exec_lo, exec_lo, s42
	s_cbranch_execnz .LBB14_2893
.LBB14_723:                             ;   in Loop: Header=BB14_17 Depth=1
	s_or_b32 exec_lo, exec_lo, s42
	s_and_saveexec_b32 s42, s41
	s_cbranch_execz .LBB14_725
.LBB14_724:                             ;   in Loop: Header=BB14_17 Depth=1
	v_and_b32_e32 v14, 0xffff, v16
	s_delay_alu instid0(VALU_DEP_1) | instskip(SKIP_1) | instid1(VALU_DEP_2)
	v_and_b32_e32 v17, 3, v14
	v_bfe_u32 v22, v14, 2, 5
	v_clz_i32_u32_e32 v20, v17
	s_delay_alu instid0(VALU_DEP_2) | instskip(NEXT) | instid1(VALU_DEP_2)
	v_cmp_eq_u32_e32 vcc_lo, 0, v22
	v_min_u32_e32 v20, 32, v20
	s_delay_alu instid0(VALU_DEP_1) | instskip(NEXT) | instid1(VALU_DEP_1)
	v_subrev_nc_u32_e32 v21, 29, v20
	v_dual_lshlrev_b32 v14, v21, v14 :: v_dual_sub_nc_u32 v20, 30, v20
	s_delay_alu instid0(VALU_DEP_1) | instskip(NEXT) | instid1(VALU_DEP_1)
	v_dual_lshlrev_b32 v16, 24, v16 :: v_dual_bitop2_b32 v14, 3, v14 bitop3:0x40
	v_dual_cndmask_b32 v14, v17, v14, vcc_lo :: v_dual_cndmask_b32 v20, v22, v20, vcc_lo
	s_delay_alu instid0(VALU_DEP_2) | instskip(NEXT) | instid1(VALU_DEP_2)
	v_and_b32_e32 v16, 0x80000000, v16
	v_lshlrev_b32_e32 v14, 21, v14
	s_delay_alu instid0(VALU_DEP_3) | instskip(NEXT) | instid1(VALU_DEP_1)
	v_lshl_add_u32 v17, v20, 23, 0x37800000
	v_or3_b32 v14, v16, v17, v14
.LBB14_725:                             ;   in Loop: Header=BB14_17 Depth=1
	s_or_b32 exec_lo, exec_lo, s42
                                        ; implicit-def: $vgpr16_vgpr17
.LBB14_726:                             ;   in Loop: Header=BB14_17 Depth=1
	s_and_not1_saveexec_b32 s40, s40
	s_cbranch_execz .LBB14_728
; %bb.727:                              ;   in Loop: Header=BB14_17 Depth=1
	flat_load_u8 v14, v[16:17]
	s_wait_loadcnt_dscnt 0x0
	v_lshlrev_b32_e32 v14, 24, v14
	s_wait_xcnt 0x0
	s_delay_alu instid0(VALU_DEP_1) | instskip(NEXT) | instid1(VALU_DEP_1)
	v_and_b32_e32 v16, 0x7f000000, v14
	v_clz_i32_u32_e32 v17, v16
	v_cmp_ne_u32_e32 vcc_lo, 0, v16
	v_add_nc_u32_e32 v21, 0x1000000, v16
	s_delay_alu instid0(VALU_DEP_3) | instskip(NEXT) | instid1(VALU_DEP_1)
	v_min_u32_e32 v17, 32, v17
	v_sub_nc_u32_e64 v17, v17, 4 clamp
	s_delay_alu instid0(VALU_DEP_1) | instskip(NEXT) | instid1(VALU_DEP_1)
	v_dual_lshlrev_b32 v20, v17, v16 :: v_dual_lshlrev_b32 v17, 23, v17
	v_lshrrev_b32_e32 v20, 4, v20
	s_delay_alu instid0(VALU_DEP_1) | instskip(SKIP_1) | instid1(VALU_DEP_2)
	v_sub_nc_u32_e32 v17, v20, v17
	v_ashrrev_i32_e32 v20, 8, v21
	v_add_nc_u32_e32 v17, 0x3c000000, v17
	s_delay_alu instid0(VALU_DEP_1) | instskip(NEXT) | instid1(VALU_DEP_1)
	v_and_or_b32 v17, 0x7f800000, v20, v17
	v_cndmask_b32_e32 v16, 0, v17, vcc_lo
	s_delay_alu instid0(VALU_DEP_1)
	v_and_or_b32 v14, 0x80000000, v14, v16
.LBB14_728:                             ;   in Loop: Header=BB14_17 Depth=1
	s_or_b32 exec_lo, exec_lo, s40
                                        ; implicit-def: $vgpr16_vgpr17
.LBB14_729:                             ;   in Loop: Header=BB14_17 Depth=1
	s_and_not1_saveexec_b32 s29, s29
	s_cbranch_execz .LBB14_731
; %bb.730:                              ;   in Loop: Header=BB14_17 Depth=1
	flat_load_u8 v14, v[16:17]
	s_wait_loadcnt_dscnt 0x0
	v_lshlrev_b32_e32 v16, 25, v14
	v_lshlrev_b16 v14, 8, v14
	s_delay_alu instid0(VALU_DEP_1) | instskip(SKIP_1) | instid1(VALU_DEP_2)
	v_and_or_b32 v20, 0x7f00, v14, 0.5
	v_bfe_i32 v14, v14, 0, 16
	v_add_f32_e32 v20, -0.5, v20
	v_lshrrev_b32_e32 v17, 4, v16
	v_cmp_gt_u32_e32 vcc_lo, 0x8000000, v16
	s_delay_alu instid0(VALU_DEP_2) | instskip(NEXT) | instid1(VALU_DEP_1)
	v_or_b32_e32 v17, 0x70000000, v17
	v_mul_f32_e32 v17, 0x7800000, v17
	s_delay_alu instid0(VALU_DEP_1) | instskip(NEXT) | instid1(VALU_DEP_1)
	v_cndmask_b32_e32 v16, v17, v20, vcc_lo
	v_and_or_b32 v14, 0x80000000, v14, v16
.LBB14_731:                             ;   in Loop: Header=BB14_17 Depth=1
	s_or_b32 exec_lo, exec_lo, s29
	s_delay_alu instid0(SALU_CYCLE_1)
	s_or_b32 s29, s27, exec_lo
                                        ; implicit-def: $vgpr16_vgpr17
.LBB14_732:                             ;   in Loop: Header=BB14_17 Depth=1
	s_and_not1_saveexec_b32 s28, s28
	s_cbranch_execz .LBB14_742
; %bb.733:                              ;   in Loop: Header=BB14_17 Depth=1
	s_mov_b32 s40, s29
	s_mov_b32 s41, exec_lo
                                        ; implicit-def: $vgpr14
	v_cmpx_lt_i16_e32 14, v7
	s_xor_b32 s41, exec_lo, s41
	s_cbranch_execz .LBB14_737
; %bb.734:                              ;   in Loop: Header=BB14_17 Depth=1
	s_mov_b32 s40, s29
	s_mov_b32 s42, exec_lo
                                        ; implicit-def: $vgpr14
	v_cmpx_eq_u16_e32 15, v7
	s_cbranch_execz .LBB14_736
; %bb.735:                              ;   in Loop: Header=BB14_17 Depth=1
	flat_load_u16 v14, v[16:17]
	s_or_b32 s40, s29, exec_lo
	s_wait_loadcnt_dscnt 0x0
	v_lshlrev_b32_e32 v14, 16, v14
.LBB14_736:                             ;   in Loop: Header=BB14_17 Depth=1
	s_wait_xcnt 0x0
	s_or_b32 exec_lo, exec_lo, s42
	s_delay_alu instid0(SALU_CYCLE_1) | instskip(SKIP_1) | instid1(SALU_CYCLE_1)
	s_and_not1_b32 s42, s29, exec_lo
	s_and_b32 s40, s40, exec_lo
                                        ; implicit-def: $vgpr16_vgpr17
	s_or_b32 s40, s42, s40
.LBB14_737:                             ;   in Loop: Header=BB14_17 Depth=1
	s_and_not1_saveexec_b32 s41, s41
	s_cbranch_execz .LBB14_741
; %bb.738:                              ;   in Loop: Header=BB14_17 Depth=1
	s_mov_b32 s42, s40
	s_mov_b32 s43, exec_lo
                                        ; implicit-def: $vgpr14
	v_cmpx_eq_u16_e32 11, v7
	s_cbranch_execz .LBB14_740
; %bb.739:                              ;   in Loop: Header=BB14_17 Depth=1
	flat_load_u8 v14, v[16:17]
	s_or_b32 s42, s40, exec_lo
	s_wait_loadcnt_dscnt 0x0
	v_cmp_ne_u16_e32 vcc_lo, 0, v14
	v_cndmask_b32_e64 v14, 0, 1.0, vcc_lo
.LBB14_740:                             ;   in Loop: Header=BB14_17 Depth=1
	s_wait_xcnt 0x0
	s_or_b32 exec_lo, exec_lo, s43
	s_delay_alu instid0(SALU_CYCLE_1) | instskip(SKIP_1) | instid1(SALU_CYCLE_1)
	s_and_not1_b32 s40, s40, exec_lo
	s_and_b32 s42, s42, exec_lo
	s_or_b32 s40, s40, s42
.LBB14_741:                             ;   in Loop: Header=BB14_17 Depth=1
	s_or_b32 exec_lo, exec_lo, s41
	s_delay_alu instid0(SALU_CYCLE_1) | instskip(SKIP_1) | instid1(SALU_CYCLE_1)
	s_and_not1_b32 s29, s29, exec_lo
	s_and_b32 s40, s40, exec_lo
	s_or_b32 s29, s29, s40
.LBB14_742:                             ;   in Loop: Header=BB14_17 Depth=1
	s_or_b32 exec_lo, exec_lo, s28
	s_delay_alu instid0(SALU_CYCLE_1) | instskip(SKIP_1) | instid1(SALU_CYCLE_1)
	s_and_not1_b32 s27, s27, exec_lo
	s_and_b32 s28, s29, exec_lo
	s_or_b32 s27, s27, s28
.LBB14_743:                             ;   in Loop: Header=BB14_17 Depth=1
	s_or_b32 exec_lo, exec_lo, s24
	s_delay_alu instid0(SALU_CYCLE_1)
	s_and_b32 s28, s27, exec_lo
                                        ; implicit-def: $vgpr16_vgpr17
.LBB14_744:                             ;   in Loop: Header=BB14_17 Depth=1
	s_and_not1_saveexec_b32 s23, s23
	s_cbranch_execz .LBB14_786
; %bb.745:                              ;   in Loop: Header=BB14_17 Depth=1
	s_mov_b32 s24, exec_lo
                                        ; implicit-def: $vgpr14
	v_cmpx_lt_i16_e32 4, v7
	s_xor_b32 s24, exec_lo, s24
	s_cbranch_execz .LBB14_767
; %bb.746:                              ;   in Loop: Header=BB14_17 Depth=1
	s_mov_b32 s27, exec_lo
                                        ; implicit-def: $vgpr14
	v_cmpx_lt_i16_e32 7, v7
	s_xor_b32 s27, exec_lo, s27
	;; [unrolled: 6-line block ×4, first 2 shown]
	s_cbranch_execz .LBB14_750
; %bb.749:                              ;   in Loop: Header=BB14_17 Depth=1
	flat_load_b64 v[16:17], v[16:17]
	s_wait_loadcnt_dscnt 0x0
	v_cvt_f32_f64_e32 v14, v[16:17]
                                        ; implicit-def: $vgpr16_vgpr17
.LBB14_750:                             ;   in Loop: Header=BB14_17 Depth=1
	s_wait_xcnt 0x0
	s_and_not1_saveexec_b32 s40, s40
	s_cbranch_execz .LBB14_752
; %bb.751:                              ;   in Loop: Header=BB14_17 Depth=1
	flat_load_b32 v14, v[16:17]
.LBB14_752:                             ;   in Loop: Header=BB14_17 Depth=1
	s_wait_xcnt 0x0
	s_or_b32 exec_lo, exec_lo, s40
                                        ; implicit-def: $vgpr16_vgpr17
.LBB14_753:                             ;   in Loop: Header=BB14_17 Depth=1
	s_and_not1_saveexec_b32 s29, s29
	s_cbranch_execz .LBB14_755
; %bb.754:                              ;   in Loop: Header=BB14_17 Depth=1
	s_wait_loadcnt_dscnt 0x0
	flat_load_b32 v14, v[16:17]
	s_wait_loadcnt_dscnt 0x0
	v_cvt_f32_f16_e32 v14, v14
.LBB14_755:                             ;   in Loop: Header=BB14_17 Depth=1
	s_wait_xcnt 0x0
	s_or_b32 exec_lo, exec_lo, s29
                                        ; implicit-def: $vgpr16_vgpr17
.LBB14_756:                             ;   in Loop: Header=BB14_17 Depth=1
	s_and_not1_saveexec_b32 s27, s27
	s_cbranch_execz .LBB14_766
; %bb.757:                              ;   in Loop: Header=BB14_17 Depth=1
	s_mov_b32 s29, exec_lo
                                        ; implicit-def: $vgpr14
	v_cmpx_lt_i16_e32 5, v7
	s_xor_b32 s29, exec_lo, s29
	s_cbranch_execz .LBB14_763
; %bb.758:                              ;   in Loop: Header=BB14_17 Depth=1
	s_mov_b32 s40, exec_lo
                                        ; implicit-def: $vgpr14
	v_cmpx_lt_i16_e32 6, v7
	s_xor_b32 s40, exec_lo, s40
	s_cbranch_execz .LBB14_760
; %bb.759:                              ;   in Loop: Header=BB14_17 Depth=1
	flat_load_b64 v[16:17], v[16:17]
	s_wait_loadcnt_dscnt 0x0
	v_cvt_f32_f64_e32 v14, v[16:17]
                                        ; implicit-def: $vgpr16_vgpr17
.LBB14_760:                             ;   in Loop: Header=BB14_17 Depth=1
	s_wait_xcnt 0x0
	s_and_not1_saveexec_b32 s40, s40
	s_cbranch_execz .LBB14_762
; %bb.761:                              ;   in Loop: Header=BB14_17 Depth=1
	s_wait_loadcnt_dscnt 0x0
	flat_load_b32 v14, v[16:17]
.LBB14_762:                             ;   in Loop: Header=BB14_17 Depth=1
	s_wait_xcnt 0x0
	s_or_b32 exec_lo, exec_lo, s40
                                        ; implicit-def: $vgpr16_vgpr17
.LBB14_763:                             ;   in Loop: Header=BB14_17 Depth=1
	s_and_not1_saveexec_b32 s29, s29
	s_cbranch_execz .LBB14_765
; %bb.764:                              ;   in Loop: Header=BB14_17 Depth=1
	s_wait_loadcnt_dscnt 0x0
	flat_load_u16 v14, v[16:17]
	s_wait_loadcnt_dscnt 0x0
	v_cvt_f32_f16_e32 v14, v14
.LBB14_765:                             ;   in Loop: Header=BB14_17 Depth=1
	s_wait_xcnt 0x0
	s_or_b32 exec_lo, exec_lo, s29
.LBB14_766:                             ;   in Loop: Header=BB14_17 Depth=1
	s_delay_alu instid0(SALU_CYCLE_1)
	s_or_b32 exec_lo, exec_lo, s27
                                        ; implicit-def: $vgpr16_vgpr17
.LBB14_767:                             ;   in Loop: Header=BB14_17 Depth=1
	s_and_not1_saveexec_b32 s24, s24
	s_cbranch_execz .LBB14_785
; %bb.768:                              ;   in Loop: Header=BB14_17 Depth=1
	s_mov_b32 s27, exec_lo
                                        ; implicit-def: $vgpr14
	v_cmpx_lt_i16_e32 1, v7
	s_xor_b32 s27, exec_lo, s27
	s_cbranch_execz .LBB14_778
; %bb.769:                              ;   in Loop: Header=BB14_17 Depth=1
	s_mov_b32 s29, exec_lo
                                        ; implicit-def: $vgpr14
	v_cmpx_lt_i16_e32 2, v7
	s_xor_b32 s29, exec_lo, s29
	;; [unrolled: 6-line block ×3, first 2 shown]
	s_cbranch_execz .LBB14_772
; %bb.771:                              ;   in Loop: Header=BB14_17 Depth=1
	flat_load_b64 v[16:17], v[16:17]
	s_wait_loadcnt_dscnt 0x0
	v_xor_b32_e32 v14, v16, v17
	v_cls_i32_e32 v20, v17
	s_delay_alu instid0(VALU_DEP_2) | instskip(NEXT) | instid1(VALU_DEP_1)
	v_ashrrev_i32_e32 v14, 31, v14
	v_add_nc_u32_e32 v14, 32, v14
	s_delay_alu instid0(VALU_DEP_1) | instskip(SKIP_1) | instid1(VALU_DEP_1)
	v_add_min_u32_e64 v14, v20, -1, v14
	s_wait_xcnt 0x0
	v_lshlrev_b64_e32 v[16:17], v14, v[16:17]
	v_sub_nc_u32_e32 v14, 32, v14
	s_delay_alu instid0(VALU_DEP_2) | instskip(NEXT) | instid1(VALU_DEP_1)
	v_min_u32_e32 v16, 1, v16
	v_or_b32_e32 v16, v17, v16
	s_delay_alu instid0(VALU_DEP_1) | instskip(NEXT) | instid1(VALU_DEP_1)
	v_cvt_f32_i32_e32 v16, v16
	v_ldexp_f32 v14, v16, v14
                                        ; implicit-def: $vgpr16_vgpr17
.LBB14_772:                             ;   in Loop: Header=BB14_17 Depth=1
	s_and_not1_saveexec_b32 s40, s40
	s_cbranch_execz .LBB14_774
; %bb.773:                              ;   in Loop: Header=BB14_17 Depth=1
	s_wait_loadcnt_dscnt 0x0
	flat_load_b32 v14, v[16:17]
	s_wait_loadcnt_dscnt 0x0
	v_cvt_f32_i32_e32 v14, v14
.LBB14_774:                             ;   in Loop: Header=BB14_17 Depth=1
	s_wait_xcnt 0x0
	s_or_b32 exec_lo, exec_lo, s40
                                        ; implicit-def: $vgpr16_vgpr17
.LBB14_775:                             ;   in Loop: Header=BB14_17 Depth=1
	s_and_not1_saveexec_b32 s29, s29
	s_cbranch_execz .LBB14_777
; %bb.776:                              ;   in Loop: Header=BB14_17 Depth=1
	s_wait_loadcnt_dscnt 0x0
	flat_load_i16 v14, v[16:17]
	s_wait_loadcnt_dscnt 0x0
	v_cvt_f32_i32_e32 v14, v14
.LBB14_777:                             ;   in Loop: Header=BB14_17 Depth=1
	s_wait_xcnt 0x0
	s_or_b32 exec_lo, exec_lo, s29
                                        ; implicit-def: $vgpr16_vgpr17
.LBB14_778:                             ;   in Loop: Header=BB14_17 Depth=1
	s_and_not1_saveexec_b32 s27, s27
	s_cbranch_execz .LBB14_784
; %bb.779:                              ;   in Loop: Header=BB14_17 Depth=1
	s_mov_b32 s29, exec_lo
                                        ; implicit-def: $vgpr14
	v_cmpx_lt_i16_e32 0, v7
	s_xor_b32 s29, exec_lo, s29
	s_cbranch_execz .LBB14_781
; %bb.780:                              ;   in Loop: Header=BB14_17 Depth=1
	s_wait_loadcnt_dscnt 0x0
	flat_load_i8 v14, v[16:17]
                                        ; implicit-def: $vgpr16_vgpr17
	s_wait_loadcnt_dscnt 0x0
	v_cvt_f32_i32_e32 v14, v14
.LBB14_781:                             ;   in Loop: Header=BB14_17 Depth=1
	s_wait_xcnt 0x0
	s_and_not1_saveexec_b32 s29, s29
	s_cbranch_execz .LBB14_783
; %bb.782:                              ;   in Loop: Header=BB14_17 Depth=1
	s_wait_loadcnt_dscnt 0x0
	flat_load_u8 v14, v[16:17]
	s_wait_loadcnt_dscnt 0x0
	v_cvt_f32_ubyte0_e32 v14, v14
.LBB14_783:                             ;   in Loop: Header=BB14_17 Depth=1
	s_wait_xcnt 0x0
	s_or_b32 exec_lo, exec_lo, s29
.LBB14_784:                             ;   in Loop: Header=BB14_17 Depth=1
	s_delay_alu instid0(SALU_CYCLE_1)
	s_or_b32 exec_lo, exec_lo, s27
.LBB14_785:                             ;   in Loop: Header=BB14_17 Depth=1
	s_delay_alu instid0(SALU_CYCLE_1) | instskip(NEXT) | instid1(SALU_CYCLE_1)
	s_or_b32 exec_lo, exec_lo, s24
	s_or_b32 s28, s28, exec_lo
.LBB14_786:                             ;   in Loop: Header=BB14_17 Depth=1
	s_or_b32 exec_lo, exec_lo, s23
	s_mov_b32 s23, -1
	s_mov_b32 s29, 0
	s_mov_b32 s24, 0
	s_and_saveexec_b32 s27, s28
	s_cbranch_execz .LBB14_792
; %bb.787:                              ;   in Loop: Header=BB14_17 Depth=1
	s_add_co_i32 s23, s32, s1
	s_mov_b32 s28, 0
	s_wait_loadcnt_dscnt 0x0
	scratch_store_b32 off, v14, s23 offset:52
	s_wait_xcnt 0x0
	v_mul_lo_u32 v14, v19, v10
	v_and_b32_e32 v19, 0xff, v8
	s_mov_b32 s24, exec_lo
	s_delay_alu instid0(VALU_DEP_2) | instskip(NEXT) | instid1(VALU_DEP_2)
	v_add_nc_u64_e32 v[16:17], v[4:5], v[14:15]
                                        ; implicit-def: $vgpr14
	v_cmpx_lt_i16_e32 10, v19
	s_xor_b32 s24, exec_lo, s24
	s_cbranch_execnz .LBB14_2434
; %bb.788:                              ;   in Loop: Header=BB14_17 Depth=1
	s_and_not1_saveexec_b32 s24, s24
	s_cbranch_execnz .LBB14_2493
.LBB14_789:                             ;   in Loop: Header=BB14_17 Depth=1
	s_or_b32 exec_lo, exec_lo, s24
	s_mov_b32 s29, 0
	s_and_saveexec_b32 s24, s28
	s_cbranch_execz .LBB14_791
.LBB14_790:                             ;   in Loop: Header=BB14_17 Depth=1
	v_add_nc_u32_e32 v18, 0x200, v18
	s_mov_b32 s29, exec_lo
	s_wait_loadcnt_dscnt 0x0
	scratch_store_b32 off, v14, s23 offset:48
.LBB14_791:                             ;   in Loop: Header=BB14_17 Depth=1
	s_wait_xcnt 0x0
	s_or_b32 exec_lo, exec_lo, s24
	s_delay_alu instid0(SALU_CYCLE_1)
	s_mov_b32 s24, exec_lo
	s_xor_b32 s23, exec_lo, -1
	s_and_b32 s29, s29, exec_lo
.LBB14_792:                             ;   in Loop: Header=BB14_17 Depth=1
	s_or_b32 exec_lo, exec_lo, s27
	s_delay_alu instid0(SALU_CYCLE_1)
	s_or_not1_b32 s27, s29, exec_lo
.LBB14_793:                             ;   in Loop: Header=BB14_17 Depth=1
	s_or_b32 exec_lo, exec_lo, s25
	s_and_saveexec_b32 s25, s27
	s_cbranch_execz .LBB14_10
; %bb.794:                              ;   in Loop: Header=BB14_17 Depth=1
	s_mov_b32 s29, -1
	s_mov_b32 s40, -1
	s_mov_b32 s28, exec_lo
                                        ; implicit-def: $sgpr26
                                        ; implicit-def: $sgpr27
	v_cmpx_lt_i32_e64 v18, v6
	s_cbranch_execz .LBB14_904
; %bb.795:                              ;   in Loop: Header=BB14_17 Depth=1
	v_add_nc_u32_e32 v19, s2, v18
	s_mov_b32 s41, 0
	s_mov_b32 s26, exec_lo
	s_wait_loadcnt_dscnt 0x0
	s_delay_alu instid0(VALU_DEP_1) | instskip(NEXT) | instid1(VALU_DEP_1)
	v_mul_lo_u32 v14, v19, v9
	v_add_nc_u64_e32 v[16:17], v[2:3], v[14:15]
                                        ; implicit-def: $vgpr14
	v_cmpx_lt_i16_e32 10, v7
	s_xor_b32 s26, exec_lo, s26
	s_cbranch_execz .LBB14_855
; %bb.796:                              ;   in Loop: Header=BB14_17 Depth=1
	s_mov_b32 s40, 0
	s_mov_b32 s27, exec_lo
                                        ; implicit-def: $vgpr14
	v_cmpx_lt_i16_e32 25, v7
	s_xor_b32 s27, exec_lo, s27
	s_cbranch_execz .LBB14_828
; %bb.797:                              ;   in Loop: Header=BB14_17 Depth=1
	s_mov_b32 s41, exec_lo
                                        ; implicit-def: $vgpr14
	v_cmpx_lt_i16_e32 28, v7
	s_xor_b32 s41, exec_lo, s41
	s_cbranch_execz .LBB14_813
; %bb.798:                              ;   in Loop: Header=BB14_17 Depth=1
	s_mov_b32 s42, 0
	s_mov_b32 s40, exec_lo
                                        ; implicit-def: $vgpr14
	v_cmpx_lt_i16_e32 43, v7
	s_xor_b32 s40, exec_lo, s40
	s_cbranch_execz .LBB14_808
; %bb.799:                              ;   in Loop: Header=BB14_17 Depth=1
	s_mov_b32 s43, exec_lo
                                        ; implicit-def: $vgpr14
	v_cmpx_lt_i16_e32 45, v7
	s_xor_b32 s43, exec_lo, s43
	s_cbranch_execz .LBB14_803
; %bb.800:                              ;   in Loop: Header=BB14_17 Depth=1
	s_mov_b32 s44, exec_lo
                                        ; implicit-def: $vgpr14
	v_cmpx_eq_u16_e32 46, v7
	s_cbranch_execz .LBB14_802
; %bb.801:                              ;   in Loop: Header=BB14_17 Depth=1
	flat_load_b32 v14, v[16:17]
	s_mov_b32 s42, exec_lo
	s_wait_loadcnt_dscnt 0x0
	v_lshlrev_b32_e32 v14, 16, v14
.LBB14_802:                             ;   in Loop: Header=BB14_17 Depth=1
	s_wait_xcnt 0x0
	s_or_b32 exec_lo, exec_lo, s44
	s_delay_alu instid0(SALU_CYCLE_1)
	s_and_b32 s42, s42, exec_lo
                                        ; implicit-def: $vgpr16_vgpr17
.LBB14_803:                             ;   in Loop: Header=BB14_17 Depth=1
	s_and_not1_saveexec_b32 s43, s43
	s_cbranch_execz .LBB14_807
; %bb.804:                              ;   in Loop: Header=BB14_17 Depth=1
	s_mov_b32 s45, s42
	s_mov_b32 s44, exec_lo
                                        ; implicit-def: $vgpr14
	v_cmpx_eq_u16_e32 44, v7
	s_cbranch_execz .LBB14_806
; %bb.805:                              ;   in Loop: Header=BB14_17 Depth=1
	flat_load_u8 v14, v[16:17]
	s_or_b32 s45, s42, exec_lo
	s_wait_loadcnt_dscnt 0x0
	v_lshlrev_b32_e32 v16, 23, v14
	v_cmp_ne_u32_e32 vcc_lo, 0xff, v14
	s_delay_alu instid0(VALU_DEP_2) | instskip(SKIP_1) | instid1(VALU_DEP_2)
	v_cndmask_b32_e32 v16, 0x7f800001, v16, vcc_lo
	v_cmp_ne_u32_e32 vcc_lo, 0, v14
	v_cndmask_b32_e32 v14, 0x400000, v16, vcc_lo
.LBB14_806:                             ;   in Loop: Header=BB14_17 Depth=1
	s_or_b32 exec_lo, exec_lo, s44
	s_delay_alu instid0(SALU_CYCLE_1) | instskip(SKIP_1) | instid1(SALU_CYCLE_1)
	s_and_not1_b32 s42, s42, exec_lo
	s_and_b32 s44, s45, exec_lo
	s_or_b32 s42, s42, s44
.LBB14_807:                             ;   in Loop: Header=BB14_17 Depth=1
	s_or_b32 exec_lo, exec_lo, s43
	s_delay_alu instid0(SALU_CYCLE_1)
	s_and_b32 s42, s42, exec_lo
                                        ; implicit-def: $vgpr16_vgpr17
.LBB14_808:                             ;   in Loop: Header=BB14_17 Depth=1
	s_and_not1_saveexec_b32 s40, s40
	s_cbranch_execz .LBB14_812
; %bb.809:                              ;   in Loop: Header=BB14_17 Depth=1
	s_mov_b32 s44, s42
	s_mov_b32 s43, exec_lo
                                        ; implicit-def: $vgpr14
	v_cmpx_eq_u16_e32 29, v7
	s_cbranch_execz .LBB14_811
; %bb.810:                              ;   in Loop: Header=BB14_17 Depth=1
	flat_load_b64 v[16:17], v[16:17]
	s_or_b32 s44, s42, exec_lo
	s_wait_loadcnt_dscnt 0x0
	v_clz_i32_u32_e32 v14, v17
	s_delay_alu instid0(VALU_DEP_1) | instskip(SKIP_1) | instid1(VALU_DEP_1)
	v_min_u32_e32 v14, 32, v14
	s_wait_xcnt 0x0
	v_lshlrev_b64_e32 v[16:17], v14, v[16:17]
	v_sub_nc_u32_e32 v14, 32, v14
	s_delay_alu instid0(VALU_DEP_2) | instskip(NEXT) | instid1(VALU_DEP_1)
	v_min_u32_e32 v16, 1, v16
	v_or_b32_e32 v16, v17, v16
	s_delay_alu instid0(VALU_DEP_1) | instskip(NEXT) | instid1(VALU_DEP_1)
	v_cvt_f32_u32_e32 v16, v16
	v_ldexp_f32 v14, v16, v14
.LBB14_811:                             ;   in Loop: Header=BB14_17 Depth=1
	s_or_b32 exec_lo, exec_lo, s43
	s_delay_alu instid0(SALU_CYCLE_1) | instskip(SKIP_1) | instid1(SALU_CYCLE_1)
	s_and_not1_b32 s42, s42, exec_lo
	s_and_b32 s43, s44, exec_lo
	s_or_b32 s42, s42, s43
.LBB14_812:                             ;   in Loop: Header=BB14_17 Depth=1
	s_or_b32 exec_lo, exec_lo, s40
	s_delay_alu instid0(SALU_CYCLE_1)
	s_and_b32 s40, s42, exec_lo
                                        ; implicit-def: $vgpr16_vgpr17
.LBB14_813:                             ;   in Loop: Header=BB14_17 Depth=1
	s_and_not1_saveexec_b32 s41, s41
	s_cbranch_execz .LBB14_827
; %bb.814:                              ;   in Loop: Header=BB14_17 Depth=1
	s_mov_b32 s42, exec_lo
                                        ; implicit-def: $vgpr14
	v_cmpx_lt_i16_e32 26, v7
	s_xor_b32 s42, exec_lo, s42
	s_cbranch_execz .LBB14_820
; %bb.815:                              ;   in Loop: Header=BB14_17 Depth=1
	s_mov_b32 s43, exec_lo
                                        ; implicit-def: $vgpr14
	v_cmpx_lt_i16_e32 27, v7
	s_xor_b32 s43, exec_lo, s43
	s_cbranch_execz .LBB14_817
; %bb.816:                              ;   in Loop: Header=BB14_17 Depth=1
	flat_load_b32 v14, v[16:17]
                                        ; implicit-def: $vgpr16_vgpr17
	s_wait_loadcnt_dscnt 0x0
	v_cvt_f32_u32_e32 v14, v14
.LBB14_817:                             ;   in Loop: Header=BB14_17 Depth=1
	s_wait_xcnt 0x0
	s_and_not1_saveexec_b32 s43, s43
	s_cbranch_execz .LBB14_819
; %bb.818:                              ;   in Loop: Header=BB14_17 Depth=1
	flat_load_u16 v14, v[16:17]
	s_wait_loadcnt_dscnt 0x0
	v_cvt_f32_u32_e32 v14, v14
.LBB14_819:                             ;   in Loop: Header=BB14_17 Depth=1
	s_wait_xcnt 0x0
	s_or_b32 exec_lo, exec_lo, s43
                                        ; implicit-def: $vgpr16_vgpr17
.LBB14_820:                             ;   in Loop: Header=BB14_17 Depth=1
	s_and_not1_saveexec_b32 s42, s42
	s_cbranch_execz .LBB14_826
; %bb.821:                              ;   in Loop: Header=BB14_17 Depth=1
	flat_load_u8 v16, v[16:17]
	s_mov_b32 s43, 0
	s_mov_b32 s44, exec_lo
	s_wait_loadcnt_dscnt 0x0
	v_cmpx_lt_i16_e32 0x7f, v16
	s_xor_b32 s44, exec_lo, s44
	s_cbranch_execnz .LBB14_2894
; %bb.822:                              ;   in Loop: Header=BB14_17 Depth=1
	s_or_saveexec_b32 s44, s44
	v_mov_b32_e32 v14, 0x7f800001
	s_xor_b32 exec_lo, exec_lo, s44
	s_cbranch_execnz .LBB14_2897
.LBB14_823:                             ;   in Loop: Header=BB14_17 Depth=1
	s_or_b32 exec_lo, exec_lo, s44
	s_and_saveexec_b32 s44, s43
	s_cbranch_execz .LBB14_825
.LBB14_824:                             ;   in Loop: Header=BB14_17 Depth=1
	v_and_b32_e32 v14, 0xffff, v16
	s_delay_alu instid0(VALU_DEP_1) | instskip(SKIP_1) | instid1(VALU_DEP_2)
	v_and_b32_e32 v17, 7, v14
	v_bfe_u32 v22, v14, 3, 4
	v_clz_i32_u32_e32 v20, v17
	s_delay_alu instid0(VALU_DEP_2) | instskip(NEXT) | instid1(VALU_DEP_2)
	v_cmp_eq_u32_e32 vcc_lo, 0, v22
	v_min_u32_e32 v20, 32, v20
	s_delay_alu instid0(VALU_DEP_1) | instskip(NEXT) | instid1(VALU_DEP_1)
	v_subrev_nc_u32_e32 v21, 28, v20
	v_dual_lshlrev_b32 v14, v21, v14 :: v_dual_sub_nc_u32 v20, 29, v20
	s_delay_alu instid0(VALU_DEP_1) | instskip(NEXT) | instid1(VALU_DEP_1)
	v_dual_lshlrev_b32 v16, 24, v16 :: v_dual_bitop2_b32 v14, 7, v14 bitop3:0x40
	v_dual_cndmask_b32 v14, v17, v14, vcc_lo :: v_dual_cndmask_b32 v20, v22, v20, vcc_lo
	s_delay_alu instid0(VALU_DEP_2) | instskip(NEXT) | instid1(VALU_DEP_2)
	v_and_b32_e32 v16, 0x80000000, v16
	v_lshlrev_b32_e32 v14, 20, v14
	s_delay_alu instid0(VALU_DEP_3) | instskip(NEXT) | instid1(VALU_DEP_1)
	v_lshl_add_u32 v17, v20, 23, 0x3b800000
	v_or3_b32 v14, v16, v17, v14
.LBB14_825:                             ;   in Loop: Header=BB14_17 Depth=1
	s_or_b32 exec_lo, exec_lo, s44
.LBB14_826:                             ;   in Loop: Header=BB14_17 Depth=1
	s_delay_alu instid0(SALU_CYCLE_1) | instskip(NEXT) | instid1(SALU_CYCLE_1)
	s_or_b32 exec_lo, exec_lo, s42
	s_or_b32 s40, s40, exec_lo
.LBB14_827:                             ;   in Loop: Header=BB14_17 Depth=1
	s_or_b32 exec_lo, exec_lo, s41
	s_delay_alu instid0(SALU_CYCLE_1)
	s_and_b32 s40, s40, exec_lo
                                        ; implicit-def: $vgpr16_vgpr17
.LBB14_828:                             ;   in Loop: Header=BB14_17 Depth=1
	s_and_not1_saveexec_b32 s27, s27
	s_cbranch_execz .LBB14_854
; %bb.829:                              ;   in Loop: Header=BB14_17 Depth=1
	s_mov_b32 s42, s40
	s_mov_b32 s41, exec_lo
                                        ; implicit-def: $vgpr14
	v_cmpx_lt_i16_e32 22, v7
	s_xor_b32 s41, exec_lo, s41
	s_cbranch_execz .LBB14_843
; %bb.830:                              ;   in Loop: Header=BB14_17 Depth=1
	s_mov_b32 s42, exec_lo
                                        ; implicit-def: $vgpr14
	v_cmpx_lt_i16_e32 23, v7
	s_xor_b32 s42, exec_lo, s42
	s_cbranch_execz .LBB14_840
; %bb.831:                              ;   in Loop: Header=BB14_17 Depth=1
	;; [unrolled: 6-line block ×3, first 2 shown]
	flat_load_u8 v16, v[16:17]
	s_mov_b32 s44, 0
	s_mov_b32 s45, exec_lo
	s_wait_loadcnt_dscnt 0x0
	v_cmpx_lt_i16_e32 0x7f, v16
	s_xor_b32 s45, exec_lo, s45
	s_cbranch_execnz .LBB14_3006
; %bb.833:                              ;   in Loop: Header=BB14_17 Depth=1
	s_or_saveexec_b32 s45, s45
	v_mov_b32_e32 v14, 0x7f800001
	s_xor_b32 exec_lo, exec_lo, s45
	s_cbranch_execnz .LBB14_3009
.LBB14_834:                             ;   in Loop: Header=BB14_17 Depth=1
	s_or_b32 exec_lo, exec_lo, s45
	s_and_saveexec_b32 s45, s44
	s_cbranch_execz .LBB14_836
.LBB14_835:                             ;   in Loop: Header=BB14_17 Depth=1
	v_and_b32_e32 v14, 0xffff, v16
	s_delay_alu instid0(VALU_DEP_1) | instskip(SKIP_1) | instid1(VALU_DEP_2)
	v_and_b32_e32 v17, 3, v14
	v_bfe_u32 v22, v14, 2, 5
	v_clz_i32_u32_e32 v20, v17
	s_delay_alu instid0(VALU_DEP_2) | instskip(NEXT) | instid1(VALU_DEP_2)
	v_cmp_eq_u32_e32 vcc_lo, 0, v22
	v_min_u32_e32 v20, 32, v20
	s_delay_alu instid0(VALU_DEP_1) | instskip(NEXT) | instid1(VALU_DEP_1)
	v_subrev_nc_u32_e32 v21, 29, v20
	v_dual_lshlrev_b32 v14, v21, v14 :: v_dual_sub_nc_u32 v20, 30, v20
	s_delay_alu instid0(VALU_DEP_1) | instskip(NEXT) | instid1(VALU_DEP_1)
	v_dual_lshlrev_b32 v16, 24, v16 :: v_dual_bitop2_b32 v14, 3, v14 bitop3:0x40
	v_dual_cndmask_b32 v14, v17, v14, vcc_lo :: v_dual_cndmask_b32 v20, v22, v20, vcc_lo
	s_delay_alu instid0(VALU_DEP_2) | instskip(NEXT) | instid1(VALU_DEP_2)
	v_and_b32_e32 v16, 0x80000000, v16
	v_lshlrev_b32_e32 v14, 21, v14
	s_delay_alu instid0(VALU_DEP_3) | instskip(NEXT) | instid1(VALU_DEP_1)
	v_lshl_add_u32 v17, v20, 23, 0x37800000
	v_or3_b32 v14, v16, v17, v14
.LBB14_836:                             ;   in Loop: Header=BB14_17 Depth=1
	s_or_b32 exec_lo, exec_lo, s45
                                        ; implicit-def: $vgpr16_vgpr17
.LBB14_837:                             ;   in Loop: Header=BB14_17 Depth=1
	s_and_not1_saveexec_b32 s43, s43
	s_cbranch_execz .LBB14_839
; %bb.838:                              ;   in Loop: Header=BB14_17 Depth=1
	flat_load_u8 v14, v[16:17]
	s_wait_loadcnt_dscnt 0x0
	v_lshlrev_b32_e32 v14, 24, v14
	s_wait_xcnt 0x0
	s_delay_alu instid0(VALU_DEP_1) | instskip(NEXT) | instid1(VALU_DEP_1)
	v_and_b32_e32 v16, 0x7f000000, v14
	v_clz_i32_u32_e32 v17, v16
	v_cmp_ne_u32_e32 vcc_lo, 0, v16
	v_add_nc_u32_e32 v21, 0x1000000, v16
	s_delay_alu instid0(VALU_DEP_3) | instskip(NEXT) | instid1(VALU_DEP_1)
	v_min_u32_e32 v17, 32, v17
	v_sub_nc_u32_e64 v17, v17, 4 clamp
	s_delay_alu instid0(VALU_DEP_1) | instskip(NEXT) | instid1(VALU_DEP_1)
	v_dual_lshlrev_b32 v20, v17, v16 :: v_dual_lshlrev_b32 v17, 23, v17
	v_lshrrev_b32_e32 v20, 4, v20
	s_delay_alu instid0(VALU_DEP_1) | instskip(SKIP_1) | instid1(VALU_DEP_2)
	v_sub_nc_u32_e32 v17, v20, v17
	v_ashrrev_i32_e32 v20, 8, v21
	v_add_nc_u32_e32 v17, 0x3c000000, v17
	s_delay_alu instid0(VALU_DEP_1) | instskip(NEXT) | instid1(VALU_DEP_1)
	v_and_or_b32 v17, 0x7f800000, v20, v17
	v_cndmask_b32_e32 v16, 0, v17, vcc_lo
	s_delay_alu instid0(VALU_DEP_1)
	v_and_or_b32 v14, 0x80000000, v14, v16
.LBB14_839:                             ;   in Loop: Header=BB14_17 Depth=1
	s_or_b32 exec_lo, exec_lo, s43
                                        ; implicit-def: $vgpr16_vgpr17
.LBB14_840:                             ;   in Loop: Header=BB14_17 Depth=1
	s_and_not1_saveexec_b32 s42, s42
	s_cbranch_execz .LBB14_842
; %bb.841:                              ;   in Loop: Header=BB14_17 Depth=1
	flat_load_u8 v14, v[16:17]
	s_wait_loadcnt_dscnt 0x0
	v_lshlrev_b32_e32 v16, 25, v14
	v_lshlrev_b16 v14, 8, v14
	s_delay_alu instid0(VALU_DEP_1) | instskip(SKIP_1) | instid1(VALU_DEP_2)
	v_and_or_b32 v20, 0x7f00, v14, 0.5
	v_bfe_i32 v14, v14, 0, 16
	v_add_f32_e32 v20, -0.5, v20
	v_lshrrev_b32_e32 v17, 4, v16
	v_cmp_gt_u32_e32 vcc_lo, 0x8000000, v16
	s_delay_alu instid0(VALU_DEP_2) | instskip(NEXT) | instid1(VALU_DEP_1)
	v_or_b32_e32 v17, 0x70000000, v17
	v_mul_f32_e32 v17, 0x7800000, v17
	s_delay_alu instid0(VALU_DEP_1) | instskip(NEXT) | instid1(VALU_DEP_1)
	v_cndmask_b32_e32 v16, v17, v20, vcc_lo
	v_and_or_b32 v14, 0x80000000, v14, v16
.LBB14_842:                             ;   in Loop: Header=BB14_17 Depth=1
	s_or_b32 exec_lo, exec_lo, s42
	s_delay_alu instid0(SALU_CYCLE_1)
	s_or_b32 s42, s40, exec_lo
                                        ; implicit-def: $vgpr16_vgpr17
.LBB14_843:                             ;   in Loop: Header=BB14_17 Depth=1
	s_and_not1_saveexec_b32 s41, s41
	s_cbranch_execz .LBB14_853
; %bb.844:                              ;   in Loop: Header=BB14_17 Depth=1
	s_mov_b32 s43, s42
	s_mov_b32 s44, exec_lo
                                        ; implicit-def: $vgpr14
	v_cmpx_lt_i16_e32 14, v7
	s_xor_b32 s44, exec_lo, s44
	s_cbranch_execz .LBB14_848
; %bb.845:                              ;   in Loop: Header=BB14_17 Depth=1
	s_mov_b32 s43, s42
	s_mov_b32 s45, exec_lo
                                        ; implicit-def: $vgpr14
	v_cmpx_eq_u16_e32 15, v7
	s_cbranch_execz .LBB14_847
; %bb.846:                              ;   in Loop: Header=BB14_17 Depth=1
	flat_load_u16 v14, v[16:17]
	s_or_b32 s43, s42, exec_lo
	s_wait_loadcnt_dscnt 0x0
	v_lshlrev_b32_e32 v14, 16, v14
.LBB14_847:                             ;   in Loop: Header=BB14_17 Depth=1
	s_wait_xcnt 0x0
	s_or_b32 exec_lo, exec_lo, s45
	s_delay_alu instid0(SALU_CYCLE_1) | instskip(SKIP_1) | instid1(SALU_CYCLE_1)
	s_and_not1_b32 s45, s42, exec_lo
	s_and_b32 s43, s43, exec_lo
                                        ; implicit-def: $vgpr16_vgpr17
	s_or_b32 s43, s45, s43
.LBB14_848:                             ;   in Loop: Header=BB14_17 Depth=1
	s_and_not1_saveexec_b32 s44, s44
	s_cbranch_execz .LBB14_852
; %bb.849:                              ;   in Loop: Header=BB14_17 Depth=1
	s_mov_b32 s45, s43
	s_mov_b32 s46, exec_lo
                                        ; implicit-def: $vgpr14
	v_cmpx_eq_u16_e32 11, v7
	s_cbranch_execz .LBB14_851
; %bb.850:                              ;   in Loop: Header=BB14_17 Depth=1
	flat_load_u8 v14, v[16:17]
	s_or_b32 s45, s43, exec_lo
	s_wait_loadcnt_dscnt 0x0
	v_cmp_ne_u16_e32 vcc_lo, 0, v14
	v_cndmask_b32_e64 v14, 0, 1.0, vcc_lo
.LBB14_851:                             ;   in Loop: Header=BB14_17 Depth=1
	s_wait_xcnt 0x0
	s_or_b32 exec_lo, exec_lo, s46
	s_delay_alu instid0(SALU_CYCLE_1) | instskip(SKIP_1) | instid1(SALU_CYCLE_1)
	s_and_not1_b32 s43, s43, exec_lo
	s_and_b32 s45, s45, exec_lo
	s_or_b32 s43, s43, s45
.LBB14_852:                             ;   in Loop: Header=BB14_17 Depth=1
	s_or_b32 exec_lo, exec_lo, s44
	s_delay_alu instid0(SALU_CYCLE_1) | instskip(SKIP_1) | instid1(SALU_CYCLE_1)
	s_and_not1_b32 s42, s42, exec_lo
	s_and_b32 s43, s43, exec_lo
	s_or_b32 s42, s42, s43
.LBB14_853:                             ;   in Loop: Header=BB14_17 Depth=1
	s_or_b32 exec_lo, exec_lo, s41
	s_delay_alu instid0(SALU_CYCLE_1) | instskip(SKIP_1) | instid1(SALU_CYCLE_1)
	s_and_not1_b32 s40, s40, exec_lo
	s_and_b32 s41, s42, exec_lo
	s_or_b32 s40, s40, s41
.LBB14_854:                             ;   in Loop: Header=BB14_17 Depth=1
	s_or_b32 exec_lo, exec_lo, s27
	s_delay_alu instid0(SALU_CYCLE_1)
	s_and_b32 s41, s40, exec_lo
                                        ; implicit-def: $vgpr16_vgpr17
.LBB14_855:                             ;   in Loop: Header=BB14_17 Depth=1
	s_and_not1_saveexec_b32 s26, s26
	s_cbranch_execz .LBB14_897
; %bb.856:                              ;   in Loop: Header=BB14_17 Depth=1
	s_mov_b32 s27, exec_lo
                                        ; implicit-def: $vgpr14
	v_cmpx_lt_i16_e32 4, v7
	s_xor_b32 s27, exec_lo, s27
	s_cbranch_execz .LBB14_878
; %bb.857:                              ;   in Loop: Header=BB14_17 Depth=1
	s_mov_b32 s40, exec_lo
                                        ; implicit-def: $vgpr14
	v_cmpx_lt_i16_e32 7, v7
	s_xor_b32 s40, exec_lo, s40
	;; [unrolled: 6-line block ×4, first 2 shown]
	s_cbranch_execz .LBB14_861
; %bb.860:                              ;   in Loop: Header=BB14_17 Depth=1
	flat_load_b64 v[16:17], v[16:17]
	s_wait_loadcnt_dscnt 0x0
	v_cvt_f32_f64_e32 v14, v[16:17]
                                        ; implicit-def: $vgpr16_vgpr17
.LBB14_861:                             ;   in Loop: Header=BB14_17 Depth=1
	s_wait_xcnt 0x0
	s_and_not1_saveexec_b32 s43, s43
	s_cbranch_execz .LBB14_863
; %bb.862:                              ;   in Loop: Header=BB14_17 Depth=1
	flat_load_b32 v14, v[16:17]
.LBB14_863:                             ;   in Loop: Header=BB14_17 Depth=1
	s_wait_xcnt 0x0
	s_or_b32 exec_lo, exec_lo, s43
                                        ; implicit-def: $vgpr16_vgpr17
.LBB14_864:                             ;   in Loop: Header=BB14_17 Depth=1
	s_and_not1_saveexec_b32 s42, s42
	s_cbranch_execz .LBB14_866
; %bb.865:                              ;   in Loop: Header=BB14_17 Depth=1
	s_wait_loadcnt_dscnt 0x0
	flat_load_b32 v14, v[16:17]
	s_wait_loadcnt_dscnt 0x0
	v_cvt_f32_f16_e32 v14, v14
.LBB14_866:                             ;   in Loop: Header=BB14_17 Depth=1
	s_wait_xcnt 0x0
	s_or_b32 exec_lo, exec_lo, s42
                                        ; implicit-def: $vgpr16_vgpr17
.LBB14_867:                             ;   in Loop: Header=BB14_17 Depth=1
	s_and_not1_saveexec_b32 s40, s40
	s_cbranch_execz .LBB14_877
; %bb.868:                              ;   in Loop: Header=BB14_17 Depth=1
	s_mov_b32 s42, exec_lo
                                        ; implicit-def: $vgpr14
	v_cmpx_lt_i16_e32 5, v7
	s_xor_b32 s42, exec_lo, s42
	s_cbranch_execz .LBB14_874
; %bb.869:                              ;   in Loop: Header=BB14_17 Depth=1
	s_mov_b32 s43, exec_lo
                                        ; implicit-def: $vgpr14
	v_cmpx_lt_i16_e32 6, v7
	s_xor_b32 s43, exec_lo, s43
	s_cbranch_execz .LBB14_871
; %bb.870:                              ;   in Loop: Header=BB14_17 Depth=1
	flat_load_b64 v[16:17], v[16:17]
	s_wait_loadcnt_dscnt 0x0
	v_cvt_f32_f64_e32 v14, v[16:17]
                                        ; implicit-def: $vgpr16_vgpr17
.LBB14_871:                             ;   in Loop: Header=BB14_17 Depth=1
	s_wait_xcnt 0x0
	s_and_not1_saveexec_b32 s43, s43
	s_cbranch_execz .LBB14_873
; %bb.872:                              ;   in Loop: Header=BB14_17 Depth=1
	s_wait_loadcnt_dscnt 0x0
	flat_load_b32 v14, v[16:17]
.LBB14_873:                             ;   in Loop: Header=BB14_17 Depth=1
	s_wait_xcnt 0x0
	s_or_b32 exec_lo, exec_lo, s43
                                        ; implicit-def: $vgpr16_vgpr17
.LBB14_874:                             ;   in Loop: Header=BB14_17 Depth=1
	s_and_not1_saveexec_b32 s42, s42
	s_cbranch_execz .LBB14_876
; %bb.875:                              ;   in Loop: Header=BB14_17 Depth=1
	s_wait_loadcnt_dscnt 0x0
	flat_load_u16 v14, v[16:17]
	s_wait_loadcnt_dscnt 0x0
	v_cvt_f32_f16_e32 v14, v14
.LBB14_876:                             ;   in Loop: Header=BB14_17 Depth=1
	s_wait_xcnt 0x0
	s_or_b32 exec_lo, exec_lo, s42
.LBB14_877:                             ;   in Loop: Header=BB14_17 Depth=1
	s_delay_alu instid0(SALU_CYCLE_1)
	s_or_b32 exec_lo, exec_lo, s40
                                        ; implicit-def: $vgpr16_vgpr17
.LBB14_878:                             ;   in Loop: Header=BB14_17 Depth=1
	s_and_not1_saveexec_b32 s27, s27
	s_cbranch_execz .LBB14_896
; %bb.879:                              ;   in Loop: Header=BB14_17 Depth=1
	s_mov_b32 s40, exec_lo
                                        ; implicit-def: $vgpr14
	v_cmpx_lt_i16_e32 1, v7
	s_xor_b32 s40, exec_lo, s40
	s_cbranch_execz .LBB14_889
; %bb.880:                              ;   in Loop: Header=BB14_17 Depth=1
	s_mov_b32 s42, exec_lo
                                        ; implicit-def: $vgpr14
	v_cmpx_lt_i16_e32 2, v7
	s_xor_b32 s42, exec_lo, s42
	;; [unrolled: 6-line block ×3, first 2 shown]
	s_cbranch_execz .LBB14_883
; %bb.882:                              ;   in Loop: Header=BB14_17 Depth=1
	flat_load_b64 v[16:17], v[16:17]
	s_wait_loadcnt_dscnt 0x0
	v_xor_b32_e32 v14, v16, v17
	v_cls_i32_e32 v20, v17
	s_delay_alu instid0(VALU_DEP_2) | instskip(NEXT) | instid1(VALU_DEP_1)
	v_ashrrev_i32_e32 v14, 31, v14
	v_add_nc_u32_e32 v14, 32, v14
	s_delay_alu instid0(VALU_DEP_1) | instskip(SKIP_1) | instid1(VALU_DEP_1)
	v_add_min_u32_e64 v14, v20, -1, v14
	s_wait_xcnt 0x0
	v_lshlrev_b64_e32 v[16:17], v14, v[16:17]
	v_sub_nc_u32_e32 v14, 32, v14
	s_delay_alu instid0(VALU_DEP_2) | instskip(NEXT) | instid1(VALU_DEP_1)
	v_min_u32_e32 v16, 1, v16
	v_or_b32_e32 v16, v17, v16
	s_delay_alu instid0(VALU_DEP_1) | instskip(NEXT) | instid1(VALU_DEP_1)
	v_cvt_f32_i32_e32 v16, v16
	v_ldexp_f32 v14, v16, v14
                                        ; implicit-def: $vgpr16_vgpr17
.LBB14_883:                             ;   in Loop: Header=BB14_17 Depth=1
	s_and_not1_saveexec_b32 s43, s43
	s_cbranch_execz .LBB14_885
; %bb.884:                              ;   in Loop: Header=BB14_17 Depth=1
	s_wait_loadcnt_dscnt 0x0
	flat_load_b32 v14, v[16:17]
	s_wait_loadcnt_dscnt 0x0
	v_cvt_f32_i32_e32 v14, v14
.LBB14_885:                             ;   in Loop: Header=BB14_17 Depth=1
	s_wait_xcnt 0x0
	s_or_b32 exec_lo, exec_lo, s43
                                        ; implicit-def: $vgpr16_vgpr17
.LBB14_886:                             ;   in Loop: Header=BB14_17 Depth=1
	s_and_not1_saveexec_b32 s42, s42
	s_cbranch_execz .LBB14_888
; %bb.887:                              ;   in Loop: Header=BB14_17 Depth=1
	s_wait_loadcnt_dscnt 0x0
	flat_load_i16 v14, v[16:17]
	s_wait_loadcnt_dscnt 0x0
	v_cvt_f32_i32_e32 v14, v14
.LBB14_888:                             ;   in Loop: Header=BB14_17 Depth=1
	s_wait_xcnt 0x0
	s_or_b32 exec_lo, exec_lo, s42
                                        ; implicit-def: $vgpr16_vgpr17
.LBB14_889:                             ;   in Loop: Header=BB14_17 Depth=1
	s_and_not1_saveexec_b32 s40, s40
	s_cbranch_execz .LBB14_895
; %bb.890:                              ;   in Loop: Header=BB14_17 Depth=1
	s_mov_b32 s42, exec_lo
                                        ; implicit-def: $vgpr14
	v_cmpx_lt_i16_e32 0, v7
	s_xor_b32 s42, exec_lo, s42
	s_cbranch_execz .LBB14_892
; %bb.891:                              ;   in Loop: Header=BB14_17 Depth=1
	s_wait_loadcnt_dscnt 0x0
	flat_load_i8 v14, v[16:17]
                                        ; implicit-def: $vgpr16_vgpr17
	s_wait_loadcnt_dscnt 0x0
	v_cvt_f32_i32_e32 v14, v14
.LBB14_892:                             ;   in Loop: Header=BB14_17 Depth=1
	s_wait_xcnt 0x0
	s_and_not1_saveexec_b32 s42, s42
	s_cbranch_execz .LBB14_894
; %bb.893:                              ;   in Loop: Header=BB14_17 Depth=1
	s_wait_loadcnt_dscnt 0x0
	flat_load_u8 v14, v[16:17]
	s_wait_loadcnt_dscnt 0x0
	v_cvt_f32_ubyte0_e32 v14, v14
.LBB14_894:                             ;   in Loop: Header=BB14_17 Depth=1
	s_wait_xcnt 0x0
	s_or_b32 exec_lo, exec_lo, s42
.LBB14_895:                             ;   in Loop: Header=BB14_17 Depth=1
	s_delay_alu instid0(SALU_CYCLE_1)
	s_or_b32 exec_lo, exec_lo, s40
.LBB14_896:                             ;   in Loop: Header=BB14_17 Depth=1
	s_delay_alu instid0(SALU_CYCLE_1) | instskip(NEXT) | instid1(SALU_CYCLE_1)
	s_or_b32 exec_lo, exec_lo, s27
	s_or_b32 s41, s41, exec_lo
.LBB14_897:                             ;   in Loop: Header=BB14_17 Depth=1
	s_or_b32 exec_lo, exec_lo, s26
	s_mov_b32 s26, -1
	s_mov_b32 s42, 0
	s_mov_b32 s27, 0
	s_and_saveexec_b32 s40, s41
	s_cbranch_execz .LBB14_903
; %bb.898:                              ;   in Loop: Header=BB14_17 Depth=1
	s_add_co_i32 s26, s32, s1
	s_mov_b32 s41, 0
	s_wait_loadcnt_dscnt 0x0
	scratch_store_b32 off, v14, s26 offset:60
	s_wait_xcnt 0x0
	v_mul_lo_u32 v14, v19, v10
	v_and_b32_e32 v19, 0xff, v8
	s_mov_b32 s27, exec_lo
	s_delay_alu instid0(VALU_DEP_2) | instskip(NEXT) | instid1(VALU_DEP_2)
	v_add_nc_u64_e32 v[16:17], v[4:5], v[14:15]
                                        ; implicit-def: $vgpr14
	v_cmpx_lt_i16_e32 10, v19
	s_xor_b32 s27, exec_lo, s27
	s_cbranch_execnz .LBB14_2550
; %bb.899:                              ;   in Loop: Header=BB14_17 Depth=1
	s_and_not1_saveexec_b32 s27, s27
	s_cbranch_execnz .LBB14_2609
.LBB14_900:                             ;   in Loop: Header=BB14_17 Depth=1
	s_or_b32 exec_lo, exec_lo, s27
	s_mov_b32 s42, 0
	s_and_saveexec_b32 s27, s41
	s_cbranch_execz .LBB14_902
.LBB14_901:                             ;   in Loop: Header=BB14_17 Depth=1
	v_add_nc_u32_e32 v18, 0x200, v18
	s_mov_b32 s42, exec_lo
	s_wait_loadcnt_dscnt 0x0
	scratch_store_b32 off, v14, s26 offset:56
.LBB14_902:                             ;   in Loop: Header=BB14_17 Depth=1
	s_wait_xcnt 0x0
	s_or_b32 exec_lo, exec_lo, s27
	s_delay_alu instid0(SALU_CYCLE_1)
	s_mov_b32 s27, exec_lo
	s_xor_b32 s26, exec_lo, -1
	s_and_b32 s42, s42, exec_lo
.LBB14_903:                             ;   in Loop: Header=BB14_17 Depth=1
	s_or_b32 exec_lo, exec_lo, s40
	s_delay_alu instid0(SALU_CYCLE_1)
	s_or_not1_b32 s40, s42, exec_lo
.LBB14_904:                             ;   in Loop: Header=BB14_17 Depth=1
	s_or_b32 exec_lo, exec_lo, s28
	s_and_saveexec_b32 s28, s40
	s_cbranch_execz .LBB14_9
; %bb.905:                              ;   in Loop: Header=BB14_17 Depth=1
	s_mov_b32 s42, -1
	s_mov_b32 s43, -1
	s_mov_b32 s41, exec_lo
                                        ; implicit-def: $sgpr29
                                        ; implicit-def: $sgpr40
	v_cmpx_lt_i32_e64 v18, v6
	s_cbranch_execz .LBB14_1015
; %bb.906:                              ;   in Loop: Header=BB14_17 Depth=1
	v_add_nc_u32_e32 v19, s2, v18
	s_mov_b32 s44, 0
	s_mov_b32 s29, exec_lo
	s_wait_loadcnt_dscnt 0x0
	s_delay_alu instid0(VALU_DEP_1) | instskip(NEXT) | instid1(VALU_DEP_1)
	v_mul_lo_u32 v14, v19, v9
	v_add_nc_u64_e32 v[16:17], v[2:3], v[14:15]
                                        ; implicit-def: $vgpr14
	v_cmpx_lt_i16_e32 10, v7
	s_xor_b32 s29, exec_lo, s29
	s_cbranch_execz .LBB14_966
; %bb.907:                              ;   in Loop: Header=BB14_17 Depth=1
	s_mov_b32 s43, 0
	s_mov_b32 s40, exec_lo
                                        ; implicit-def: $vgpr14
	v_cmpx_lt_i16_e32 25, v7
	s_xor_b32 s40, exec_lo, s40
	s_cbranch_execz .LBB14_939
; %bb.908:                              ;   in Loop: Header=BB14_17 Depth=1
	s_mov_b32 s44, exec_lo
                                        ; implicit-def: $vgpr14
	v_cmpx_lt_i16_e32 28, v7
	s_xor_b32 s44, exec_lo, s44
	s_cbranch_execz .LBB14_924
; %bb.909:                              ;   in Loop: Header=BB14_17 Depth=1
	s_mov_b32 s45, 0
	s_mov_b32 s43, exec_lo
                                        ; implicit-def: $vgpr14
	v_cmpx_lt_i16_e32 43, v7
	s_xor_b32 s43, exec_lo, s43
	s_cbranch_execz .LBB14_919
; %bb.910:                              ;   in Loop: Header=BB14_17 Depth=1
	s_mov_b32 s46, exec_lo
                                        ; implicit-def: $vgpr14
	v_cmpx_lt_i16_e32 45, v7
	s_xor_b32 s46, exec_lo, s46
	s_cbranch_execz .LBB14_914
; %bb.911:                              ;   in Loop: Header=BB14_17 Depth=1
	s_mov_b32 s47, exec_lo
                                        ; implicit-def: $vgpr14
	v_cmpx_eq_u16_e32 46, v7
	s_cbranch_execz .LBB14_913
; %bb.912:                              ;   in Loop: Header=BB14_17 Depth=1
	flat_load_b32 v14, v[16:17]
	s_mov_b32 s45, exec_lo
	s_wait_loadcnt_dscnt 0x0
	v_lshlrev_b32_e32 v14, 16, v14
.LBB14_913:                             ;   in Loop: Header=BB14_17 Depth=1
	s_wait_xcnt 0x0
	s_or_b32 exec_lo, exec_lo, s47
	s_delay_alu instid0(SALU_CYCLE_1)
	s_and_b32 s45, s45, exec_lo
                                        ; implicit-def: $vgpr16_vgpr17
.LBB14_914:                             ;   in Loop: Header=BB14_17 Depth=1
	s_and_not1_saveexec_b32 s46, s46
	s_cbranch_execz .LBB14_918
; %bb.915:                              ;   in Loop: Header=BB14_17 Depth=1
	s_mov_b32 s56, s45
	s_mov_b32 s47, exec_lo
                                        ; implicit-def: $vgpr14
	v_cmpx_eq_u16_e32 44, v7
	s_cbranch_execz .LBB14_917
; %bb.916:                              ;   in Loop: Header=BB14_17 Depth=1
	flat_load_u8 v14, v[16:17]
	s_or_b32 s56, s45, exec_lo
	s_wait_loadcnt_dscnt 0x0
	v_lshlrev_b32_e32 v16, 23, v14
	v_cmp_ne_u32_e32 vcc_lo, 0xff, v14
	s_delay_alu instid0(VALU_DEP_2) | instskip(SKIP_1) | instid1(VALU_DEP_2)
	v_cndmask_b32_e32 v16, 0x7f800001, v16, vcc_lo
	v_cmp_ne_u32_e32 vcc_lo, 0, v14
	v_cndmask_b32_e32 v14, 0x400000, v16, vcc_lo
.LBB14_917:                             ;   in Loop: Header=BB14_17 Depth=1
	s_or_b32 exec_lo, exec_lo, s47
	s_delay_alu instid0(SALU_CYCLE_1) | instskip(SKIP_1) | instid1(SALU_CYCLE_1)
	s_and_not1_b32 s45, s45, exec_lo
	s_and_b32 s47, s56, exec_lo
	s_or_b32 s45, s45, s47
.LBB14_918:                             ;   in Loop: Header=BB14_17 Depth=1
	s_or_b32 exec_lo, exec_lo, s46
	s_delay_alu instid0(SALU_CYCLE_1)
	s_and_b32 s45, s45, exec_lo
                                        ; implicit-def: $vgpr16_vgpr17
.LBB14_919:                             ;   in Loop: Header=BB14_17 Depth=1
	s_and_not1_saveexec_b32 s43, s43
	s_cbranch_execz .LBB14_923
; %bb.920:                              ;   in Loop: Header=BB14_17 Depth=1
	s_mov_b32 s47, s45
	s_mov_b32 s46, exec_lo
                                        ; implicit-def: $vgpr14
	v_cmpx_eq_u16_e32 29, v7
	s_cbranch_execz .LBB14_922
; %bb.921:                              ;   in Loop: Header=BB14_17 Depth=1
	flat_load_b64 v[16:17], v[16:17]
	s_or_b32 s47, s45, exec_lo
	s_wait_loadcnt_dscnt 0x0
	v_clz_i32_u32_e32 v14, v17
	s_delay_alu instid0(VALU_DEP_1) | instskip(SKIP_1) | instid1(VALU_DEP_1)
	v_min_u32_e32 v14, 32, v14
	s_wait_xcnt 0x0
	v_lshlrev_b64_e32 v[16:17], v14, v[16:17]
	v_sub_nc_u32_e32 v14, 32, v14
	s_delay_alu instid0(VALU_DEP_2) | instskip(NEXT) | instid1(VALU_DEP_1)
	v_min_u32_e32 v16, 1, v16
	v_or_b32_e32 v16, v17, v16
	s_delay_alu instid0(VALU_DEP_1) | instskip(NEXT) | instid1(VALU_DEP_1)
	v_cvt_f32_u32_e32 v16, v16
	v_ldexp_f32 v14, v16, v14
.LBB14_922:                             ;   in Loop: Header=BB14_17 Depth=1
	s_or_b32 exec_lo, exec_lo, s46
	s_delay_alu instid0(SALU_CYCLE_1) | instskip(SKIP_1) | instid1(SALU_CYCLE_1)
	s_and_not1_b32 s45, s45, exec_lo
	s_and_b32 s46, s47, exec_lo
	s_or_b32 s45, s45, s46
.LBB14_923:                             ;   in Loop: Header=BB14_17 Depth=1
	s_or_b32 exec_lo, exec_lo, s43
	s_delay_alu instid0(SALU_CYCLE_1)
	s_and_b32 s43, s45, exec_lo
                                        ; implicit-def: $vgpr16_vgpr17
.LBB14_924:                             ;   in Loop: Header=BB14_17 Depth=1
	s_and_not1_saveexec_b32 s44, s44
	s_cbranch_execz .LBB14_938
; %bb.925:                              ;   in Loop: Header=BB14_17 Depth=1
	s_mov_b32 s45, exec_lo
                                        ; implicit-def: $vgpr14
	v_cmpx_lt_i16_e32 26, v7
	s_xor_b32 s45, exec_lo, s45
	s_cbranch_execz .LBB14_931
; %bb.926:                              ;   in Loop: Header=BB14_17 Depth=1
	s_mov_b32 s46, exec_lo
                                        ; implicit-def: $vgpr14
	v_cmpx_lt_i16_e32 27, v7
	s_xor_b32 s46, exec_lo, s46
	s_cbranch_execz .LBB14_928
; %bb.927:                              ;   in Loop: Header=BB14_17 Depth=1
	flat_load_b32 v14, v[16:17]
                                        ; implicit-def: $vgpr16_vgpr17
	s_wait_loadcnt_dscnt 0x0
	v_cvt_f32_u32_e32 v14, v14
.LBB14_928:                             ;   in Loop: Header=BB14_17 Depth=1
	s_wait_xcnt 0x0
	s_and_not1_saveexec_b32 s46, s46
	s_cbranch_execz .LBB14_930
; %bb.929:                              ;   in Loop: Header=BB14_17 Depth=1
	flat_load_u16 v14, v[16:17]
	s_wait_loadcnt_dscnt 0x0
	v_cvt_f32_u32_e32 v14, v14
.LBB14_930:                             ;   in Loop: Header=BB14_17 Depth=1
	s_wait_xcnt 0x0
	s_or_b32 exec_lo, exec_lo, s46
                                        ; implicit-def: $vgpr16_vgpr17
.LBB14_931:                             ;   in Loop: Header=BB14_17 Depth=1
	s_and_not1_saveexec_b32 s45, s45
	s_cbranch_execz .LBB14_937
; %bb.932:                              ;   in Loop: Header=BB14_17 Depth=1
	flat_load_u8 v16, v[16:17]
	s_mov_b32 s46, 0
	s_mov_b32 s47, exec_lo
	s_wait_loadcnt_dscnt 0x0
	v_cmpx_lt_i16_e32 0x7f, v16
	s_xor_b32 s47, exec_lo, s47
	s_cbranch_execnz .LBB14_3010
; %bb.933:                              ;   in Loop: Header=BB14_17 Depth=1
	s_or_saveexec_b32 s47, s47
	v_mov_b32_e32 v14, 0x7f800001
	s_xor_b32 exec_lo, exec_lo, s47
	s_cbranch_execnz .LBB14_3013
.LBB14_934:                             ;   in Loop: Header=BB14_17 Depth=1
	s_or_b32 exec_lo, exec_lo, s47
	s_and_saveexec_b32 s47, s46
	s_cbranch_execz .LBB14_936
.LBB14_935:                             ;   in Loop: Header=BB14_17 Depth=1
	v_and_b32_e32 v14, 0xffff, v16
	s_delay_alu instid0(VALU_DEP_1) | instskip(SKIP_1) | instid1(VALU_DEP_2)
	v_and_b32_e32 v17, 7, v14
	v_bfe_u32 v22, v14, 3, 4
	v_clz_i32_u32_e32 v20, v17
	s_delay_alu instid0(VALU_DEP_2) | instskip(NEXT) | instid1(VALU_DEP_2)
	v_cmp_eq_u32_e32 vcc_lo, 0, v22
	v_min_u32_e32 v20, 32, v20
	s_delay_alu instid0(VALU_DEP_1) | instskip(NEXT) | instid1(VALU_DEP_1)
	v_subrev_nc_u32_e32 v21, 28, v20
	v_dual_lshlrev_b32 v14, v21, v14 :: v_dual_sub_nc_u32 v20, 29, v20
	s_delay_alu instid0(VALU_DEP_1) | instskip(NEXT) | instid1(VALU_DEP_1)
	v_dual_lshlrev_b32 v16, 24, v16 :: v_dual_bitop2_b32 v14, 7, v14 bitop3:0x40
	v_dual_cndmask_b32 v14, v17, v14, vcc_lo :: v_dual_cndmask_b32 v20, v22, v20, vcc_lo
	s_delay_alu instid0(VALU_DEP_2) | instskip(NEXT) | instid1(VALU_DEP_2)
	v_and_b32_e32 v16, 0x80000000, v16
	v_lshlrev_b32_e32 v14, 20, v14
	s_delay_alu instid0(VALU_DEP_3) | instskip(NEXT) | instid1(VALU_DEP_1)
	v_lshl_add_u32 v17, v20, 23, 0x3b800000
	v_or3_b32 v14, v16, v17, v14
.LBB14_936:                             ;   in Loop: Header=BB14_17 Depth=1
	s_or_b32 exec_lo, exec_lo, s47
.LBB14_937:                             ;   in Loop: Header=BB14_17 Depth=1
	s_delay_alu instid0(SALU_CYCLE_1) | instskip(NEXT) | instid1(SALU_CYCLE_1)
	s_or_b32 exec_lo, exec_lo, s45
	s_or_b32 s43, s43, exec_lo
.LBB14_938:                             ;   in Loop: Header=BB14_17 Depth=1
	s_or_b32 exec_lo, exec_lo, s44
	s_delay_alu instid0(SALU_CYCLE_1)
	s_and_b32 s43, s43, exec_lo
                                        ; implicit-def: $vgpr16_vgpr17
.LBB14_939:                             ;   in Loop: Header=BB14_17 Depth=1
	s_and_not1_saveexec_b32 s40, s40
	s_cbranch_execz .LBB14_965
; %bb.940:                              ;   in Loop: Header=BB14_17 Depth=1
	s_mov_b32 s45, s43
	s_mov_b32 s44, exec_lo
                                        ; implicit-def: $vgpr14
	v_cmpx_lt_i16_e32 22, v7
	s_xor_b32 s44, exec_lo, s44
	s_cbranch_execz .LBB14_954
; %bb.941:                              ;   in Loop: Header=BB14_17 Depth=1
	s_mov_b32 s45, exec_lo
                                        ; implicit-def: $vgpr14
	v_cmpx_lt_i16_e32 23, v7
	s_xor_b32 s45, exec_lo, s45
	s_cbranch_execz .LBB14_951
; %bb.942:                              ;   in Loop: Header=BB14_17 Depth=1
	;; [unrolled: 6-line block ×3, first 2 shown]
	flat_load_u8 v16, v[16:17]
	s_mov_b32 s47, 0
	s_mov_b32 s56, exec_lo
	s_wait_loadcnt_dscnt 0x0
	v_cmpx_lt_i16_e32 0x7f, v16
	s_xor_b32 s56, exec_lo, s56
	s_cbranch_execnz .LBB14_3122
; %bb.944:                              ;   in Loop: Header=BB14_17 Depth=1
	s_or_saveexec_b32 s56, s56
	v_mov_b32_e32 v14, 0x7f800001
	s_xor_b32 exec_lo, exec_lo, s56
	s_cbranch_execnz .LBB14_3125
.LBB14_945:                             ;   in Loop: Header=BB14_17 Depth=1
	s_or_b32 exec_lo, exec_lo, s56
	s_and_saveexec_b32 s56, s47
	s_cbranch_execz .LBB14_947
.LBB14_946:                             ;   in Loop: Header=BB14_17 Depth=1
	v_and_b32_e32 v14, 0xffff, v16
	s_delay_alu instid0(VALU_DEP_1) | instskip(SKIP_1) | instid1(VALU_DEP_2)
	v_and_b32_e32 v17, 3, v14
	v_bfe_u32 v22, v14, 2, 5
	v_clz_i32_u32_e32 v20, v17
	s_delay_alu instid0(VALU_DEP_2) | instskip(NEXT) | instid1(VALU_DEP_2)
	v_cmp_eq_u32_e32 vcc_lo, 0, v22
	v_min_u32_e32 v20, 32, v20
	s_delay_alu instid0(VALU_DEP_1) | instskip(NEXT) | instid1(VALU_DEP_1)
	v_subrev_nc_u32_e32 v21, 29, v20
	v_dual_lshlrev_b32 v14, v21, v14 :: v_dual_sub_nc_u32 v20, 30, v20
	s_delay_alu instid0(VALU_DEP_1) | instskip(NEXT) | instid1(VALU_DEP_1)
	v_dual_lshlrev_b32 v16, 24, v16 :: v_dual_bitop2_b32 v14, 3, v14 bitop3:0x40
	v_dual_cndmask_b32 v14, v17, v14, vcc_lo :: v_dual_cndmask_b32 v20, v22, v20, vcc_lo
	s_delay_alu instid0(VALU_DEP_2) | instskip(NEXT) | instid1(VALU_DEP_2)
	v_and_b32_e32 v16, 0x80000000, v16
	v_lshlrev_b32_e32 v14, 21, v14
	s_delay_alu instid0(VALU_DEP_3) | instskip(NEXT) | instid1(VALU_DEP_1)
	v_lshl_add_u32 v17, v20, 23, 0x37800000
	v_or3_b32 v14, v16, v17, v14
.LBB14_947:                             ;   in Loop: Header=BB14_17 Depth=1
	s_or_b32 exec_lo, exec_lo, s56
                                        ; implicit-def: $vgpr16_vgpr17
.LBB14_948:                             ;   in Loop: Header=BB14_17 Depth=1
	s_and_not1_saveexec_b32 s46, s46
	s_cbranch_execz .LBB14_950
; %bb.949:                              ;   in Loop: Header=BB14_17 Depth=1
	flat_load_u8 v14, v[16:17]
	s_wait_loadcnt_dscnt 0x0
	v_lshlrev_b32_e32 v14, 24, v14
	s_wait_xcnt 0x0
	s_delay_alu instid0(VALU_DEP_1) | instskip(NEXT) | instid1(VALU_DEP_1)
	v_and_b32_e32 v16, 0x7f000000, v14
	v_clz_i32_u32_e32 v17, v16
	v_cmp_ne_u32_e32 vcc_lo, 0, v16
	v_add_nc_u32_e32 v21, 0x1000000, v16
	s_delay_alu instid0(VALU_DEP_3) | instskip(NEXT) | instid1(VALU_DEP_1)
	v_min_u32_e32 v17, 32, v17
	v_sub_nc_u32_e64 v17, v17, 4 clamp
	s_delay_alu instid0(VALU_DEP_1) | instskip(NEXT) | instid1(VALU_DEP_1)
	v_dual_lshlrev_b32 v20, v17, v16 :: v_dual_lshlrev_b32 v17, 23, v17
	v_lshrrev_b32_e32 v20, 4, v20
	s_delay_alu instid0(VALU_DEP_1) | instskip(SKIP_1) | instid1(VALU_DEP_2)
	v_sub_nc_u32_e32 v17, v20, v17
	v_ashrrev_i32_e32 v20, 8, v21
	v_add_nc_u32_e32 v17, 0x3c000000, v17
	s_delay_alu instid0(VALU_DEP_1) | instskip(NEXT) | instid1(VALU_DEP_1)
	v_and_or_b32 v17, 0x7f800000, v20, v17
	v_cndmask_b32_e32 v16, 0, v17, vcc_lo
	s_delay_alu instid0(VALU_DEP_1)
	v_and_or_b32 v14, 0x80000000, v14, v16
.LBB14_950:                             ;   in Loop: Header=BB14_17 Depth=1
	s_or_b32 exec_lo, exec_lo, s46
                                        ; implicit-def: $vgpr16_vgpr17
.LBB14_951:                             ;   in Loop: Header=BB14_17 Depth=1
	s_and_not1_saveexec_b32 s45, s45
	s_cbranch_execz .LBB14_953
; %bb.952:                              ;   in Loop: Header=BB14_17 Depth=1
	flat_load_u8 v14, v[16:17]
	s_wait_loadcnt_dscnt 0x0
	v_lshlrev_b32_e32 v16, 25, v14
	v_lshlrev_b16 v14, 8, v14
	s_delay_alu instid0(VALU_DEP_1) | instskip(SKIP_1) | instid1(VALU_DEP_2)
	v_and_or_b32 v20, 0x7f00, v14, 0.5
	v_bfe_i32 v14, v14, 0, 16
	v_add_f32_e32 v20, -0.5, v20
	v_lshrrev_b32_e32 v17, 4, v16
	v_cmp_gt_u32_e32 vcc_lo, 0x8000000, v16
	s_delay_alu instid0(VALU_DEP_2) | instskip(NEXT) | instid1(VALU_DEP_1)
	v_or_b32_e32 v17, 0x70000000, v17
	v_mul_f32_e32 v17, 0x7800000, v17
	s_delay_alu instid0(VALU_DEP_1) | instskip(NEXT) | instid1(VALU_DEP_1)
	v_cndmask_b32_e32 v16, v17, v20, vcc_lo
	v_and_or_b32 v14, 0x80000000, v14, v16
.LBB14_953:                             ;   in Loop: Header=BB14_17 Depth=1
	s_or_b32 exec_lo, exec_lo, s45
	s_delay_alu instid0(SALU_CYCLE_1)
	s_or_b32 s45, s43, exec_lo
                                        ; implicit-def: $vgpr16_vgpr17
.LBB14_954:                             ;   in Loop: Header=BB14_17 Depth=1
	s_and_not1_saveexec_b32 s44, s44
	s_cbranch_execz .LBB14_964
; %bb.955:                              ;   in Loop: Header=BB14_17 Depth=1
	s_mov_b32 s46, s45
	s_mov_b32 s47, exec_lo
                                        ; implicit-def: $vgpr14
	v_cmpx_lt_i16_e32 14, v7
	s_xor_b32 s47, exec_lo, s47
	s_cbranch_execz .LBB14_959
; %bb.956:                              ;   in Loop: Header=BB14_17 Depth=1
	s_mov_b32 s46, s45
	s_mov_b32 s56, exec_lo
                                        ; implicit-def: $vgpr14
	v_cmpx_eq_u16_e32 15, v7
	s_cbranch_execz .LBB14_958
; %bb.957:                              ;   in Loop: Header=BB14_17 Depth=1
	flat_load_u16 v14, v[16:17]
	s_or_b32 s46, s45, exec_lo
	s_wait_loadcnt_dscnt 0x0
	v_lshlrev_b32_e32 v14, 16, v14
.LBB14_958:                             ;   in Loop: Header=BB14_17 Depth=1
	s_wait_xcnt 0x0
	s_or_b32 exec_lo, exec_lo, s56
	s_delay_alu instid0(SALU_CYCLE_1) | instskip(SKIP_1) | instid1(SALU_CYCLE_1)
	s_and_not1_b32 s56, s45, exec_lo
	s_and_b32 s46, s46, exec_lo
                                        ; implicit-def: $vgpr16_vgpr17
	s_or_b32 s46, s56, s46
.LBB14_959:                             ;   in Loop: Header=BB14_17 Depth=1
	s_and_not1_saveexec_b32 s47, s47
	s_cbranch_execz .LBB14_963
; %bb.960:                              ;   in Loop: Header=BB14_17 Depth=1
	s_mov_b32 s56, s46
	s_mov_b32 s57, exec_lo
                                        ; implicit-def: $vgpr14
	v_cmpx_eq_u16_e32 11, v7
	s_cbranch_execz .LBB14_962
; %bb.961:                              ;   in Loop: Header=BB14_17 Depth=1
	flat_load_u8 v14, v[16:17]
	s_or_b32 s56, s46, exec_lo
	s_wait_loadcnt_dscnt 0x0
	v_cmp_ne_u16_e32 vcc_lo, 0, v14
	v_cndmask_b32_e64 v14, 0, 1.0, vcc_lo
.LBB14_962:                             ;   in Loop: Header=BB14_17 Depth=1
	s_wait_xcnt 0x0
	s_or_b32 exec_lo, exec_lo, s57
	s_delay_alu instid0(SALU_CYCLE_1) | instskip(SKIP_1) | instid1(SALU_CYCLE_1)
	s_and_not1_b32 s46, s46, exec_lo
	s_and_b32 s56, s56, exec_lo
	s_or_b32 s46, s46, s56
.LBB14_963:                             ;   in Loop: Header=BB14_17 Depth=1
	s_or_b32 exec_lo, exec_lo, s47
	s_delay_alu instid0(SALU_CYCLE_1) | instskip(SKIP_1) | instid1(SALU_CYCLE_1)
	s_and_not1_b32 s45, s45, exec_lo
	s_and_b32 s46, s46, exec_lo
	s_or_b32 s45, s45, s46
.LBB14_964:                             ;   in Loop: Header=BB14_17 Depth=1
	s_or_b32 exec_lo, exec_lo, s44
	s_delay_alu instid0(SALU_CYCLE_1) | instskip(SKIP_1) | instid1(SALU_CYCLE_1)
	s_and_not1_b32 s43, s43, exec_lo
	s_and_b32 s44, s45, exec_lo
	s_or_b32 s43, s43, s44
.LBB14_965:                             ;   in Loop: Header=BB14_17 Depth=1
	s_or_b32 exec_lo, exec_lo, s40
	s_delay_alu instid0(SALU_CYCLE_1)
	s_and_b32 s44, s43, exec_lo
                                        ; implicit-def: $vgpr16_vgpr17
.LBB14_966:                             ;   in Loop: Header=BB14_17 Depth=1
	s_and_not1_saveexec_b32 s29, s29
	s_cbranch_execz .LBB14_1008
; %bb.967:                              ;   in Loop: Header=BB14_17 Depth=1
	s_mov_b32 s40, exec_lo
                                        ; implicit-def: $vgpr14
	v_cmpx_lt_i16_e32 4, v7
	s_xor_b32 s40, exec_lo, s40
	s_cbranch_execz .LBB14_989
; %bb.968:                              ;   in Loop: Header=BB14_17 Depth=1
	s_mov_b32 s43, exec_lo
                                        ; implicit-def: $vgpr14
	v_cmpx_lt_i16_e32 7, v7
	s_xor_b32 s43, exec_lo, s43
	;; [unrolled: 6-line block ×4, first 2 shown]
	s_cbranch_execz .LBB14_972
; %bb.971:                              ;   in Loop: Header=BB14_17 Depth=1
	flat_load_b64 v[16:17], v[16:17]
	s_wait_loadcnt_dscnt 0x0
	v_cvt_f32_f64_e32 v14, v[16:17]
                                        ; implicit-def: $vgpr16_vgpr17
.LBB14_972:                             ;   in Loop: Header=BB14_17 Depth=1
	s_wait_xcnt 0x0
	s_and_not1_saveexec_b32 s46, s46
	s_cbranch_execz .LBB14_974
; %bb.973:                              ;   in Loop: Header=BB14_17 Depth=1
	flat_load_b32 v14, v[16:17]
.LBB14_974:                             ;   in Loop: Header=BB14_17 Depth=1
	s_wait_xcnt 0x0
	s_or_b32 exec_lo, exec_lo, s46
                                        ; implicit-def: $vgpr16_vgpr17
.LBB14_975:                             ;   in Loop: Header=BB14_17 Depth=1
	s_and_not1_saveexec_b32 s45, s45
	s_cbranch_execz .LBB14_977
; %bb.976:                              ;   in Loop: Header=BB14_17 Depth=1
	s_wait_loadcnt_dscnt 0x0
	flat_load_b32 v14, v[16:17]
	s_wait_loadcnt_dscnt 0x0
	v_cvt_f32_f16_e32 v14, v14
.LBB14_977:                             ;   in Loop: Header=BB14_17 Depth=1
	s_wait_xcnt 0x0
	s_or_b32 exec_lo, exec_lo, s45
                                        ; implicit-def: $vgpr16_vgpr17
.LBB14_978:                             ;   in Loop: Header=BB14_17 Depth=1
	s_and_not1_saveexec_b32 s43, s43
	s_cbranch_execz .LBB14_988
; %bb.979:                              ;   in Loop: Header=BB14_17 Depth=1
	s_mov_b32 s45, exec_lo
                                        ; implicit-def: $vgpr14
	v_cmpx_lt_i16_e32 5, v7
	s_xor_b32 s45, exec_lo, s45
	s_cbranch_execz .LBB14_985
; %bb.980:                              ;   in Loop: Header=BB14_17 Depth=1
	s_mov_b32 s46, exec_lo
                                        ; implicit-def: $vgpr14
	v_cmpx_lt_i16_e32 6, v7
	s_xor_b32 s46, exec_lo, s46
	s_cbranch_execz .LBB14_982
; %bb.981:                              ;   in Loop: Header=BB14_17 Depth=1
	flat_load_b64 v[16:17], v[16:17]
	s_wait_loadcnt_dscnt 0x0
	v_cvt_f32_f64_e32 v14, v[16:17]
                                        ; implicit-def: $vgpr16_vgpr17
.LBB14_982:                             ;   in Loop: Header=BB14_17 Depth=1
	s_wait_xcnt 0x0
	s_and_not1_saveexec_b32 s46, s46
	s_cbranch_execz .LBB14_984
; %bb.983:                              ;   in Loop: Header=BB14_17 Depth=1
	s_wait_loadcnt_dscnt 0x0
	flat_load_b32 v14, v[16:17]
.LBB14_984:                             ;   in Loop: Header=BB14_17 Depth=1
	s_wait_xcnt 0x0
	s_or_b32 exec_lo, exec_lo, s46
                                        ; implicit-def: $vgpr16_vgpr17
.LBB14_985:                             ;   in Loop: Header=BB14_17 Depth=1
	s_and_not1_saveexec_b32 s45, s45
	s_cbranch_execz .LBB14_987
; %bb.986:                              ;   in Loop: Header=BB14_17 Depth=1
	s_wait_loadcnt_dscnt 0x0
	flat_load_u16 v14, v[16:17]
	s_wait_loadcnt_dscnt 0x0
	v_cvt_f32_f16_e32 v14, v14
.LBB14_987:                             ;   in Loop: Header=BB14_17 Depth=1
	s_wait_xcnt 0x0
	s_or_b32 exec_lo, exec_lo, s45
.LBB14_988:                             ;   in Loop: Header=BB14_17 Depth=1
	s_delay_alu instid0(SALU_CYCLE_1)
	s_or_b32 exec_lo, exec_lo, s43
                                        ; implicit-def: $vgpr16_vgpr17
.LBB14_989:                             ;   in Loop: Header=BB14_17 Depth=1
	s_and_not1_saveexec_b32 s40, s40
	s_cbranch_execz .LBB14_1007
; %bb.990:                              ;   in Loop: Header=BB14_17 Depth=1
	s_mov_b32 s43, exec_lo
                                        ; implicit-def: $vgpr14
	v_cmpx_lt_i16_e32 1, v7
	s_xor_b32 s43, exec_lo, s43
	s_cbranch_execz .LBB14_1000
; %bb.991:                              ;   in Loop: Header=BB14_17 Depth=1
	s_mov_b32 s45, exec_lo
                                        ; implicit-def: $vgpr14
	v_cmpx_lt_i16_e32 2, v7
	s_xor_b32 s45, exec_lo, s45
	;; [unrolled: 6-line block ×3, first 2 shown]
	s_cbranch_execz .LBB14_994
; %bb.993:                              ;   in Loop: Header=BB14_17 Depth=1
	flat_load_b64 v[16:17], v[16:17]
	s_wait_loadcnt_dscnt 0x0
	v_xor_b32_e32 v14, v16, v17
	v_cls_i32_e32 v20, v17
	s_delay_alu instid0(VALU_DEP_2) | instskip(NEXT) | instid1(VALU_DEP_1)
	v_ashrrev_i32_e32 v14, 31, v14
	v_add_nc_u32_e32 v14, 32, v14
	s_delay_alu instid0(VALU_DEP_1) | instskip(SKIP_1) | instid1(VALU_DEP_1)
	v_add_min_u32_e64 v14, v20, -1, v14
	s_wait_xcnt 0x0
	v_lshlrev_b64_e32 v[16:17], v14, v[16:17]
	v_sub_nc_u32_e32 v14, 32, v14
	s_delay_alu instid0(VALU_DEP_2) | instskip(NEXT) | instid1(VALU_DEP_1)
	v_min_u32_e32 v16, 1, v16
	v_or_b32_e32 v16, v17, v16
	s_delay_alu instid0(VALU_DEP_1) | instskip(NEXT) | instid1(VALU_DEP_1)
	v_cvt_f32_i32_e32 v16, v16
	v_ldexp_f32 v14, v16, v14
                                        ; implicit-def: $vgpr16_vgpr17
.LBB14_994:                             ;   in Loop: Header=BB14_17 Depth=1
	s_and_not1_saveexec_b32 s46, s46
	s_cbranch_execz .LBB14_996
; %bb.995:                              ;   in Loop: Header=BB14_17 Depth=1
	s_wait_loadcnt_dscnt 0x0
	flat_load_b32 v14, v[16:17]
	s_wait_loadcnt_dscnt 0x0
	v_cvt_f32_i32_e32 v14, v14
.LBB14_996:                             ;   in Loop: Header=BB14_17 Depth=1
	s_wait_xcnt 0x0
	s_or_b32 exec_lo, exec_lo, s46
                                        ; implicit-def: $vgpr16_vgpr17
.LBB14_997:                             ;   in Loop: Header=BB14_17 Depth=1
	s_and_not1_saveexec_b32 s45, s45
	s_cbranch_execz .LBB14_999
; %bb.998:                              ;   in Loop: Header=BB14_17 Depth=1
	s_wait_loadcnt_dscnt 0x0
	flat_load_i16 v14, v[16:17]
	s_wait_loadcnt_dscnt 0x0
	v_cvt_f32_i32_e32 v14, v14
.LBB14_999:                             ;   in Loop: Header=BB14_17 Depth=1
	s_wait_xcnt 0x0
	s_or_b32 exec_lo, exec_lo, s45
                                        ; implicit-def: $vgpr16_vgpr17
.LBB14_1000:                            ;   in Loop: Header=BB14_17 Depth=1
	s_and_not1_saveexec_b32 s43, s43
	s_cbranch_execz .LBB14_1006
; %bb.1001:                             ;   in Loop: Header=BB14_17 Depth=1
	s_mov_b32 s45, exec_lo
                                        ; implicit-def: $vgpr14
	v_cmpx_lt_i16_e32 0, v7
	s_xor_b32 s45, exec_lo, s45
	s_cbranch_execz .LBB14_1003
; %bb.1002:                             ;   in Loop: Header=BB14_17 Depth=1
	s_wait_loadcnt_dscnt 0x0
	flat_load_i8 v14, v[16:17]
                                        ; implicit-def: $vgpr16_vgpr17
	s_wait_loadcnt_dscnt 0x0
	v_cvt_f32_i32_e32 v14, v14
.LBB14_1003:                            ;   in Loop: Header=BB14_17 Depth=1
	s_wait_xcnt 0x0
	s_and_not1_saveexec_b32 s45, s45
	s_cbranch_execz .LBB14_1005
; %bb.1004:                             ;   in Loop: Header=BB14_17 Depth=1
	s_wait_loadcnt_dscnt 0x0
	flat_load_u8 v14, v[16:17]
	s_wait_loadcnt_dscnt 0x0
	v_cvt_f32_ubyte0_e32 v14, v14
.LBB14_1005:                            ;   in Loop: Header=BB14_17 Depth=1
	s_wait_xcnt 0x0
	s_or_b32 exec_lo, exec_lo, s45
.LBB14_1006:                            ;   in Loop: Header=BB14_17 Depth=1
	s_delay_alu instid0(SALU_CYCLE_1)
	s_or_b32 exec_lo, exec_lo, s43
.LBB14_1007:                            ;   in Loop: Header=BB14_17 Depth=1
	s_delay_alu instid0(SALU_CYCLE_1) | instskip(NEXT) | instid1(SALU_CYCLE_1)
	s_or_b32 exec_lo, exec_lo, s40
	s_or_b32 s44, s44, exec_lo
.LBB14_1008:                            ;   in Loop: Header=BB14_17 Depth=1
	s_or_b32 exec_lo, exec_lo, s29
	s_mov_b32 s29, -1
	s_mov_b32 s45, 0
	s_mov_b32 s40, 0
	s_and_saveexec_b32 s43, s44
	s_cbranch_execz .LBB14_1014
; %bb.1009:                             ;   in Loop: Header=BB14_17 Depth=1
	s_add_co_i32 s29, s32, s1
	s_mov_b32 s44, 0
	s_wait_loadcnt_dscnt 0x0
	scratch_store_b32 off, v14, s29 offset:68
	s_wait_xcnt 0x0
	v_mul_lo_u32 v14, v19, v10
	v_and_b32_e32 v19, 0xff, v8
	s_mov_b32 s40, exec_lo
	s_delay_alu instid0(VALU_DEP_2) | instskip(NEXT) | instid1(VALU_DEP_2)
	v_add_nc_u64_e32 v[16:17], v[4:5], v[14:15]
                                        ; implicit-def: $vgpr14
	v_cmpx_lt_i16_e32 10, v19
	s_xor_b32 s40, exec_lo, s40
	s_cbranch_execnz .LBB14_2666
; %bb.1010:                             ;   in Loop: Header=BB14_17 Depth=1
	s_and_not1_saveexec_b32 s40, s40
	s_cbranch_execnz .LBB14_2725
.LBB14_1011:                            ;   in Loop: Header=BB14_17 Depth=1
	s_or_b32 exec_lo, exec_lo, s40
	s_mov_b32 s45, 0
	s_and_saveexec_b32 s40, s44
	s_cbranch_execz .LBB14_1013
.LBB14_1012:                            ;   in Loop: Header=BB14_17 Depth=1
	v_add_nc_u32_e32 v18, 0x200, v18
	s_mov_b32 s45, exec_lo
	s_wait_loadcnt_dscnt 0x0
	scratch_store_b32 off, v14, s29 offset:64
.LBB14_1013:                            ;   in Loop: Header=BB14_17 Depth=1
	s_wait_xcnt 0x0
	s_or_b32 exec_lo, exec_lo, s40
	s_delay_alu instid0(SALU_CYCLE_1)
	s_mov_b32 s40, exec_lo
	s_xor_b32 s29, exec_lo, -1
	s_and_b32 s45, s45, exec_lo
.LBB14_1014:                            ;   in Loop: Header=BB14_17 Depth=1
	s_or_b32 exec_lo, exec_lo, s43
	s_delay_alu instid0(SALU_CYCLE_1)
	s_or_not1_b32 s43, s45, exec_lo
.LBB14_1015:                            ;   in Loop: Header=BB14_17 Depth=1
	s_or_b32 exec_lo, exec_lo, s41
	s_and_saveexec_b32 s41, s43
	s_cbranch_execz .LBB14_8
; %bb.1016:                             ;   in Loop: Header=BB14_17 Depth=1
	s_mov_b32 s45, -1
	s_mov_b32 s46, -1
	s_mov_b32 s44, exec_lo
                                        ; implicit-def: $sgpr42
                                        ; implicit-def: $sgpr43
	v_cmpx_lt_i32_e64 v18, v6
	s_cbranch_execz .LBB14_1126
; %bb.1017:                             ;   in Loop: Header=BB14_17 Depth=1
	v_add_nc_u32_e32 v19, s2, v18
	s_mov_b32 s47, 0
	s_mov_b32 s42, exec_lo
	s_wait_loadcnt_dscnt 0x0
	s_delay_alu instid0(VALU_DEP_1) | instskip(NEXT) | instid1(VALU_DEP_1)
	v_mul_lo_u32 v14, v19, v9
	v_add_nc_u64_e32 v[16:17], v[2:3], v[14:15]
                                        ; implicit-def: $vgpr14
	v_cmpx_lt_i16_e32 10, v7
	s_xor_b32 s42, exec_lo, s42
	s_cbranch_execz .LBB14_1077
; %bb.1018:                             ;   in Loop: Header=BB14_17 Depth=1
	s_mov_b32 s46, 0
	s_mov_b32 s43, exec_lo
                                        ; implicit-def: $vgpr14
	v_cmpx_lt_i16_e32 25, v7
	s_xor_b32 s43, exec_lo, s43
	s_cbranch_execz .LBB14_1050
; %bb.1019:                             ;   in Loop: Header=BB14_17 Depth=1
	s_mov_b32 s47, exec_lo
                                        ; implicit-def: $vgpr14
	v_cmpx_lt_i16_e32 28, v7
	s_xor_b32 s47, exec_lo, s47
	s_cbranch_execz .LBB14_1035
; %bb.1020:                             ;   in Loop: Header=BB14_17 Depth=1
	s_mov_b32 s56, 0
	s_mov_b32 s46, exec_lo
                                        ; implicit-def: $vgpr14
	v_cmpx_lt_i16_e32 43, v7
	s_xor_b32 s46, exec_lo, s46
	s_cbranch_execz .LBB14_1030
; %bb.1021:                             ;   in Loop: Header=BB14_17 Depth=1
	s_mov_b32 s57, exec_lo
                                        ; implicit-def: $vgpr14
	v_cmpx_lt_i16_e32 45, v7
	s_xor_b32 s57, exec_lo, s57
	s_cbranch_execz .LBB14_1025
; %bb.1022:                             ;   in Loop: Header=BB14_17 Depth=1
	s_mov_b32 s58, exec_lo
                                        ; implicit-def: $vgpr14
	v_cmpx_eq_u16_e32 46, v7
	s_cbranch_execz .LBB14_1024
; %bb.1023:                             ;   in Loop: Header=BB14_17 Depth=1
	flat_load_b32 v14, v[16:17]
	s_mov_b32 s56, exec_lo
	s_wait_loadcnt_dscnt 0x0
	v_lshlrev_b32_e32 v14, 16, v14
.LBB14_1024:                            ;   in Loop: Header=BB14_17 Depth=1
	s_wait_xcnt 0x0
	s_or_b32 exec_lo, exec_lo, s58
	s_delay_alu instid0(SALU_CYCLE_1)
	s_and_b32 s56, s56, exec_lo
                                        ; implicit-def: $vgpr16_vgpr17
.LBB14_1025:                            ;   in Loop: Header=BB14_17 Depth=1
	s_and_not1_saveexec_b32 s57, s57
	s_cbranch_execz .LBB14_1029
; %bb.1026:                             ;   in Loop: Header=BB14_17 Depth=1
	s_mov_b32 s59, s56
	s_mov_b32 s58, exec_lo
                                        ; implicit-def: $vgpr14
	v_cmpx_eq_u16_e32 44, v7
	s_cbranch_execz .LBB14_1028
; %bb.1027:                             ;   in Loop: Header=BB14_17 Depth=1
	flat_load_u8 v14, v[16:17]
	s_or_b32 s59, s56, exec_lo
	s_wait_loadcnt_dscnt 0x0
	v_lshlrev_b32_e32 v16, 23, v14
	v_cmp_ne_u32_e32 vcc_lo, 0xff, v14
	s_delay_alu instid0(VALU_DEP_2) | instskip(SKIP_1) | instid1(VALU_DEP_2)
	v_cndmask_b32_e32 v16, 0x7f800001, v16, vcc_lo
	v_cmp_ne_u32_e32 vcc_lo, 0, v14
	v_cndmask_b32_e32 v14, 0x400000, v16, vcc_lo
.LBB14_1028:                            ;   in Loop: Header=BB14_17 Depth=1
	s_or_b32 exec_lo, exec_lo, s58
	s_delay_alu instid0(SALU_CYCLE_1) | instskip(SKIP_1) | instid1(SALU_CYCLE_1)
	s_and_not1_b32 s56, s56, exec_lo
	s_and_b32 s58, s59, exec_lo
	s_or_b32 s56, s56, s58
.LBB14_1029:                            ;   in Loop: Header=BB14_17 Depth=1
	s_or_b32 exec_lo, exec_lo, s57
	s_delay_alu instid0(SALU_CYCLE_1)
	s_and_b32 s56, s56, exec_lo
                                        ; implicit-def: $vgpr16_vgpr17
.LBB14_1030:                            ;   in Loop: Header=BB14_17 Depth=1
	s_and_not1_saveexec_b32 s46, s46
	s_cbranch_execz .LBB14_1034
; %bb.1031:                             ;   in Loop: Header=BB14_17 Depth=1
	s_mov_b32 s58, s56
	s_mov_b32 s57, exec_lo
                                        ; implicit-def: $vgpr14
	v_cmpx_eq_u16_e32 29, v7
	s_cbranch_execz .LBB14_1033
; %bb.1032:                             ;   in Loop: Header=BB14_17 Depth=1
	flat_load_b64 v[16:17], v[16:17]
	s_or_b32 s58, s56, exec_lo
	s_wait_loadcnt_dscnt 0x0
	v_clz_i32_u32_e32 v14, v17
	s_delay_alu instid0(VALU_DEP_1) | instskip(SKIP_1) | instid1(VALU_DEP_1)
	v_min_u32_e32 v14, 32, v14
	s_wait_xcnt 0x0
	v_lshlrev_b64_e32 v[16:17], v14, v[16:17]
	v_sub_nc_u32_e32 v14, 32, v14
	s_delay_alu instid0(VALU_DEP_2) | instskip(NEXT) | instid1(VALU_DEP_1)
	v_min_u32_e32 v16, 1, v16
	v_or_b32_e32 v16, v17, v16
	s_delay_alu instid0(VALU_DEP_1) | instskip(NEXT) | instid1(VALU_DEP_1)
	v_cvt_f32_u32_e32 v16, v16
	v_ldexp_f32 v14, v16, v14
.LBB14_1033:                            ;   in Loop: Header=BB14_17 Depth=1
	s_or_b32 exec_lo, exec_lo, s57
	s_delay_alu instid0(SALU_CYCLE_1) | instskip(SKIP_1) | instid1(SALU_CYCLE_1)
	s_and_not1_b32 s56, s56, exec_lo
	s_and_b32 s57, s58, exec_lo
	s_or_b32 s56, s56, s57
.LBB14_1034:                            ;   in Loop: Header=BB14_17 Depth=1
	s_or_b32 exec_lo, exec_lo, s46
	s_delay_alu instid0(SALU_CYCLE_1)
	s_and_b32 s46, s56, exec_lo
                                        ; implicit-def: $vgpr16_vgpr17
.LBB14_1035:                            ;   in Loop: Header=BB14_17 Depth=1
	s_and_not1_saveexec_b32 s47, s47
	s_cbranch_execz .LBB14_1049
; %bb.1036:                             ;   in Loop: Header=BB14_17 Depth=1
	s_mov_b32 s56, exec_lo
                                        ; implicit-def: $vgpr14
	v_cmpx_lt_i16_e32 26, v7
	s_xor_b32 s56, exec_lo, s56
	s_cbranch_execz .LBB14_1042
; %bb.1037:                             ;   in Loop: Header=BB14_17 Depth=1
	s_mov_b32 s57, exec_lo
                                        ; implicit-def: $vgpr14
	v_cmpx_lt_i16_e32 27, v7
	s_xor_b32 s57, exec_lo, s57
	s_cbranch_execz .LBB14_1039
; %bb.1038:                             ;   in Loop: Header=BB14_17 Depth=1
	flat_load_b32 v14, v[16:17]
                                        ; implicit-def: $vgpr16_vgpr17
	s_wait_loadcnt_dscnt 0x0
	v_cvt_f32_u32_e32 v14, v14
.LBB14_1039:                            ;   in Loop: Header=BB14_17 Depth=1
	s_wait_xcnt 0x0
	s_and_not1_saveexec_b32 s57, s57
	s_cbranch_execz .LBB14_1041
; %bb.1040:                             ;   in Loop: Header=BB14_17 Depth=1
	flat_load_u16 v14, v[16:17]
	s_wait_loadcnt_dscnt 0x0
	v_cvt_f32_u32_e32 v14, v14
.LBB14_1041:                            ;   in Loop: Header=BB14_17 Depth=1
	s_wait_xcnt 0x0
	s_or_b32 exec_lo, exec_lo, s57
                                        ; implicit-def: $vgpr16_vgpr17
.LBB14_1042:                            ;   in Loop: Header=BB14_17 Depth=1
	s_and_not1_saveexec_b32 s56, s56
	s_cbranch_execz .LBB14_1048
; %bb.1043:                             ;   in Loop: Header=BB14_17 Depth=1
	flat_load_u8 v16, v[16:17]
	s_mov_b32 s57, 0
	s_mov_b32 s58, exec_lo
	s_wait_loadcnt_dscnt 0x0
	v_cmpx_lt_i16_e32 0x7f, v16
	s_xor_b32 s58, exec_lo, s58
	s_cbranch_execnz .LBB14_3126
; %bb.1044:                             ;   in Loop: Header=BB14_17 Depth=1
	s_or_saveexec_b32 s58, s58
	v_mov_b32_e32 v14, 0x7f800001
	s_xor_b32 exec_lo, exec_lo, s58
	s_cbranch_execnz .LBB14_3129
.LBB14_1045:                            ;   in Loop: Header=BB14_17 Depth=1
	s_or_b32 exec_lo, exec_lo, s58
	s_and_saveexec_b32 s58, s57
	s_cbranch_execz .LBB14_1047
.LBB14_1046:                            ;   in Loop: Header=BB14_17 Depth=1
	v_and_b32_e32 v14, 0xffff, v16
	s_delay_alu instid0(VALU_DEP_1) | instskip(SKIP_1) | instid1(VALU_DEP_2)
	v_and_b32_e32 v17, 7, v14
	v_bfe_u32 v22, v14, 3, 4
	v_clz_i32_u32_e32 v20, v17
	s_delay_alu instid0(VALU_DEP_2) | instskip(NEXT) | instid1(VALU_DEP_2)
	v_cmp_eq_u32_e32 vcc_lo, 0, v22
	v_min_u32_e32 v20, 32, v20
	s_delay_alu instid0(VALU_DEP_1) | instskip(NEXT) | instid1(VALU_DEP_1)
	v_subrev_nc_u32_e32 v21, 28, v20
	v_dual_lshlrev_b32 v14, v21, v14 :: v_dual_sub_nc_u32 v20, 29, v20
	s_delay_alu instid0(VALU_DEP_1) | instskip(NEXT) | instid1(VALU_DEP_1)
	v_dual_lshlrev_b32 v16, 24, v16 :: v_dual_bitop2_b32 v14, 7, v14 bitop3:0x40
	v_dual_cndmask_b32 v14, v17, v14, vcc_lo :: v_dual_cndmask_b32 v20, v22, v20, vcc_lo
	s_delay_alu instid0(VALU_DEP_2) | instskip(NEXT) | instid1(VALU_DEP_2)
	v_and_b32_e32 v16, 0x80000000, v16
	v_lshlrev_b32_e32 v14, 20, v14
	s_delay_alu instid0(VALU_DEP_3) | instskip(NEXT) | instid1(VALU_DEP_1)
	v_lshl_add_u32 v17, v20, 23, 0x3b800000
	v_or3_b32 v14, v16, v17, v14
.LBB14_1047:                            ;   in Loop: Header=BB14_17 Depth=1
	s_or_b32 exec_lo, exec_lo, s58
.LBB14_1048:                            ;   in Loop: Header=BB14_17 Depth=1
	s_delay_alu instid0(SALU_CYCLE_1) | instskip(NEXT) | instid1(SALU_CYCLE_1)
	s_or_b32 exec_lo, exec_lo, s56
	s_or_b32 s46, s46, exec_lo
.LBB14_1049:                            ;   in Loop: Header=BB14_17 Depth=1
	s_or_b32 exec_lo, exec_lo, s47
	s_delay_alu instid0(SALU_CYCLE_1)
	s_and_b32 s46, s46, exec_lo
                                        ; implicit-def: $vgpr16_vgpr17
.LBB14_1050:                            ;   in Loop: Header=BB14_17 Depth=1
	s_and_not1_saveexec_b32 s43, s43
	s_cbranch_execz .LBB14_1076
; %bb.1051:                             ;   in Loop: Header=BB14_17 Depth=1
	s_mov_b32 s56, s46
	s_mov_b32 s47, exec_lo
                                        ; implicit-def: $vgpr14
	v_cmpx_lt_i16_e32 22, v7
	s_xor_b32 s47, exec_lo, s47
	s_cbranch_execz .LBB14_1065
; %bb.1052:                             ;   in Loop: Header=BB14_17 Depth=1
	s_mov_b32 s56, exec_lo
                                        ; implicit-def: $vgpr14
	v_cmpx_lt_i16_e32 23, v7
	s_xor_b32 s56, exec_lo, s56
	s_cbranch_execz .LBB14_1062
; %bb.1053:                             ;   in Loop: Header=BB14_17 Depth=1
	s_mov_b32 s57, exec_lo
                                        ; implicit-def: $vgpr14
	v_cmpx_lt_i16_e32 24, v7
	s_xor_b32 s57, exec_lo, s57
	s_cbranch_execz .LBB14_1059
; %bb.1054:                             ;   in Loop: Header=BB14_17 Depth=1
	flat_load_u8 v16, v[16:17]
	s_mov_b32 s58, 0
	s_mov_b32 s59, exec_lo
	s_wait_loadcnt_dscnt 0x0
	v_cmpx_lt_i16_e32 0x7f, v16
	s_xor_b32 s59, exec_lo, s59
	s_cbranch_execnz .LBB14_3238
; %bb.1055:                             ;   in Loop: Header=BB14_17 Depth=1
	s_or_saveexec_b32 s59, s59
	v_mov_b32_e32 v14, 0x7f800001
	s_xor_b32 exec_lo, exec_lo, s59
	s_cbranch_execnz .LBB14_3241
.LBB14_1056:                            ;   in Loop: Header=BB14_17 Depth=1
	s_or_b32 exec_lo, exec_lo, s59
	s_and_saveexec_b32 s59, s58
	s_cbranch_execz .LBB14_1058
.LBB14_1057:                            ;   in Loop: Header=BB14_17 Depth=1
	v_and_b32_e32 v14, 0xffff, v16
	s_delay_alu instid0(VALU_DEP_1) | instskip(SKIP_1) | instid1(VALU_DEP_2)
	v_and_b32_e32 v17, 3, v14
	v_bfe_u32 v22, v14, 2, 5
	v_clz_i32_u32_e32 v20, v17
	s_delay_alu instid0(VALU_DEP_2) | instskip(NEXT) | instid1(VALU_DEP_2)
	v_cmp_eq_u32_e32 vcc_lo, 0, v22
	v_min_u32_e32 v20, 32, v20
	s_delay_alu instid0(VALU_DEP_1) | instskip(NEXT) | instid1(VALU_DEP_1)
	v_subrev_nc_u32_e32 v21, 29, v20
	v_dual_lshlrev_b32 v14, v21, v14 :: v_dual_sub_nc_u32 v20, 30, v20
	s_delay_alu instid0(VALU_DEP_1) | instskip(NEXT) | instid1(VALU_DEP_1)
	v_dual_lshlrev_b32 v16, 24, v16 :: v_dual_bitop2_b32 v14, 3, v14 bitop3:0x40
	v_dual_cndmask_b32 v14, v17, v14, vcc_lo :: v_dual_cndmask_b32 v20, v22, v20, vcc_lo
	s_delay_alu instid0(VALU_DEP_2) | instskip(NEXT) | instid1(VALU_DEP_2)
	v_and_b32_e32 v16, 0x80000000, v16
	v_lshlrev_b32_e32 v14, 21, v14
	s_delay_alu instid0(VALU_DEP_3) | instskip(NEXT) | instid1(VALU_DEP_1)
	v_lshl_add_u32 v17, v20, 23, 0x37800000
	v_or3_b32 v14, v16, v17, v14
.LBB14_1058:                            ;   in Loop: Header=BB14_17 Depth=1
	s_or_b32 exec_lo, exec_lo, s59
                                        ; implicit-def: $vgpr16_vgpr17
.LBB14_1059:                            ;   in Loop: Header=BB14_17 Depth=1
	s_and_not1_saveexec_b32 s57, s57
	s_cbranch_execz .LBB14_1061
; %bb.1060:                             ;   in Loop: Header=BB14_17 Depth=1
	flat_load_u8 v14, v[16:17]
	s_wait_loadcnt_dscnt 0x0
	v_lshlrev_b32_e32 v14, 24, v14
	s_wait_xcnt 0x0
	s_delay_alu instid0(VALU_DEP_1) | instskip(NEXT) | instid1(VALU_DEP_1)
	v_and_b32_e32 v16, 0x7f000000, v14
	v_clz_i32_u32_e32 v17, v16
	v_cmp_ne_u32_e32 vcc_lo, 0, v16
	v_add_nc_u32_e32 v21, 0x1000000, v16
	s_delay_alu instid0(VALU_DEP_3) | instskip(NEXT) | instid1(VALU_DEP_1)
	v_min_u32_e32 v17, 32, v17
	v_sub_nc_u32_e64 v17, v17, 4 clamp
	s_delay_alu instid0(VALU_DEP_1) | instskip(NEXT) | instid1(VALU_DEP_1)
	v_dual_lshlrev_b32 v20, v17, v16 :: v_dual_lshlrev_b32 v17, 23, v17
	v_lshrrev_b32_e32 v20, 4, v20
	s_delay_alu instid0(VALU_DEP_1) | instskip(SKIP_1) | instid1(VALU_DEP_2)
	v_sub_nc_u32_e32 v17, v20, v17
	v_ashrrev_i32_e32 v20, 8, v21
	v_add_nc_u32_e32 v17, 0x3c000000, v17
	s_delay_alu instid0(VALU_DEP_1) | instskip(NEXT) | instid1(VALU_DEP_1)
	v_and_or_b32 v17, 0x7f800000, v20, v17
	v_cndmask_b32_e32 v16, 0, v17, vcc_lo
	s_delay_alu instid0(VALU_DEP_1)
	v_and_or_b32 v14, 0x80000000, v14, v16
.LBB14_1061:                            ;   in Loop: Header=BB14_17 Depth=1
	s_or_b32 exec_lo, exec_lo, s57
                                        ; implicit-def: $vgpr16_vgpr17
.LBB14_1062:                            ;   in Loop: Header=BB14_17 Depth=1
	s_and_not1_saveexec_b32 s56, s56
	s_cbranch_execz .LBB14_1064
; %bb.1063:                             ;   in Loop: Header=BB14_17 Depth=1
	flat_load_u8 v14, v[16:17]
	s_wait_loadcnt_dscnt 0x0
	v_lshlrev_b32_e32 v16, 25, v14
	v_lshlrev_b16 v14, 8, v14
	s_delay_alu instid0(VALU_DEP_1) | instskip(SKIP_1) | instid1(VALU_DEP_2)
	v_and_or_b32 v20, 0x7f00, v14, 0.5
	v_bfe_i32 v14, v14, 0, 16
	v_add_f32_e32 v20, -0.5, v20
	v_lshrrev_b32_e32 v17, 4, v16
	v_cmp_gt_u32_e32 vcc_lo, 0x8000000, v16
	s_delay_alu instid0(VALU_DEP_2) | instskip(NEXT) | instid1(VALU_DEP_1)
	v_or_b32_e32 v17, 0x70000000, v17
	v_mul_f32_e32 v17, 0x7800000, v17
	s_delay_alu instid0(VALU_DEP_1) | instskip(NEXT) | instid1(VALU_DEP_1)
	v_cndmask_b32_e32 v16, v17, v20, vcc_lo
	v_and_or_b32 v14, 0x80000000, v14, v16
.LBB14_1064:                            ;   in Loop: Header=BB14_17 Depth=1
	s_or_b32 exec_lo, exec_lo, s56
	s_delay_alu instid0(SALU_CYCLE_1)
	s_or_b32 s56, s46, exec_lo
                                        ; implicit-def: $vgpr16_vgpr17
.LBB14_1065:                            ;   in Loop: Header=BB14_17 Depth=1
	s_and_not1_saveexec_b32 s47, s47
	s_cbranch_execz .LBB14_1075
; %bb.1066:                             ;   in Loop: Header=BB14_17 Depth=1
	s_mov_b32 s57, s56
	s_mov_b32 s58, exec_lo
                                        ; implicit-def: $vgpr14
	v_cmpx_lt_i16_e32 14, v7
	s_xor_b32 s58, exec_lo, s58
	s_cbranch_execz .LBB14_1070
; %bb.1067:                             ;   in Loop: Header=BB14_17 Depth=1
	s_mov_b32 s57, s56
	s_mov_b32 s59, exec_lo
                                        ; implicit-def: $vgpr14
	v_cmpx_eq_u16_e32 15, v7
	s_cbranch_execz .LBB14_1069
; %bb.1068:                             ;   in Loop: Header=BB14_17 Depth=1
	flat_load_u16 v14, v[16:17]
	s_or_b32 s57, s56, exec_lo
	s_wait_loadcnt_dscnt 0x0
	v_lshlrev_b32_e32 v14, 16, v14
.LBB14_1069:                            ;   in Loop: Header=BB14_17 Depth=1
	s_wait_xcnt 0x0
	s_or_b32 exec_lo, exec_lo, s59
	s_delay_alu instid0(SALU_CYCLE_1) | instskip(SKIP_1) | instid1(SALU_CYCLE_1)
	s_and_not1_b32 s59, s56, exec_lo
	s_and_b32 s57, s57, exec_lo
                                        ; implicit-def: $vgpr16_vgpr17
	s_or_b32 s57, s59, s57
.LBB14_1070:                            ;   in Loop: Header=BB14_17 Depth=1
	s_and_not1_saveexec_b32 s58, s58
	s_cbranch_execz .LBB14_1074
; %bb.1071:                             ;   in Loop: Header=BB14_17 Depth=1
	s_mov_b32 s59, s57
	s_mov_b32 s60, exec_lo
                                        ; implicit-def: $vgpr14
	v_cmpx_eq_u16_e32 11, v7
	s_cbranch_execz .LBB14_1073
; %bb.1072:                             ;   in Loop: Header=BB14_17 Depth=1
	flat_load_u8 v14, v[16:17]
	s_or_b32 s59, s57, exec_lo
	s_wait_loadcnt_dscnt 0x0
	v_cmp_ne_u16_e32 vcc_lo, 0, v14
	v_cndmask_b32_e64 v14, 0, 1.0, vcc_lo
.LBB14_1073:                            ;   in Loop: Header=BB14_17 Depth=1
	s_wait_xcnt 0x0
	s_or_b32 exec_lo, exec_lo, s60
	s_delay_alu instid0(SALU_CYCLE_1) | instskip(SKIP_1) | instid1(SALU_CYCLE_1)
	s_and_not1_b32 s57, s57, exec_lo
	s_and_b32 s59, s59, exec_lo
	s_or_b32 s57, s57, s59
.LBB14_1074:                            ;   in Loop: Header=BB14_17 Depth=1
	s_or_b32 exec_lo, exec_lo, s58
	s_delay_alu instid0(SALU_CYCLE_1) | instskip(SKIP_1) | instid1(SALU_CYCLE_1)
	s_and_not1_b32 s56, s56, exec_lo
	s_and_b32 s57, s57, exec_lo
	s_or_b32 s56, s56, s57
.LBB14_1075:                            ;   in Loop: Header=BB14_17 Depth=1
	s_or_b32 exec_lo, exec_lo, s47
	s_delay_alu instid0(SALU_CYCLE_1) | instskip(SKIP_1) | instid1(SALU_CYCLE_1)
	s_and_not1_b32 s46, s46, exec_lo
	s_and_b32 s47, s56, exec_lo
	s_or_b32 s46, s46, s47
.LBB14_1076:                            ;   in Loop: Header=BB14_17 Depth=1
	s_or_b32 exec_lo, exec_lo, s43
	s_delay_alu instid0(SALU_CYCLE_1)
	s_and_b32 s47, s46, exec_lo
                                        ; implicit-def: $vgpr16_vgpr17
.LBB14_1077:                            ;   in Loop: Header=BB14_17 Depth=1
	s_and_not1_saveexec_b32 s42, s42
	s_cbranch_execz .LBB14_1119
; %bb.1078:                             ;   in Loop: Header=BB14_17 Depth=1
	s_mov_b32 s43, exec_lo
                                        ; implicit-def: $vgpr14
	v_cmpx_lt_i16_e32 4, v7
	s_xor_b32 s43, exec_lo, s43
	s_cbranch_execz .LBB14_1100
; %bb.1079:                             ;   in Loop: Header=BB14_17 Depth=1
	s_mov_b32 s46, exec_lo
                                        ; implicit-def: $vgpr14
	v_cmpx_lt_i16_e32 7, v7
	s_xor_b32 s46, exec_lo, s46
	;; [unrolled: 6-line block ×4, first 2 shown]
	s_cbranch_execz .LBB14_1083
; %bb.1082:                             ;   in Loop: Header=BB14_17 Depth=1
	flat_load_b64 v[16:17], v[16:17]
	s_wait_loadcnt_dscnt 0x0
	v_cvt_f32_f64_e32 v14, v[16:17]
                                        ; implicit-def: $vgpr16_vgpr17
.LBB14_1083:                            ;   in Loop: Header=BB14_17 Depth=1
	s_wait_xcnt 0x0
	s_and_not1_saveexec_b32 s57, s57
	s_cbranch_execz .LBB14_1085
; %bb.1084:                             ;   in Loop: Header=BB14_17 Depth=1
	flat_load_b32 v14, v[16:17]
.LBB14_1085:                            ;   in Loop: Header=BB14_17 Depth=1
	s_wait_xcnt 0x0
	s_or_b32 exec_lo, exec_lo, s57
                                        ; implicit-def: $vgpr16_vgpr17
.LBB14_1086:                            ;   in Loop: Header=BB14_17 Depth=1
	s_and_not1_saveexec_b32 s56, s56
	s_cbranch_execz .LBB14_1088
; %bb.1087:                             ;   in Loop: Header=BB14_17 Depth=1
	s_wait_loadcnt_dscnt 0x0
	flat_load_b32 v14, v[16:17]
	s_wait_loadcnt_dscnt 0x0
	v_cvt_f32_f16_e32 v14, v14
.LBB14_1088:                            ;   in Loop: Header=BB14_17 Depth=1
	s_wait_xcnt 0x0
	s_or_b32 exec_lo, exec_lo, s56
                                        ; implicit-def: $vgpr16_vgpr17
.LBB14_1089:                            ;   in Loop: Header=BB14_17 Depth=1
	s_and_not1_saveexec_b32 s46, s46
	s_cbranch_execz .LBB14_1099
; %bb.1090:                             ;   in Loop: Header=BB14_17 Depth=1
	s_mov_b32 s56, exec_lo
                                        ; implicit-def: $vgpr14
	v_cmpx_lt_i16_e32 5, v7
	s_xor_b32 s56, exec_lo, s56
	s_cbranch_execz .LBB14_1096
; %bb.1091:                             ;   in Loop: Header=BB14_17 Depth=1
	s_mov_b32 s57, exec_lo
                                        ; implicit-def: $vgpr14
	v_cmpx_lt_i16_e32 6, v7
	s_xor_b32 s57, exec_lo, s57
	s_cbranch_execz .LBB14_1093
; %bb.1092:                             ;   in Loop: Header=BB14_17 Depth=1
	flat_load_b64 v[16:17], v[16:17]
	s_wait_loadcnt_dscnt 0x0
	v_cvt_f32_f64_e32 v14, v[16:17]
                                        ; implicit-def: $vgpr16_vgpr17
.LBB14_1093:                            ;   in Loop: Header=BB14_17 Depth=1
	s_wait_xcnt 0x0
	s_and_not1_saveexec_b32 s57, s57
	s_cbranch_execz .LBB14_1095
; %bb.1094:                             ;   in Loop: Header=BB14_17 Depth=1
	s_wait_loadcnt_dscnt 0x0
	flat_load_b32 v14, v[16:17]
.LBB14_1095:                            ;   in Loop: Header=BB14_17 Depth=1
	s_wait_xcnt 0x0
	s_or_b32 exec_lo, exec_lo, s57
                                        ; implicit-def: $vgpr16_vgpr17
.LBB14_1096:                            ;   in Loop: Header=BB14_17 Depth=1
	s_and_not1_saveexec_b32 s56, s56
	s_cbranch_execz .LBB14_1098
; %bb.1097:                             ;   in Loop: Header=BB14_17 Depth=1
	s_wait_loadcnt_dscnt 0x0
	flat_load_u16 v14, v[16:17]
	s_wait_loadcnt_dscnt 0x0
	v_cvt_f32_f16_e32 v14, v14
.LBB14_1098:                            ;   in Loop: Header=BB14_17 Depth=1
	s_wait_xcnt 0x0
	s_or_b32 exec_lo, exec_lo, s56
.LBB14_1099:                            ;   in Loop: Header=BB14_17 Depth=1
	s_delay_alu instid0(SALU_CYCLE_1)
	s_or_b32 exec_lo, exec_lo, s46
                                        ; implicit-def: $vgpr16_vgpr17
.LBB14_1100:                            ;   in Loop: Header=BB14_17 Depth=1
	s_and_not1_saveexec_b32 s43, s43
	s_cbranch_execz .LBB14_1118
; %bb.1101:                             ;   in Loop: Header=BB14_17 Depth=1
	s_mov_b32 s46, exec_lo
                                        ; implicit-def: $vgpr14
	v_cmpx_lt_i16_e32 1, v7
	s_xor_b32 s46, exec_lo, s46
	s_cbranch_execz .LBB14_1111
; %bb.1102:                             ;   in Loop: Header=BB14_17 Depth=1
	s_mov_b32 s56, exec_lo
                                        ; implicit-def: $vgpr14
	v_cmpx_lt_i16_e32 2, v7
	s_xor_b32 s56, exec_lo, s56
	;; [unrolled: 6-line block ×3, first 2 shown]
	s_cbranch_execz .LBB14_1105
; %bb.1104:                             ;   in Loop: Header=BB14_17 Depth=1
	flat_load_b64 v[16:17], v[16:17]
	s_wait_loadcnt_dscnt 0x0
	v_xor_b32_e32 v14, v16, v17
	v_cls_i32_e32 v20, v17
	s_delay_alu instid0(VALU_DEP_2) | instskip(NEXT) | instid1(VALU_DEP_1)
	v_ashrrev_i32_e32 v14, 31, v14
	v_add_nc_u32_e32 v14, 32, v14
	s_delay_alu instid0(VALU_DEP_1) | instskip(SKIP_1) | instid1(VALU_DEP_1)
	v_add_min_u32_e64 v14, v20, -1, v14
	s_wait_xcnt 0x0
	v_lshlrev_b64_e32 v[16:17], v14, v[16:17]
	v_sub_nc_u32_e32 v14, 32, v14
	s_delay_alu instid0(VALU_DEP_2) | instskip(NEXT) | instid1(VALU_DEP_1)
	v_min_u32_e32 v16, 1, v16
	v_or_b32_e32 v16, v17, v16
	s_delay_alu instid0(VALU_DEP_1) | instskip(NEXT) | instid1(VALU_DEP_1)
	v_cvt_f32_i32_e32 v16, v16
	v_ldexp_f32 v14, v16, v14
                                        ; implicit-def: $vgpr16_vgpr17
.LBB14_1105:                            ;   in Loop: Header=BB14_17 Depth=1
	s_and_not1_saveexec_b32 s57, s57
	s_cbranch_execz .LBB14_1107
; %bb.1106:                             ;   in Loop: Header=BB14_17 Depth=1
	s_wait_loadcnt_dscnt 0x0
	flat_load_b32 v14, v[16:17]
	s_wait_loadcnt_dscnt 0x0
	v_cvt_f32_i32_e32 v14, v14
.LBB14_1107:                            ;   in Loop: Header=BB14_17 Depth=1
	s_wait_xcnt 0x0
	s_or_b32 exec_lo, exec_lo, s57
                                        ; implicit-def: $vgpr16_vgpr17
.LBB14_1108:                            ;   in Loop: Header=BB14_17 Depth=1
	s_and_not1_saveexec_b32 s56, s56
	s_cbranch_execz .LBB14_1110
; %bb.1109:                             ;   in Loop: Header=BB14_17 Depth=1
	s_wait_loadcnt_dscnt 0x0
	flat_load_i16 v14, v[16:17]
	s_wait_loadcnt_dscnt 0x0
	v_cvt_f32_i32_e32 v14, v14
.LBB14_1110:                            ;   in Loop: Header=BB14_17 Depth=1
	s_wait_xcnt 0x0
	s_or_b32 exec_lo, exec_lo, s56
                                        ; implicit-def: $vgpr16_vgpr17
.LBB14_1111:                            ;   in Loop: Header=BB14_17 Depth=1
	s_and_not1_saveexec_b32 s46, s46
	s_cbranch_execz .LBB14_1117
; %bb.1112:                             ;   in Loop: Header=BB14_17 Depth=1
	s_mov_b32 s56, exec_lo
                                        ; implicit-def: $vgpr14
	v_cmpx_lt_i16_e32 0, v7
	s_xor_b32 s56, exec_lo, s56
	s_cbranch_execz .LBB14_1114
; %bb.1113:                             ;   in Loop: Header=BB14_17 Depth=1
	s_wait_loadcnt_dscnt 0x0
	flat_load_i8 v14, v[16:17]
                                        ; implicit-def: $vgpr16_vgpr17
	s_wait_loadcnt_dscnt 0x0
	v_cvt_f32_i32_e32 v14, v14
.LBB14_1114:                            ;   in Loop: Header=BB14_17 Depth=1
	s_wait_xcnt 0x0
	s_and_not1_saveexec_b32 s56, s56
	s_cbranch_execz .LBB14_1116
; %bb.1115:                             ;   in Loop: Header=BB14_17 Depth=1
	s_wait_loadcnt_dscnt 0x0
	flat_load_u8 v14, v[16:17]
	s_wait_loadcnt_dscnt 0x0
	v_cvt_f32_ubyte0_e32 v14, v14
.LBB14_1116:                            ;   in Loop: Header=BB14_17 Depth=1
	s_wait_xcnt 0x0
	s_or_b32 exec_lo, exec_lo, s56
.LBB14_1117:                            ;   in Loop: Header=BB14_17 Depth=1
	s_delay_alu instid0(SALU_CYCLE_1)
	s_or_b32 exec_lo, exec_lo, s46
.LBB14_1118:                            ;   in Loop: Header=BB14_17 Depth=1
	s_delay_alu instid0(SALU_CYCLE_1) | instskip(NEXT) | instid1(SALU_CYCLE_1)
	s_or_b32 exec_lo, exec_lo, s43
	s_or_b32 s47, s47, exec_lo
.LBB14_1119:                            ;   in Loop: Header=BB14_17 Depth=1
	s_or_b32 exec_lo, exec_lo, s42
	s_mov_b32 s42, -1
	s_mov_b32 s56, 0
	s_mov_b32 s43, 0
	s_and_saveexec_b32 s46, s47
	s_cbranch_execz .LBB14_1125
; %bb.1120:                             ;   in Loop: Header=BB14_17 Depth=1
	s_add_co_i32 s42, s32, s1
	s_mov_b32 s47, 0
	s_wait_loadcnt_dscnt 0x0
	scratch_store_b32 off, v14, s42 offset:76
	s_wait_xcnt 0x0
	v_mul_lo_u32 v14, v19, v10
	v_and_b32_e32 v19, 0xff, v8
	s_mov_b32 s43, exec_lo
	s_delay_alu instid0(VALU_DEP_2) | instskip(NEXT) | instid1(VALU_DEP_2)
	v_add_nc_u64_e32 v[16:17], v[4:5], v[14:15]
                                        ; implicit-def: $vgpr14
	v_cmpx_lt_i16_e32 10, v19
	s_xor_b32 s43, exec_lo, s43
	s_cbranch_execnz .LBB14_2782
; %bb.1121:                             ;   in Loop: Header=BB14_17 Depth=1
	s_and_not1_saveexec_b32 s43, s43
	s_cbranch_execnz .LBB14_2841
.LBB14_1122:                            ;   in Loop: Header=BB14_17 Depth=1
	s_or_b32 exec_lo, exec_lo, s43
	s_mov_b32 s56, 0
	s_and_saveexec_b32 s43, s47
	s_cbranch_execz .LBB14_1124
.LBB14_1123:                            ;   in Loop: Header=BB14_17 Depth=1
	v_add_nc_u32_e32 v18, 0x200, v18
	s_mov_b32 s56, exec_lo
	s_wait_loadcnt_dscnt 0x0
	scratch_store_b32 off, v14, s42 offset:72
.LBB14_1124:                            ;   in Loop: Header=BB14_17 Depth=1
	s_wait_xcnt 0x0
	s_or_b32 exec_lo, exec_lo, s43
	s_delay_alu instid0(SALU_CYCLE_1)
	s_mov_b32 s43, exec_lo
	s_xor_b32 s42, exec_lo, -1
	s_and_b32 s56, s56, exec_lo
.LBB14_1125:                            ;   in Loop: Header=BB14_17 Depth=1
	s_or_b32 exec_lo, exec_lo, s46
	s_delay_alu instid0(SALU_CYCLE_1)
	s_or_not1_b32 s46, s56, exec_lo
.LBB14_1126:                            ;   in Loop: Header=BB14_17 Depth=1
	s_or_b32 exec_lo, exec_lo, s44
	s_and_saveexec_b32 s44, s46
	s_cbranch_execz .LBB14_7
; %bb.1127:                             ;   in Loop: Header=BB14_17 Depth=1
	s_mov_b32 s56, -1
	s_mov_b32 s57, -1
	s_mov_b32 s47, exec_lo
                                        ; implicit-def: $sgpr45
                                        ; implicit-def: $sgpr46
	v_cmpx_lt_i32_e64 v18, v6
	s_cbranch_execz .LBB14_1237
; %bb.1128:                             ;   in Loop: Header=BB14_17 Depth=1
	v_add_nc_u32_e32 v19, s2, v18
	s_mov_b32 s58, 0
	s_mov_b32 s45, exec_lo
	s_wait_loadcnt_dscnt 0x0
	s_delay_alu instid0(VALU_DEP_1) | instskip(NEXT) | instid1(VALU_DEP_1)
	v_mul_lo_u32 v14, v19, v9
	v_add_nc_u64_e32 v[16:17], v[2:3], v[14:15]
                                        ; implicit-def: $vgpr14
	v_cmpx_lt_i16_e32 10, v7
	s_xor_b32 s45, exec_lo, s45
	s_cbranch_execz .LBB14_1188
; %bb.1129:                             ;   in Loop: Header=BB14_17 Depth=1
	s_mov_b32 s57, 0
	s_mov_b32 s46, exec_lo
                                        ; implicit-def: $vgpr14
	v_cmpx_lt_i16_e32 25, v7
	s_xor_b32 s46, exec_lo, s46
	s_cbranch_execz .LBB14_1161
; %bb.1130:                             ;   in Loop: Header=BB14_17 Depth=1
	s_mov_b32 s58, exec_lo
                                        ; implicit-def: $vgpr14
	v_cmpx_lt_i16_e32 28, v7
	s_xor_b32 s58, exec_lo, s58
	s_cbranch_execz .LBB14_1146
; %bb.1131:                             ;   in Loop: Header=BB14_17 Depth=1
	s_mov_b32 s59, 0
	s_mov_b32 s57, exec_lo
                                        ; implicit-def: $vgpr14
	v_cmpx_lt_i16_e32 43, v7
	s_xor_b32 s57, exec_lo, s57
	s_cbranch_execz .LBB14_1141
; %bb.1132:                             ;   in Loop: Header=BB14_17 Depth=1
	s_mov_b32 s60, exec_lo
                                        ; implicit-def: $vgpr14
	v_cmpx_lt_i16_e32 45, v7
	s_xor_b32 s60, exec_lo, s60
	s_cbranch_execz .LBB14_1136
; %bb.1133:                             ;   in Loop: Header=BB14_17 Depth=1
	s_mov_b32 s61, exec_lo
                                        ; implicit-def: $vgpr14
	v_cmpx_eq_u16_e32 46, v7
	s_cbranch_execz .LBB14_1135
; %bb.1134:                             ;   in Loop: Header=BB14_17 Depth=1
	flat_load_b32 v14, v[16:17]
	s_mov_b32 s59, exec_lo
	s_wait_loadcnt_dscnt 0x0
	v_lshlrev_b32_e32 v14, 16, v14
.LBB14_1135:                            ;   in Loop: Header=BB14_17 Depth=1
	s_wait_xcnt 0x0
	s_or_b32 exec_lo, exec_lo, s61
	s_delay_alu instid0(SALU_CYCLE_1)
	s_and_b32 s59, s59, exec_lo
                                        ; implicit-def: $vgpr16_vgpr17
.LBB14_1136:                            ;   in Loop: Header=BB14_17 Depth=1
	s_and_not1_saveexec_b32 s60, s60
	s_cbranch_execz .LBB14_1140
; %bb.1137:                             ;   in Loop: Header=BB14_17 Depth=1
	s_mov_b32 s62, s59
	s_mov_b32 s61, exec_lo
                                        ; implicit-def: $vgpr14
	v_cmpx_eq_u16_e32 44, v7
	s_cbranch_execz .LBB14_1139
; %bb.1138:                             ;   in Loop: Header=BB14_17 Depth=1
	flat_load_u8 v14, v[16:17]
	s_or_b32 s62, s59, exec_lo
	s_wait_loadcnt_dscnt 0x0
	v_lshlrev_b32_e32 v16, 23, v14
	v_cmp_ne_u32_e32 vcc_lo, 0xff, v14
	s_delay_alu instid0(VALU_DEP_2) | instskip(SKIP_1) | instid1(VALU_DEP_2)
	v_cndmask_b32_e32 v16, 0x7f800001, v16, vcc_lo
	v_cmp_ne_u32_e32 vcc_lo, 0, v14
	v_cndmask_b32_e32 v14, 0x400000, v16, vcc_lo
.LBB14_1139:                            ;   in Loop: Header=BB14_17 Depth=1
	s_or_b32 exec_lo, exec_lo, s61
	s_delay_alu instid0(SALU_CYCLE_1) | instskip(SKIP_1) | instid1(SALU_CYCLE_1)
	s_and_not1_b32 s59, s59, exec_lo
	s_and_b32 s61, s62, exec_lo
	s_or_b32 s59, s59, s61
.LBB14_1140:                            ;   in Loop: Header=BB14_17 Depth=1
	s_or_b32 exec_lo, exec_lo, s60
	s_delay_alu instid0(SALU_CYCLE_1)
	s_and_b32 s59, s59, exec_lo
                                        ; implicit-def: $vgpr16_vgpr17
.LBB14_1141:                            ;   in Loop: Header=BB14_17 Depth=1
	s_and_not1_saveexec_b32 s57, s57
	s_cbranch_execz .LBB14_1145
; %bb.1142:                             ;   in Loop: Header=BB14_17 Depth=1
	s_mov_b32 s61, s59
	s_mov_b32 s60, exec_lo
                                        ; implicit-def: $vgpr14
	v_cmpx_eq_u16_e32 29, v7
	s_cbranch_execz .LBB14_1144
; %bb.1143:                             ;   in Loop: Header=BB14_17 Depth=1
	flat_load_b64 v[16:17], v[16:17]
	s_or_b32 s61, s59, exec_lo
	s_wait_loadcnt_dscnt 0x0
	v_clz_i32_u32_e32 v14, v17
	s_delay_alu instid0(VALU_DEP_1) | instskip(SKIP_1) | instid1(VALU_DEP_1)
	v_min_u32_e32 v14, 32, v14
	s_wait_xcnt 0x0
	v_lshlrev_b64_e32 v[16:17], v14, v[16:17]
	v_sub_nc_u32_e32 v14, 32, v14
	s_delay_alu instid0(VALU_DEP_2) | instskip(NEXT) | instid1(VALU_DEP_1)
	v_min_u32_e32 v16, 1, v16
	v_or_b32_e32 v16, v17, v16
	s_delay_alu instid0(VALU_DEP_1) | instskip(NEXT) | instid1(VALU_DEP_1)
	v_cvt_f32_u32_e32 v16, v16
	v_ldexp_f32 v14, v16, v14
.LBB14_1144:                            ;   in Loop: Header=BB14_17 Depth=1
	s_or_b32 exec_lo, exec_lo, s60
	s_delay_alu instid0(SALU_CYCLE_1) | instskip(SKIP_1) | instid1(SALU_CYCLE_1)
	s_and_not1_b32 s59, s59, exec_lo
	s_and_b32 s60, s61, exec_lo
	s_or_b32 s59, s59, s60
.LBB14_1145:                            ;   in Loop: Header=BB14_17 Depth=1
	s_or_b32 exec_lo, exec_lo, s57
	s_delay_alu instid0(SALU_CYCLE_1)
	s_and_b32 s57, s59, exec_lo
                                        ; implicit-def: $vgpr16_vgpr17
.LBB14_1146:                            ;   in Loop: Header=BB14_17 Depth=1
	s_and_not1_saveexec_b32 s58, s58
	s_cbranch_execz .LBB14_1160
; %bb.1147:                             ;   in Loop: Header=BB14_17 Depth=1
	s_mov_b32 s59, exec_lo
                                        ; implicit-def: $vgpr14
	v_cmpx_lt_i16_e32 26, v7
	s_xor_b32 s59, exec_lo, s59
	s_cbranch_execz .LBB14_1153
; %bb.1148:                             ;   in Loop: Header=BB14_17 Depth=1
	s_mov_b32 s60, exec_lo
                                        ; implicit-def: $vgpr14
	v_cmpx_lt_i16_e32 27, v7
	s_xor_b32 s60, exec_lo, s60
	s_cbranch_execz .LBB14_1150
; %bb.1149:                             ;   in Loop: Header=BB14_17 Depth=1
	flat_load_b32 v14, v[16:17]
                                        ; implicit-def: $vgpr16_vgpr17
	s_wait_loadcnt_dscnt 0x0
	v_cvt_f32_u32_e32 v14, v14
.LBB14_1150:                            ;   in Loop: Header=BB14_17 Depth=1
	s_wait_xcnt 0x0
	s_and_not1_saveexec_b32 s60, s60
	s_cbranch_execz .LBB14_1152
; %bb.1151:                             ;   in Loop: Header=BB14_17 Depth=1
	flat_load_u16 v14, v[16:17]
	s_wait_loadcnt_dscnt 0x0
	v_cvt_f32_u32_e32 v14, v14
.LBB14_1152:                            ;   in Loop: Header=BB14_17 Depth=1
	s_wait_xcnt 0x0
	s_or_b32 exec_lo, exec_lo, s60
                                        ; implicit-def: $vgpr16_vgpr17
.LBB14_1153:                            ;   in Loop: Header=BB14_17 Depth=1
	s_and_not1_saveexec_b32 s59, s59
	s_cbranch_execz .LBB14_1159
; %bb.1154:                             ;   in Loop: Header=BB14_17 Depth=1
	flat_load_u8 v16, v[16:17]
	s_mov_b32 s60, 0
	s_mov_b32 s61, exec_lo
	s_wait_loadcnt_dscnt 0x0
	v_cmpx_lt_i16_e32 0x7f, v16
	s_xor_b32 s61, exec_lo, s61
	s_cbranch_execnz .LBB14_3242
; %bb.1155:                             ;   in Loop: Header=BB14_17 Depth=1
	s_or_saveexec_b32 s61, s61
	v_mov_b32_e32 v14, 0x7f800001
	s_xor_b32 exec_lo, exec_lo, s61
	s_cbranch_execnz .LBB14_3245
.LBB14_1156:                            ;   in Loop: Header=BB14_17 Depth=1
	s_or_b32 exec_lo, exec_lo, s61
	s_and_saveexec_b32 s61, s60
	s_cbranch_execz .LBB14_1158
.LBB14_1157:                            ;   in Loop: Header=BB14_17 Depth=1
	v_and_b32_e32 v14, 0xffff, v16
	s_delay_alu instid0(VALU_DEP_1) | instskip(SKIP_1) | instid1(VALU_DEP_2)
	v_and_b32_e32 v17, 7, v14
	v_bfe_u32 v22, v14, 3, 4
	v_clz_i32_u32_e32 v20, v17
	s_delay_alu instid0(VALU_DEP_2) | instskip(NEXT) | instid1(VALU_DEP_2)
	v_cmp_eq_u32_e32 vcc_lo, 0, v22
	v_min_u32_e32 v20, 32, v20
	s_delay_alu instid0(VALU_DEP_1) | instskip(NEXT) | instid1(VALU_DEP_1)
	v_subrev_nc_u32_e32 v21, 28, v20
	v_dual_lshlrev_b32 v14, v21, v14 :: v_dual_sub_nc_u32 v20, 29, v20
	s_delay_alu instid0(VALU_DEP_1) | instskip(NEXT) | instid1(VALU_DEP_1)
	v_dual_lshlrev_b32 v16, 24, v16 :: v_dual_bitop2_b32 v14, 7, v14 bitop3:0x40
	v_dual_cndmask_b32 v14, v17, v14, vcc_lo :: v_dual_cndmask_b32 v20, v22, v20, vcc_lo
	s_delay_alu instid0(VALU_DEP_2) | instskip(NEXT) | instid1(VALU_DEP_2)
	v_and_b32_e32 v16, 0x80000000, v16
	v_lshlrev_b32_e32 v14, 20, v14
	s_delay_alu instid0(VALU_DEP_3) | instskip(NEXT) | instid1(VALU_DEP_1)
	v_lshl_add_u32 v17, v20, 23, 0x3b800000
	v_or3_b32 v14, v16, v17, v14
.LBB14_1158:                            ;   in Loop: Header=BB14_17 Depth=1
	s_or_b32 exec_lo, exec_lo, s61
.LBB14_1159:                            ;   in Loop: Header=BB14_17 Depth=1
	s_delay_alu instid0(SALU_CYCLE_1) | instskip(NEXT) | instid1(SALU_CYCLE_1)
	s_or_b32 exec_lo, exec_lo, s59
	s_or_b32 s57, s57, exec_lo
.LBB14_1160:                            ;   in Loop: Header=BB14_17 Depth=1
	s_or_b32 exec_lo, exec_lo, s58
	s_delay_alu instid0(SALU_CYCLE_1)
	s_and_b32 s57, s57, exec_lo
                                        ; implicit-def: $vgpr16_vgpr17
.LBB14_1161:                            ;   in Loop: Header=BB14_17 Depth=1
	s_and_not1_saveexec_b32 s46, s46
	s_cbranch_execz .LBB14_1187
; %bb.1162:                             ;   in Loop: Header=BB14_17 Depth=1
	s_mov_b32 s59, s57
	s_mov_b32 s58, exec_lo
                                        ; implicit-def: $vgpr14
	v_cmpx_lt_i16_e32 22, v7
	s_xor_b32 s58, exec_lo, s58
	s_cbranch_execz .LBB14_1176
; %bb.1163:                             ;   in Loop: Header=BB14_17 Depth=1
	s_mov_b32 s59, exec_lo
                                        ; implicit-def: $vgpr14
	v_cmpx_lt_i16_e32 23, v7
	s_xor_b32 s59, exec_lo, s59
	s_cbranch_execz .LBB14_1173
; %bb.1164:                             ;   in Loop: Header=BB14_17 Depth=1
	;; [unrolled: 6-line block ×3, first 2 shown]
	flat_load_u8 v16, v[16:17]
	s_mov_b32 s61, 0
	s_mov_b32 s62, exec_lo
	s_wait_loadcnt_dscnt 0x0
	v_cmpx_lt_i16_e32 0x7f, v16
	s_xor_b32 s62, exec_lo, s62
	s_cbranch_execnz .LBB14_3354
; %bb.1166:                             ;   in Loop: Header=BB14_17 Depth=1
	s_or_saveexec_b32 s62, s62
	v_mov_b32_e32 v14, 0x7f800001
	s_xor_b32 exec_lo, exec_lo, s62
	s_cbranch_execnz .LBB14_3357
.LBB14_1167:                            ;   in Loop: Header=BB14_17 Depth=1
	s_or_b32 exec_lo, exec_lo, s62
	s_and_saveexec_b32 s62, s61
	s_cbranch_execz .LBB14_1169
.LBB14_1168:                            ;   in Loop: Header=BB14_17 Depth=1
	v_and_b32_e32 v14, 0xffff, v16
	s_delay_alu instid0(VALU_DEP_1) | instskip(SKIP_1) | instid1(VALU_DEP_2)
	v_and_b32_e32 v17, 3, v14
	v_bfe_u32 v22, v14, 2, 5
	v_clz_i32_u32_e32 v20, v17
	s_delay_alu instid0(VALU_DEP_2) | instskip(NEXT) | instid1(VALU_DEP_2)
	v_cmp_eq_u32_e32 vcc_lo, 0, v22
	v_min_u32_e32 v20, 32, v20
	s_delay_alu instid0(VALU_DEP_1) | instskip(NEXT) | instid1(VALU_DEP_1)
	v_subrev_nc_u32_e32 v21, 29, v20
	v_dual_lshlrev_b32 v14, v21, v14 :: v_dual_sub_nc_u32 v20, 30, v20
	s_delay_alu instid0(VALU_DEP_1) | instskip(NEXT) | instid1(VALU_DEP_1)
	v_dual_lshlrev_b32 v16, 24, v16 :: v_dual_bitop2_b32 v14, 3, v14 bitop3:0x40
	v_dual_cndmask_b32 v14, v17, v14, vcc_lo :: v_dual_cndmask_b32 v20, v22, v20, vcc_lo
	s_delay_alu instid0(VALU_DEP_2) | instskip(NEXT) | instid1(VALU_DEP_2)
	v_and_b32_e32 v16, 0x80000000, v16
	v_lshlrev_b32_e32 v14, 21, v14
	s_delay_alu instid0(VALU_DEP_3) | instskip(NEXT) | instid1(VALU_DEP_1)
	v_lshl_add_u32 v17, v20, 23, 0x37800000
	v_or3_b32 v14, v16, v17, v14
.LBB14_1169:                            ;   in Loop: Header=BB14_17 Depth=1
	s_or_b32 exec_lo, exec_lo, s62
                                        ; implicit-def: $vgpr16_vgpr17
.LBB14_1170:                            ;   in Loop: Header=BB14_17 Depth=1
	s_and_not1_saveexec_b32 s60, s60
	s_cbranch_execz .LBB14_1172
; %bb.1171:                             ;   in Loop: Header=BB14_17 Depth=1
	flat_load_u8 v14, v[16:17]
	s_wait_loadcnt_dscnt 0x0
	v_lshlrev_b32_e32 v14, 24, v14
	s_wait_xcnt 0x0
	s_delay_alu instid0(VALU_DEP_1) | instskip(NEXT) | instid1(VALU_DEP_1)
	v_and_b32_e32 v16, 0x7f000000, v14
	v_clz_i32_u32_e32 v17, v16
	v_cmp_ne_u32_e32 vcc_lo, 0, v16
	v_add_nc_u32_e32 v21, 0x1000000, v16
	s_delay_alu instid0(VALU_DEP_3) | instskip(NEXT) | instid1(VALU_DEP_1)
	v_min_u32_e32 v17, 32, v17
	v_sub_nc_u32_e64 v17, v17, 4 clamp
	s_delay_alu instid0(VALU_DEP_1) | instskip(NEXT) | instid1(VALU_DEP_1)
	v_dual_lshlrev_b32 v20, v17, v16 :: v_dual_lshlrev_b32 v17, 23, v17
	v_lshrrev_b32_e32 v20, 4, v20
	s_delay_alu instid0(VALU_DEP_1) | instskip(SKIP_1) | instid1(VALU_DEP_2)
	v_sub_nc_u32_e32 v17, v20, v17
	v_ashrrev_i32_e32 v20, 8, v21
	v_add_nc_u32_e32 v17, 0x3c000000, v17
	s_delay_alu instid0(VALU_DEP_1) | instskip(NEXT) | instid1(VALU_DEP_1)
	v_and_or_b32 v17, 0x7f800000, v20, v17
	v_cndmask_b32_e32 v16, 0, v17, vcc_lo
	s_delay_alu instid0(VALU_DEP_1)
	v_and_or_b32 v14, 0x80000000, v14, v16
.LBB14_1172:                            ;   in Loop: Header=BB14_17 Depth=1
	s_or_b32 exec_lo, exec_lo, s60
                                        ; implicit-def: $vgpr16_vgpr17
.LBB14_1173:                            ;   in Loop: Header=BB14_17 Depth=1
	s_and_not1_saveexec_b32 s59, s59
	s_cbranch_execz .LBB14_1175
; %bb.1174:                             ;   in Loop: Header=BB14_17 Depth=1
	flat_load_u8 v14, v[16:17]
	s_wait_loadcnt_dscnt 0x0
	v_lshlrev_b32_e32 v16, 25, v14
	v_lshlrev_b16 v14, 8, v14
	s_delay_alu instid0(VALU_DEP_1) | instskip(SKIP_1) | instid1(VALU_DEP_2)
	v_and_or_b32 v20, 0x7f00, v14, 0.5
	v_bfe_i32 v14, v14, 0, 16
	v_add_f32_e32 v20, -0.5, v20
	v_lshrrev_b32_e32 v17, 4, v16
	v_cmp_gt_u32_e32 vcc_lo, 0x8000000, v16
	s_delay_alu instid0(VALU_DEP_2) | instskip(NEXT) | instid1(VALU_DEP_1)
	v_or_b32_e32 v17, 0x70000000, v17
	v_mul_f32_e32 v17, 0x7800000, v17
	s_delay_alu instid0(VALU_DEP_1) | instskip(NEXT) | instid1(VALU_DEP_1)
	v_cndmask_b32_e32 v16, v17, v20, vcc_lo
	v_and_or_b32 v14, 0x80000000, v14, v16
.LBB14_1175:                            ;   in Loop: Header=BB14_17 Depth=1
	s_or_b32 exec_lo, exec_lo, s59
	s_delay_alu instid0(SALU_CYCLE_1)
	s_or_b32 s59, s57, exec_lo
                                        ; implicit-def: $vgpr16_vgpr17
.LBB14_1176:                            ;   in Loop: Header=BB14_17 Depth=1
	s_and_not1_saveexec_b32 s58, s58
	s_cbranch_execz .LBB14_1186
; %bb.1177:                             ;   in Loop: Header=BB14_17 Depth=1
	s_mov_b32 s60, s59
	s_mov_b32 s61, exec_lo
                                        ; implicit-def: $vgpr14
	v_cmpx_lt_i16_e32 14, v7
	s_xor_b32 s61, exec_lo, s61
	s_cbranch_execz .LBB14_1181
; %bb.1178:                             ;   in Loop: Header=BB14_17 Depth=1
	s_mov_b32 s60, s59
	s_mov_b32 s62, exec_lo
                                        ; implicit-def: $vgpr14
	v_cmpx_eq_u16_e32 15, v7
	s_cbranch_execz .LBB14_1180
; %bb.1179:                             ;   in Loop: Header=BB14_17 Depth=1
	flat_load_u16 v14, v[16:17]
	s_or_b32 s60, s59, exec_lo
	s_wait_loadcnt_dscnt 0x0
	v_lshlrev_b32_e32 v14, 16, v14
.LBB14_1180:                            ;   in Loop: Header=BB14_17 Depth=1
	s_wait_xcnt 0x0
	s_or_b32 exec_lo, exec_lo, s62
	s_delay_alu instid0(SALU_CYCLE_1) | instskip(SKIP_1) | instid1(SALU_CYCLE_1)
	s_and_not1_b32 s62, s59, exec_lo
	s_and_b32 s60, s60, exec_lo
                                        ; implicit-def: $vgpr16_vgpr17
	s_or_b32 s60, s62, s60
.LBB14_1181:                            ;   in Loop: Header=BB14_17 Depth=1
	s_and_not1_saveexec_b32 s61, s61
	s_cbranch_execz .LBB14_1185
; %bb.1182:                             ;   in Loop: Header=BB14_17 Depth=1
	s_mov_b32 s62, s60
	s_mov_b32 s63, exec_lo
                                        ; implicit-def: $vgpr14
	v_cmpx_eq_u16_e32 11, v7
	s_cbranch_execz .LBB14_1184
; %bb.1183:                             ;   in Loop: Header=BB14_17 Depth=1
	flat_load_u8 v14, v[16:17]
	s_or_b32 s62, s60, exec_lo
	s_wait_loadcnt_dscnt 0x0
	v_cmp_ne_u16_e32 vcc_lo, 0, v14
	v_cndmask_b32_e64 v14, 0, 1.0, vcc_lo
.LBB14_1184:                            ;   in Loop: Header=BB14_17 Depth=1
	s_wait_xcnt 0x0
	s_or_b32 exec_lo, exec_lo, s63
	s_delay_alu instid0(SALU_CYCLE_1) | instskip(SKIP_1) | instid1(SALU_CYCLE_1)
	s_and_not1_b32 s60, s60, exec_lo
	s_and_b32 s62, s62, exec_lo
	s_or_b32 s60, s60, s62
.LBB14_1185:                            ;   in Loop: Header=BB14_17 Depth=1
	s_or_b32 exec_lo, exec_lo, s61
	s_delay_alu instid0(SALU_CYCLE_1) | instskip(SKIP_1) | instid1(SALU_CYCLE_1)
	s_and_not1_b32 s59, s59, exec_lo
	s_and_b32 s60, s60, exec_lo
	s_or_b32 s59, s59, s60
.LBB14_1186:                            ;   in Loop: Header=BB14_17 Depth=1
	s_or_b32 exec_lo, exec_lo, s58
	s_delay_alu instid0(SALU_CYCLE_1) | instskip(SKIP_1) | instid1(SALU_CYCLE_1)
	s_and_not1_b32 s57, s57, exec_lo
	s_and_b32 s58, s59, exec_lo
	s_or_b32 s57, s57, s58
.LBB14_1187:                            ;   in Loop: Header=BB14_17 Depth=1
	s_or_b32 exec_lo, exec_lo, s46
	s_delay_alu instid0(SALU_CYCLE_1)
	s_and_b32 s58, s57, exec_lo
                                        ; implicit-def: $vgpr16_vgpr17
.LBB14_1188:                            ;   in Loop: Header=BB14_17 Depth=1
	s_and_not1_saveexec_b32 s45, s45
	s_cbranch_execz .LBB14_1230
; %bb.1189:                             ;   in Loop: Header=BB14_17 Depth=1
	s_mov_b32 s46, exec_lo
                                        ; implicit-def: $vgpr14
	v_cmpx_lt_i16_e32 4, v7
	s_xor_b32 s46, exec_lo, s46
	s_cbranch_execz .LBB14_1211
; %bb.1190:                             ;   in Loop: Header=BB14_17 Depth=1
	s_mov_b32 s57, exec_lo
                                        ; implicit-def: $vgpr14
	v_cmpx_lt_i16_e32 7, v7
	s_xor_b32 s57, exec_lo, s57
	;; [unrolled: 6-line block ×4, first 2 shown]
	s_cbranch_execz .LBB14_1194
; %bb.1193:                             ;   in Loop: Header=BB14_17 Depth=1
	flat_load_b64 v[16:17], v[16:17]
	s_wait_loadcnt_dscnt 0x0
	v_cvt_f32_f64_e32 v14, v[16:17]
                                        ; implicit-def: $vgpr16_vgpr17
.LBB14_1194:                            ;   in Loop: Header=BB14_17 Depth=1
	s_wait_xcnt 0x0
	s_and_not1_saveexec_b32 s60, s60
	s_cbranch_execz .LBB14_1196
; %bb.1195:                             ;   in Loop: Header=BB14_17 Depth=1
	flat_load_b32 v14, v[16:17]
.LBB14_1196:                            ;   in Loop: Header=BB14_17 Depth=1
	s_wait_xcnt 0x0
	s_or_b32 exec_lo, exec_lo, s60
                                        ; implicit-def: $vgpr16_vgpr17
.LBB14_1197:                            ;   in Loop: Header=BB14_17 Depth=1
	s_and_not1_saveexec_b32 s59, s59
	s_cbranch_execz .LBB14_1199
; %bb.1198:                             ;   in Loop: Header=BB14_17 Depth=1
	s_wait_loadcnt_dscnt 0x0
	flat_load_b32 v14, v[16:17]
	s_wait_loadcnt_dscnt 0x0
	v_cvt_f32_f16_e32 v14, v14
.LBB14_1199:                            ;   in Loop: Header=BB14_17 Depth=1
	s_wait_xcnt 0x0
	s_or_b32 exec_lo, exec_lo, s59
                                        ; implicit-def: $vgpr16_vgpr17
.LBB14_1200:                            ;   in Loop: Header=BB14_17 Depth=1
	s_and_not1_saveexec_b32 s57, s57
	s_cbranch_execz .LBB14_1210
; %bb.1201:                             ;   in Loop: Header=BB14_17 Depth=1
	s_mov_b32 s59, exec_lo
                                        ; implicit-def: $vgpr14
	v_cmpx_lt_i16_e32 5, v7
	s_xor_b32 s59, exec_lo, s59
	s_cbranch_execz .LBB14_1207
; %bb.1202:                             ;   in Loop: Header=BB14_17 Depth=1
	s_mov_b32 s60, exec_lo
                                        ; implicit-def: $vgpr14
	v_cmpx_lt_i16_e32 6, v7
	s_xor_b32 s60, exec_lo, s60
	s_cbranch_execz .LBB14_1204
; %bb.1203:                             ;   in Loop: Header=BB14_17 Depth=1
	flat_load_b64 v[16:17], v[16:17]
	s_wait_loadcnt_dscnt 0x0
	v_cvt_f32_f64_e32 v14, v[16:17]
                                        ; implicit-def: $vgpr16_vgpr17
.LBB14_1204:                            ;   in Loop: Header=BB14_17 Depth=1
	s_wait_xcnt 0x0
	s_and_not1_saveexec_b32 s60, s60
	s_cbranch_execz .LBB14_1206
; %bb.1205:                             ;   in Loop: Header=BB14_17 Depth=1
	s_wait_loadcnt_dscnt 0x0
	flat_load_b32 v14, v[16:17]
.LBB14_1206:                            ;   in Loop: Header=BB14_17 Depth=1
	s_wait_xcnt 0x0
	s_or_b32 exec_lo, exec_lo, s60
                                        ; implicit-def: $vgpr16_vgpr17
.LBB14_1207:                            ;   in Loop: Header=BB14_17 Depth=1
	s_and_not1_saveexec_b32 s59, s59
	s_cbranch_execz .LBB14_1209
; %bb.1208:                             ;   in Loop: Header=BB14_17 Depth=1
	s_wait_loadcnt_dscnt 0x0
	flat_load_u16 v14, v[16:17]
	s_wait_loadcnt_dscnt 0x0
	v_cvt_f32_f16_e32 v14, v14
.LBB14_1209:                            ;   in Loop: Header=BB14_17 Depth=1
	s_wait_xcnt 0x0
	s_or_b32 exec_lo, exec_lo, s59
.LBB14_1210:                            ;   in Loop: Header=BB14_17 Depth=1
	s_delay_alu instid0(SALU_CYCLE_1)
	s_or_b32 exec_lo, exec_lo, s57
                                        ; implicit-def: $vgpr16_vgpr17
.LBB14_1211:                            ;   in Loop: Header=BB14_17 Depth=1
	s_and_not1_saveexec_b32 s46, s46
	s_cbranch_execz .LBB14_1229
; %bb.1212:                             ;   in Loop: Header=BB14_17 Depth=1
	s_mov_b32 s57, exec_lo
                                        ; implicit-def: $vgpr14
	v_cmpx_lt_i16_e32 1, v7
	s_xor_b32 s57, exec_lo, s57
	s_cbranch_execz .LBB14_1222
; %bb.1213:                             ;   in Loop: Header=BB14_17 Depth=1
	s_mov_b32 s59, exec_lo
                                        ; implicit-def: $vgpr14
	v_cmpx_lt_i16_e32 2, v7
	s_xor_b32 s59, exec_lo, s59
	;; [unrolled: 6-line block ×3, first 2 shown]
	s_cbranch_execz .LBB14_1216
; %bb.1215:                             ;   in Loop: Header=BB14_17 Depth=1
	flat_load_b64 v[16:17], v[16:17]
	s_wait_loadcnt_dscnt 0x0
	v_xor_b32_e32 v14, v16, v17
	v_cls_i32_e32 v20, v17
	s_delay_alu instid0(VALU_DEP_2) | instskip(NEXT) | instid1(VALU_DEP_1)
	v_ashrrev_i32_e32 v14, 31, v14
	v_add_nc_u32_e32 v14, 32, v14
	s_delay_alu instid0(VALU_DEP_1) | instskip(SKIP_1) | instid1(VALU_DEP_1)
	v_add_min_u32_e64 v14, v20, -1, v14
	s_wait_xcnt 0x0
	v_lshlrev_b64_e32 v[16:17], v14, v[16:17]
	v_sub_nc_u32_e32 v14, 32, v14
	s_delay_alu instid0(VALU_DEP_2) | instskip(NEXT) | instid1(VALU_DEP_1)
	v_min_u32_e32 v16, 1, v16
	v_or_b32_e32 v16, v17, v16
	s_delay_alu instid0(VALU_DEP_1) | instskip(NEXT) | instid1(VALU_DEP_1)
	v_cvt_f32_i32_e32 v16, v16
	v_ldexp_f32 v14, v16, v14
                                        ; implicit-def: $vgpr16_vgpr17
.LBB14_1216:                            ;   in Loop: Header=BB14_17 Depth=1
	s_and_not1_saveexec_b32 s60, s60
	s_cbranch_execz .LBB14_1218
; %bb.1217:                             ;   in Loop: Header=BB14_17 Depth=1
	s_wait_loadcnt_dscnt 0x0
	flat_load_b32 v14, v[16:17]
	s_wait_loadcnt_dscnt 0x0
	v_cvt_f32_i32_e32 v14, v14
.LBB14_1218:                            ;   in Loop: Header=BB14_17 Depth=1
	s_wait_xcnt 0x0
	s_or_b32 exec_lo, exec_lo, s60
                                        ; implicit-def: $vgpr16_vgpr17
.LBB14_1219:                            ;   in Loop: Header=BB14_17 Depth=1
	s_and_not1_saveexec_b32 s59, s59
	s_cbranch_execz .LBB14_1221
; %bb.1220:                             ;   in Loop: Header=BB14_17 Depth=1
	s_wait_loadcnt_dscnt 0x0
	flat_load_i16 v14, v[16:17]
	s_wait_loadcnt_dscnt 0x0
	v_cvt_f32_i32_e32 v14, v14
.LBB14_1221:                            ;   in Loop: Header=BB14_17 Depth=1
	s_wait_xcnt 0x0
	s_or_b32 exec_lo, exec_lo, s59
                                        ; implicit-def: $vgpr16_vgpr17
.LBB14_1222:                            ;   in Loop: Header=BB14_17 Depth=1
	s_and_not1_saveexec_b32 s57, s57
	s_cbranch_execz .LBB14_1228
; %bb.1223:                             ;   in Loop: Header=BB14_17 Depth=1
	s_mov_b32 s59, exec_lo
                                        ; implicit-def: $vgpr14
	v_cmpx_lt_i16_e32 0, v7
	s_xor_b32 s59, exec_lo, s59
	s_cbranch_execz .LBB14_1225
; %bb.1224:                             ;   in Loop: Header=BB14_17 Depth=1
	s_wait_loadcnt_dscnt 0x0
	flat_load_i8 v14, v[16:17]
                                        ; implicit-def: $vgpr16_vgpr17
	s_wait_loadcnt_dscnt 0x0
	v_cvt_f32_i32_e32 v14, v14
.LBB14_1225:                            ;   in Loop: Header=BB14_17 Depth=1
	s_wait_xcnt 0x0
	s_and_not1_saveexec_b32 s59, s59
	s_cbranch_execz .LBB14_1227
; %bb.1226:                             ;   in Loop: Header=BB14_17 Depth=1
	s_wait_loadcnt_dscnt 0x0
	flat_load_u8 v14, v[16:17]
	s_wait_loadcnt_dscnt 0x0
	v_cvt_f32_ubyte0_e32 v14, v14
.LBB14_1227:                            ;   in Loop: Header=BB14_17 Depth=1
	s_wait_xcnt 0x0
	s_or_b32 exec_lo, exec_lo, s59
.LBB14_1228:                            ;   in Loop: Header=BB14_17 Depth=1
	s_delay_alu instid0(SALU_CYCLE_1)
	s_or_b32 exec_lo, exec_lo, s57
.LBB14_1229:                            ;   in Loop: Header=BB14_17 Depth=1
	s_delay_alu instid0(SALU_CYCLE_1) | instskip(NEXT) | instid1(SALU_CYCLE_1)
	s_or_b32 exec_lo, exec_lo, s46
	s_or_b32 s58, s58, exec_lo
.LBB14_1230:                            ;   in Loop: Header=BB14_17 Depth=1
	s_or_b32 exec_lo, exec_lo, s45
	s_mov_b32 s45, -1
	s_mov_b32 s59, 0
	s_mov_b32 s46, 0
	s_and_saveexec_b32 s57, s58
	s_cbranch_execz .LBB14_1236
; %bb.1231:                             ;   in Loop: Header=BB14_17 Depth=1
	s_add_co_i32 s45, s32, s1
	s_mov_b32 s58, 0
	s_wait_loadcnt_dscnt 0x0
	scratch_store_b32 off, v14, s45 offset:84
	s_wait_xcnt 0x0
	v_mul_lo_u32 v14, v19, v10
	v_and_b32_e32 v19, 0xff, v8
	s_mov_b32 s46, exec_lo
	s_delay_alu instid0(VALU_DEP_2) | instskip(NEXT) | instid1(VALU_DEP_2)
	v_add_nc_u64_e32 v[16:17], v[4:5], v[14:15]
                                        ; implicit-def: $vgpr14
	v_cmpx_lt_i16_e32 10, v19
	s_xor_b32 s46, exec_lo, s46
	s_cbranch_execnz .LBB14_2898
; %bb.1232:                             ;   in Loop: Header=BB14_17 Depth=1
	s_and_not1_saveexec_b32 s46, s46
	s_cbranch_execnz .LBB14_2957
.LBB14_1233:                            ;   in Loop: Header=BB14_17 Depth=1
	s_or_b32 exec_lo, exec_lo, s46
	s_mov_b32 s59, 0
	s_and_saveexec_b32 s46, s58
	s_cbranch_execz .LBB14_1235
.LBB14_1234:                            ;   in Loop: Header=BB14_17 Depth=1
	v_add_nc_u32_e32 v18, 0x200, v18
	s_mov_b32 s59, exec_lo
	s_wait_loadcnt_dscnt 0x0
	scratch_store_b32 off, v14, s45 offset:80
.LBB14_1235:                            ;   in Loop: Header=BB14_17 Depth=1
	s_wait_xcnt 0x0
	s_or_b32 exec_lo, exec_lo, s46
	s_delay_alu instid0(SALU_CYCLE_1)
	s_mov_b32 s46, exec_lo
	s_xor_b32 s45, exec_lo, -1
	s_and_b32 s59, s59, exec_lo
.LBB14_1236:                            ;   in Loop: Header=BB14_17 Depth=1
	s_or_b32 exec_lo, exec_lo, s57
	s_delay_alu instid0(SALU_CYCLE_1)
	s_or_not1_b32 s57, s59, exec_lo
.LBB14_1237:                            ;   in Loop: Header=BB14_17 Depth=1
	s_or_b32 exec_lo, exec_lo, s47
	s_and_saveexec_b32 s47, s57
	s_cbranch_execz .LBB14_6
; %bb.1238:                             ;   in Loop: Header=BB14_17 Depth=1
	s_mov_b32 s59, -1
	s_mov_b32 s60, -1
	s_mov_b32 s58, exec_lo
                                        ; implicit-def: $sgpr56
                                        ; implicit-def: $sgpr57
	v_cmpx_lt_i32_e64 v18, v6
	s_cbranch_execz .LBB14_1348
; %bb.1239:                             ;   in Loop: Header=BB14_17 Depth=1
	v_add_nc_u32_e32 v19, s2, v18
	s_mov_b32 s61, 0
	s_mov_b32 s56, exec_lo
	s_wait_loadcnt_dscnt 0x0
	s_delay_alu instid0(VALU_DEP_1) | instskip(NEXT) | instid1(VALU_DEP_1)
	v_mul_lo_u32 v14, v19, v9
	v_add_nc_u64_e32 v[16:17], v[2:3], v[14:15]
                                        ; implicit-def: $vgpr14
	v_cmpx_lt_i16_e32 10, v7
	s_xor_b32 s56, exec_lo, s56
	s_cbranch_execz .LBB14_1299
; %bb.1240:                             ;   in Loop: Header=BB14_17 Depth=1
	s_mov_b32 s60, 0
	s_mov_b32 s57, exec_lo
                                        ; implicit-def: $vgpr14
	v_cmpx_lt_i16_e32 25, v7
	s_xor_b32 s57, exec_lo, s57
	s_cbranch_execz .LBB14_1272
; %bb.1241:                             ;   in Loop: Header=BB14_17 Depth=1
	s_mov_b32 s61, exec_lo
                                        ; implicit-def: $vgpr14
	v_cmpx_lt_i16_e32 28, v7
	s_xor_b32 s61, exec_lo, s61
	s_cbranch_execz .LBB14_1257
; %bb.1242:                             ;   in Loop: Header=BB14_17 Depth=1
	s_mov_b32 s62, 0
	s_mov_b32 s60, exec_lo
                                        ; implicit-def: $vgpr14
	v_cmpx_lt_i16_e32 43, v7
	s_xor_b32 s60, exec_lo, s60
	s_cbranch_execz .LBB14_1252
; %bb.1243:                             ;   in Loop: Header=BB14_17 Depth=1
	s_mov_b32 s63, exec_lo
                                        ; implicit-def: $vgpr14
	v_cmpx_lt_i16_e32 45, v7
	s_xor_b32 s63, exec_lo, s63
	s_cbranch_execz .LBB14_1247
; %bb.1244:                             ;   in Loop: Header=BB14_17 Depth=1
	s_mov_b32 s72, exec_lo
                                        ; implicit-def: $vgpr14
	v_cmpx_eq_u16_e32 46, v7
	s_cbranch_execz .LBB14_1246
; %bb.1245:                             ;   in Loop: Header=BB14_17 Depth=1
	flat_load_b32 v14, v[16:17]
	s_mov_b32 s62, exec_lo
	s_wait_loadcnt_dscnt 0x0
	v_lshlrev_b32_e32 v14, 16, v14
.LBB14_1246:                            ;   in Loop: Header=BB14_17 Depth=1
	s_wait_xcnt 0x0
	s_or_b32 exec_lo, exec_lo, s72
	s_delay_alu instid0(SALU_CYCLE_1)
	s_and_b32 s62, s62, exec_lo
                                        ; implicit-def: $vgpr16_vgpr17
.LBB14_1247:                            ;   in Loop: Header=BB14_17 Depth=1
	s_and_not1_saveexec_b32 s63, s63
	s_cbranch_execz .LBB14_1251
; %bb.1248:                             ;   in Loop: Header=BB14_17 Depth=1
	s_mov_b32 s73, s62
	s_mov_b32 s72, exec_lo
                                        ; implicit-def: $vgpr14
	v_cmpx_eq_u16_e32 44, v7
	s_cbranch_execz .LBB14_1250
; %bb.1249:                             ;   in Loop: Header=BB14_17 Depth=1
	flat_load_u8 v14, v[16:17]
	s_or_b32 s73, s62, exec_lo
	s_wait_loadcnt_dscnt 0x0
	v_lshlrev_b32_e32 v16, 23, v14
	v_cmp_ne_u32_e32 vcc_lo, 0xff, v14
	s_delay_alu instid0(VALU_DEP_2) | instskip(SKIP_1) | instid1(VALU_DEP_2)
	v_cndmask_b32_e32 v16, 0x7f800001, v16, vcc_lo
	v_cmp_ne_u32_e32 vcc_lo, 0, v14
	v_cndmask_b32_e32 v14, 0x400000, v16, vcc_lo
.LBB14_1250:                            ;   in Loop: Header=BB14_17 Depth=1
	s_or_b32 exec_lo, exec_lo, s72
	s_delay_alu instid0(SALU_CYCLE_1) | instskip(SKIP_1) | instid1(SALU_CYCLE_1)
	s_and_not1_b32 s62, s62, exec_lo
	s_and_b32 s72, s73, exec_lo
	s_or_b32 s62, s62, s72
.LBB14_1251:                            ;   in Loop: Header=BB14_17 Depth=1
	s_or_b32 exec_lo, exec_lo, s63
	s_delay_alu instid0(SALU_CYCLE_1)
	s_and_b32 s62, s62, exec_lo
                                        ; implicit-def: $vgpr16_vgpr17
.LBB14_1252:                            ;   in Loop: Header=BB14_17 Depth=1
	s_and_not1_saveexec_b32 s60, s60
	s_cbranch_execz .LBB14_1256
; %bb.1253:                             ;   in Loop: Header=BB14_17 Depth=1
	s_mov_b32 s72, s62
	s_mov_b32 s63, exec_lo
                                        ; implicit-def: $vgpr14
	v_cmpx_eq_u16_e32 29, v7
	s_cbranch_execz .LBB14_1255
; %bb.1254:                             ;   in Loop: Header=BB14_17 Depth=1
	flat_load_b64 v[16:17], v[16:17]
	s_or_b32 s72, s62, exec_lo
	s_wait_loadcnt_dscnt 0x0
	v_clz_i32_u32_e32 v14, v17
	s_delay_alu instid0(VALU_DEP_1) | instskip(SKIP_1) | instid1(VALU_DEP_1)
	v_min_u32_e32 v14, 32, v14
	s_wait_xcnt 0x0
	v_lshlrev_b64_e32 v[16:17], v14, v[16:17]
	v_sub_nc_u32_e32 v14, 32, v14
	s_delay_alu instid0(VALU_DEP_2) | instskip(NEXT) | instid1(VALU_DEP_1)
	v_min_u32_e32 v16, 1, v16
	v_or_b32_e32 v16, v17, v16
	s_delay_alu instid0(VALU_DEP_1) | instskip(NEXT) | instid1(VALU_DEP_1)
	v_cvt_f32_u32_e32 v16, v16
	v_ldexp_f32 v14, v16, v14
.LBB14_1255:                            ;   in Loop: Header=BB14_17 Depth=1
	s_or_b32 exec_lo, exec_lo, s63
	s_delay_alu instid0(SALU_CYCLE_1) | instskip(SKIP_1) | instid1(SALU_CYCLE_1)
	s_and_not1_b32 s62, s62, exec_lo
	s_and_b32 s63, s72, exec_lo
	s_or_b32 s62, s62, s63
.LBB14_1256:                            ;   in Loop: Header=BB14_17 Depth=1
	s_or_b32 exec_lo, exec_lo, s60
	s_delay_alu instid0(SALU_CYCLE_1)
	s_and_b32 s60, s62, exec_lo
                                        ; implicit-def: $vgpr16_vgpr17
.LBB14_1257:                            ;   in Loop: Header=BB14_17 Depth=1
	s_and_not1_saveexec_b32 s61, s61
	s_cbranch_execz .LBB14_1271
; %bb.1258:                             ;   in Loop: Header=BB14_17 Depth=1
	s_mov_b32 s62, exec_lo
                                        ; implicit-def: $vgpr14
	v_cmpx_lt_i16_e32 26, v7
	s_xor_b32 s62, exec_lo, s62
	s_cbranch_execz .LBB14_1264
; %bb.1259:                             ;   in Loop: Header=BB14_17 Depth=1
	s_mov_b32 s63, exec_lo
                                        ; implicit-def: $vgpr14
	v_cmpx_lt_i16_e32 27, v7
	s_xor_b32 s63, exec_lo, s63
	s_cbranch_execz .LBB14_1261
; %bb.1260:                             ;   in Loop: Header=BB14_17 Depth=1
	flat_load_b32 v14, v[16:17]
                                        ; implicit-def: $vgpr16_vgpr17
	s_wait_loadcnt_dscnt 0x0
	v_cvt_f32_u32_e32 v14, v14
.LBB14_1261:                            ;   in Loop: Header=BB14_17 Depth=1
	s_wait_xcnt 0x0
	s_and_not1_saveexec_b32 s63, s63
	s_cbranch_execz .LBB14_1263
; %bb.1262:                             ;   in Loop: Header=BB14_17 Depth=1
	flat_load_u16 v14, v[16:17]
	s_wait_loadcnt_dscnt 0x0
	v_cvt_f32_u32_e32 v14, v14
.LBB14_1263:                            ;   in Loop: Header=BB14_17 Depth=1
	s_wait_xcnt 0x0
	s_or_b32 exec_lo, exec_lo, s63
                                        ; implicit-def: $vgpr16_vgpr17
.LBB14_1264:                            ;   in Loop: Header=BB14_17 Depth=1
	s_and_not1_saveexec_b32 s62, s62
	s_cbranch_execz .LBB14_1270
; %bb.1265:                             ;   in Loop: Header=BB14_17 Depth=1
	flat_load_u8 v16, v[16:17]
	s_mov_b32 s63, 0
	s_mov_b32 s72, exec_lo
	s_wait_loadcnt_dscnt 0x0
	v_cmpx_lt_i16_e32 0x7f, v16
	s_xor_b32 s72, exec_lo, s72
	s_cbranch_execnz .LBB14_3358
; %bb.1266:                             ;   in Loop: Header=BB14_17 Depth=1
	s_or_saveexec_b32 s72, s72
	v_mov_b32_e32 v14, 0x7f800001
	s_xor_b32 exec_lo, exec_lo, s72
	s_cbranch_execnz .LBB14_3361
.LBB14_1267:                            ;   in Loop: Header=BB14_17 Depth=1
	s_or_b32 exec_lo, exec_lo, s72
	s_and_saveexec_b32 s72, s63
	s_cbranch_execz .LBB14_1269
.LBB14_1268:                            ;   in Loop: Header=BB14_17 Depth=1
	v_and_b32_e32 v14, 0xffff, v16
	s_delay_alu instid0(VALU_DEP_1) | instskip(SKIP_1) | instid1(VALU_DEP_2)
	v_and_b32_e32 v17, 7, v14
	v_bfe_u32 v22, v14, 3, 4
	v_clz_i32_u32_e32 v20, v17
	s_delay_alu instid0(VALU_DEP_2) | instskip(NEXT) | instid1(VALU_DEP_2)
	v_cmp_eq_u32_e32 vcc_lo, 0, v22
	v_min_u32_e32 v20, 32, v20
	s_delay_alu instid0(VALU_DEP_1) | instskip(NEXT) | instid1(VALU_DEP_1)
	v_subrev_nc_u32_e32 v21, 28, v20
	v_dual_lshlrev_b32 v14, v21, v14 :: v_dual_sub_nc_u32 v20, 29, v20
	s_delay_alu instid0(VALU_DEP_1) | instskip(NEXT) | instid1(VALU_DEP_1)
	v_dual_lshlrev_b32 v16, 24, v16 :: v_dual_bitop2_b32 v14, 7, v14 bitop3:0x40
	v_dual_cndmask_b32 v14, v17, v14, vcc_lo :: v_dual_cndmask_b32 v20, v22, v20, vcc_lo
	s_delay_alu instid0(VALU_DEP_2) | instskip(NEXT) | instid1(VALU_DEP_2)
	v_and_b32_e32 v16, 0x80000000, v16
	v_lshlrev_b32_e32 v14, 20, v14
	s_delay_alu instid0(VALU_DEP_3) | instskip(NEXT) | instid1(VALU_DEP_1)
	v_lshl_add_u32 v17, v20, 23, 0x3b800000
	v_or3_b32 v14, v16, v17, v14
.LBB14_1269:                            ;   in Loop: Header=BB14_17 Depth=1
	s_or_b32 exec_lo, exec_lo, s72
.LBB14_1270:                            ;   in Loop: Header=BB14_17 Depth=1
	s_delay_alu instid0(SALU_CYCLE_1) | instskip(NEXT) | instid1(SALU_CYCLE_1)
	s_or_b32 exec_lo, exec_lo, s62
	s_or_b32 s60, s60, exec_lo
.LBB14_1271:                            ;   in Loop: Header=BB14_17 Depth=1
	s_or_b32 exec_lo, exec_lo, s61
	s_delay_alu instid0(SALU_CYCLE_1)
	s_and_b32 s60, s60, exec_lo
                                        ; implicit-def: $vgpr16_vgpr17
.LBB14_1272:                            ;   in Loop: Header=BB14_17 Depth=1
	s_and_not1_saveexec_b32 s57, s57
	s_cbranch_execz .LBB14_1298
; %bb.1273:                             ;   in Loop: Header=BB14_17 Depth=1
	s_mov_b32 s62, s60
	s_mov_b32 s61, exec_lo
                                        ; implicit-def: $vgpr14
	v_cmpx_lt_i16_e32 22, v7
	s_xor_b32 s61, exec_lo, s61
	s_cbranch_execz .LBB14_1287
; %bb.1274:                             ;   in Loop: Header=BB14_17 Depth=1
	s_mov_b32 s62, exec_lo
                                        ; implicit-def: $vgpr14
	v_cmpx_lt_i16_e32 23, v7
	s_xor_b32 s62, exec_lo, s62
	s_cbranch_execz .LBB14_1284
; %bb.1275:                             ;   in Loop: Header=BB14_17 Depth=1
	;; [unrolled: 6-line block ×3, first 2 shown]
	flat_load_u8 v16, v[16:17]
	s_mov_b32 s72, 0
	s_mov_b32 s73, exec_lo
	s_wait_loadcnt_dscnt 0x0
	v_cmpx_lt_i16_e32 0x7f, v16
	s_xor_b32 s73, exec_lo, s73
	s_cbranch_execnz .LBB14_3470
; %bb.1277:                             ;   in Loop: Header=BB14_17 Depth=1
	s_or_saveexec_b32 s73, s73
	v_mov_b32_e32 v14, 0x7f800001
	s_xor_b32 exec_lo, exec_lo, s73
	s_cbranch_execnz .LBB14_3473
.LBB14_1278:                            ;   in Loop: Header=BB14_17 Depth=1
	s_or_b32 exec_lo, exec_lo, s73
	s_and_saveexec_b32 s73, s72
	s_cbranch_execz .LBB14_1280
.LBB14_1279:                            ;   in Loop: Header=BB14_17 Depth=1
	v_and_b32_e32 v14, 0xffff, v16
	s_delay_alu instid0(VALU_DEP_1) | instskip(SKIP_1) | instid1(VALU_DEP_2)
	v_and_b32_e32 v17, 3, v14
	v_bfe_u32 v22, v14, 2, 5
	v_clz_i32_u32_e32 v20, v17
	s_delay_alu instid0(VALU_DEP_2) | instskip(NEXT) | instid1(VALU_DEP_2)
	v_cmp_eq_u32_e32 vcc_lo, 0, v22
	v_min_u32_e32 v20, 32, v20
	s_delay_alu instid0(VALU_DEP_1) | instskip(NEXT) | instid1(VALU_DEP_1)
	v_subrev_nc_u32_e32 v21, 29, v20
	v_dual_lshlrev_b32 v14, v21, v14 :: v_dual_sub_nc_u32 v20, 30, v20
	s_delay_alu instid0(VALU_DEP_1) | instskip(NEXT) | instid1(VALU_DEP_1)
	v_dual_lshlrev_b32 v16, 24, v16 :: v_dual_bitop2_b32 v14, 3, v14 bitop3:0x40
	v_dual_cndmask_b32 v14, v17, v14, vcc_lo :: v_dual_cndmask_b32 v20, v22, v20, vcc_lo
	s_delay_alu instid0(VALU_DEP_2) | instskip(NEXT) | instid1(VALU_DEP_2)
	v_and_b32_e32 v16, 0x80000000, v16
	v_lshlrev_b32_e32 v14, 21, v14
	s_delay_alu instid0(VALU_DEP_3) | instskip(NEXT) | instid1(VALU_DEP_1)
	v_lshl_add_u32 v17, v20, 23, 0x37800000
	v_or3_b32 v14, v16, v17, v14
.LBB14_1280:                            ;   in Loop: Header=BB14_17 Depth=1
	s_or_b32 exec_lo, exec_lo, s73
                                        ; implicit-def: $vgpr16_vgpr17
.LBB14_1281:                            ;   in Loop: Header=BB14_17 Depth=1
	s_and_not1_saveexec_b32 s63, s63
	s_cbranch_execz .LBB14_1283
; %bb.1282:                             ;   in Loop: Header=BB14_17 Depth=1
	flat_load_u8 v14, v[16:17]
	s_wait_loadcnt_dscnt 0x0
	v_lshlrev_b32_e32 v14, 24, v14
	s_wait_xcnt 0x0
	s_delay_alu instid0(VALU_DEP_1) | instskip(NEXT) | instid1(VALU_DEP_1)
	v_and_b32_e32 v16, 0x7f000000, v14
	v_clz_i32_u32_e32 v17, v16
	v_cmp_ne_u32_e32 vcc_lo, 0, v16
	v_add_nc_u32_e32 v21, 0x1000000, v16
	s_delay_alu instid0(VALU_DEP_3) | instskip(NEXT) | instid1(VALU_DEP_1)
	v_min_u32_e32 v17, 32, v17
	v_sub_nc_u32_e64 v17, v17, 4 clamp
	s_delay_alu instid0(VALU_DEP_1) | instskip(NEXT) | instid1(VALU_DEP_1)
	v_dual_lshlrev_b32 v20, v17, v16 :: v_dual_lshlrev_b32 v17, 23, v17
	v_lshrrev_b32_e32 v20, 4, v20
	s_delay_alu instid0(VALU_DEP_1) | instskip(SKIP_1) | instid1(VALU_DEP_2)
	v_sub_nc_u32_e32 v17, v20, v17
	v_ashrrev_i32_e32 v20, 8, v21
	v_add_nc_u32_e32 v17, 0x3c000000, v17
	s_delay_alu instid0(VALU_DEP_1) | instskip(NEXT) | instid1(VALU_DEP_1)
	v_and_or_b32 v17, 0x7f800000, v20, v17
	v_cndmask_b32_e32 v16, 0, v17, vcc_lo
	s_delay_alu instid0(VALU_DEP_1)
	v_and_or_b32 v14, 0x80000000, v14, v16
.LBB14_1283:                            ;   in Loop: Header=BB14_17 Depth=1
	s_or_b32 exec_lo, exec_lo, s63
                                        ; implicit-def: $vgpr16_vgpr17
.LBB14_1284:                            ;   in Loop: Header=BB14_17 Depth=1
	s_and_not1_saveexec_b32 s62, s62
	s_cbranch_execz .LBB14_1286
; %bb.1285:                             ;   in Loop: Header=BB14_17 Depth=1
	flat_load_u8 v14, v[16:17]
	s_wait_loadcnt_dscnt 0x0
	v_lshlrev_b32_e32 v16, 25, v14
	v_lshlrev_b16 v14, 8, v14
	s_delay_alu instid0(VALU_DEP_1) | instskip(SKIP_1) | instid1(VALU_DEP_2)
	v_and_or_b32 v20, 0x7f00, v14, 0.5
	v_bfe_i32 v14, v14, 0, 16
	v_add_f32_e32 v20, -0.5, v20
	v_lshrrev_b32_e32 v17, 4, v16
	v_cmp_gt_u32_e32 vcc_lo, 0x8000000, v16
	s_delay_alu instid0(VALU_DEP_2) | instskip(NEXT) | instid1(VALU_DEP_1)
	v_or_b32_e32 v17, 0x70000000, v17
	v_mul_f32_e32 v17, 0x7800000, v17
	s_delay_alu instid0(VALU_DEP_1) | instskip(NEXT) | instid1(VALU_DEP_1)
	v_cndmask_b32_e32 v16, v17, v20, vcc_lo
	v_and_or_b32 v14, 0x80000000, v14, v16
.LBB14_1286:                            ;   in Loop: Header=BB14_17 Depth=1
	s_or_b32 exec_lo, exec_lo, s62
	s_delay_alu instid0(SALU_CYCLE_1)
	s_or_b32 s62, s60, exec_lo
                                        ; implicit-def: $vgpr16_vgpr17
.LBB14_1287:                            ;   in Loop: Header=BB14_17 Depth=1
	s_and_not1_saveexec_b32 s61, s61
	s_cbranch_execz .LBB14_1297
; %bb.1288:                             ;   in Loop: Header=BB14_17 Depth=1
	s_mov_b32 s63, s62
	s_mov_b32 s72, exec_lo
                                        ; implicit-def: $vgpr14
	v_cmpx_lt_i16_e32 14, v7
	s_xor_b32 s72, exec_lo, s72
	s_cbranch_execz .LBB14_1292
; %bb.1289:                             ;   in Loop: Header=BB14_17 Depth=1
	s_mov_b32 s63, s62
	s_mov_b32 s73, exec_lo
                                        ; implicit-def: $vgpr14
	v_cmpx_eq_u16_e32 15, v7
	s_cbranch_execz .LBB14_1291
; %bb.1290:                             ;   in Loop: Header=BB14_17 Depth=1
	flat_load_u16 v14, v[16:17]
	s_or_b32 s63, s62, exec_lo
	s_wait_loadcnt_dscnt 0x0
	v_lshlrev_b32_e32 v14, 16, v14
.LBB14_1291:                            ;   in Loop: Header=BB14_17 Depth=1
	s_wait_xcnt 0x0
	s_or_b32 exec_lo, exec_lo, s73
	s_delay_alu instid0(SALU_CYCLE_1) | instskip(SKIP_1) | instid1(SALU_CYCLE_1)
	s_and_not1_b32 s73, s62, exec_lo
	s_and_b32 s63, s63, exec_lo
                                        ; implicit-def: $vgpr16_vgpr17
	s_or_b32 s63, s73, s63
.LBB14_1292:                            ;   in Loop: Header=BB14_17 Depth=1
	s_and_not1_saveexec_b32 s72, s72
	s_cbranch_execz .LBB14_1296
; %bb.1293:                             ;   in Loop: Header=BB14_17 Depth=1
	s_mov_b32 s73, s63
	s_mov_b32 s74, exec_lo
                                        ; implicit-def: $vgpr14
	v_cmpx_eq_u16_e32 11, v7
	s_cbranch_execz .LBB14_1295
; %bb.1294:                             ;   in Loop: Header=BB14_17 Depth=1
	flat_load_u8 v14, v[16:17]
	s_or_b32 s73, s63, exec_lo
	s_wait_loadcnt_dscnt 0x0
	v_cmp_ne_u16_e32 vcc_lo, 0, v14
	v_cndmask_b32_e64 v14, 0, 1.0, vcc_lo
.LBB14_1295:                            ;   in Loop: Header=BB14_17 Depth=1
	s_wait_xcnt 0x0
	s_or_b32 exec_lo, exec_lo, s74
	s_delay_alu instid0(SALU_CYCLE_1) | instskip(SKIP_1) | instid1(SALU_CYCLE_1)
	s_and_not1_b32 s63, s63, exec_lo
	s_and_b32 s73, s73, exec_lo
	s_or_b32 s63, s63, s73
.LBB14_1296:                            ;   in Loop: Header=BB14_17 Depth=1
	s_or_b32 exec_lo, exec_lo, s72
	s_delay_alu instid0(SALU_CYCLE_1) | instskip(SKIP_1) | instid1(SALU_CYCLE_1)
	s_and_not1_b32 s62, s62, exec_lo
	s_and_b32 s63, s63, exec_lo
	s_or_b32 s62, s62, s63
.LBB14_1297:                            ;   in Loop: Header=BB14_17 Depth=1
	s_or_b32 exec_lo, exec_lo, s61
	s_delay_alu instid0(SALU_CYCLE_1) | instskip(SKIP_1) | instid1(SALU_CYCLE_1)
	s_and_not1_b32 s60, s60, exec_lo
	s_and_b32 s61, s62, exec_lo
	s_or_b32 s60, s60, s61
.LBB14_1298:                            ;   in Loop: Header=BB14_17 Depth=1
	s_or_b32 exec_lo, exec_lo, s57
	s_delay_alu instid0(SALU_CYCLE_1)
	s_and_b32 s61, s60, exec_lo
                                        ; implicit-def: $vgpr16_vgpr17
.LBB14_1299:                            ;   in Loop: Header=BB14_17 Depth=1
	s_and_not1_saveexec_b32 s56, s56
	s_cbranch_execz .LBB14_1341
; %bb.1300:                             ;   in Loop: Header=BB14_17 Depth=1
	s_mov_b32 s57, exec_lo
                                        ; implicit-def: $vgpr14
	v_cmpx_lt_i16_e32 4, v7
	s_xor_b32 s57, exec_lo, s57
	s_cbranch_execz .LBB14_1322
; %bb.1301:                             ;   in Loop: Header=BB14_17 Depth=1
	s_mov_b32 s60, exec_lo
                                        ; implicit-def: $vgpr14
	v_cmpx_lt_i16_e32 7, v7
	s_xor_b32 s60, exec_lo, s60
	;; [unrolled: 6-line block ×4, first 2 shown]
	s_cbranch_execz .LBB14_1305
; %bb.1304:                             ;   in Loop: Header=BB14_17 Depth=1
	flat_load_b64 v[16:17], v[16:17]
	s_wait_loadcnt_dscnt 0x0
	v_cvt_f32_f64_e32 v14, v[16:17]
                                        ; implicit-def: $vgpr16_vgpr17
.LBB14_1305:                            ;   in Loop: Header=BB14_17 Depth=1
	s_wait_xcnt 0x0
	s_and_not1_saveexec_b32 s63, s63
	s_cbranch_execz .LBB14_1307
; %bb.1306:                             ;   in Loop: Header=BB14_17 Depth=1
	flat_load_b32 v14, v[16:17]
.LBB14_1307:                            ;   in Loop: Header=BB14_17 Depth=1
	s_wait_xcnt 0x0
	s_or_b32 exec_lo, exec_lo, s63
                                        ; implicit-def: $vgpr16_vgpr17
.LBB14_1308:                            ;   in Loop: Header=BB14_17 Depth=1
	s_and_not1_saveexec_b32 s62, s62
	s_cbranch_execz .LBB14_1310
; %bb.1309:                             ;   in Loop: Header=BB14_17 Depth=1
	s_wait_loadcnt_dscnt 0x0
	flat_load_b32 v14, v[16:17]
	s_wait_loadcnt_dscnt 0x0
	v_cvt_f32_f16_e32 v14, v14
.LBB14_1310:                            ;   in Loop: Header=BB14_17 Depth=1
	s_wait_xcnt 0x0
	s_or_b32 exec_lo, exec_lo, s62
                                        ; implicit-def: $vgpr16_vgpr17
.LBB14_1311:                            ;   in Loop: Header=BB14_17 Depth=1
	s_and_not1_saveexec_b32 s60, s60
	s_cbranch_execz .LBB14_1321
; %bb.1312:                             ;   in Loop: Header=BB14_17 Depth=1
	s_mov_b32 s62, exec_lo
                                        ; implicit-def: $vgpr14
	v_cmpx_lt_i16_e32 5, v7
	s_xor_b32 s62, exec_lo, s62
	s_cbranch_execz .LBB14_1318
; %bb.1313:                             ;   in Loop: Header=BB14_17 Depth=1
	s_mov_b32 s63, exec_lo
                                        ; implicit-def: $vgpr14
	v_cmpx_lt_i16_e32 6, v7
	s_xor_b32 s63, exec_lo, s63
	s_cbranch_execz .LBB14_1315
; %bb.1314:                             ;   in Loop: Header=BB14_17 Depth=1
	flat_load_b64 v[16:17], v[16:17]
	s_wait_loadcnt_dscnt 0x0
	v_cvt_f32_f64_e32 v14, v[16:17]
                                        ; implicit-def: $vgpr16_vgpr17
.LBB14_1315:                            ;   in Loop: Header=BB14_17 Depth=1
	s_wait_xcnt 0x0
	s_and_not1_saveexec_b32 s63, s63
	s_cbranch_execz .LBB14_1317
; %bb.1316:                             ;   in Loop: Header=BB14_17 Depth=1
	s_wait_loadcnt_dscnt 0x0
	flat_load_b32 v14, v[16:17]
.LBB14_1317:                            ;   in Loop: Header=BB14_17 Depth=1
	s_wait_xcnt 0x0
	s_or_b32 exec_lo, exec_lo, s63
                                        ; implicit-def: $vgpr16_vgpr17
.LBB14_1318:                            ;   in Loop: Header=BB14_17 Depth=1
	s_and_not1_saveexec_b32 s62, s62
	s_cbranch_execz .LBB14_1320
; %bb.1319:                             ;   in Loop: Header=BB14_17 Depth=1
	s_wait_loadcnt_dscnt 0x0
	flat_load_u16 v14, v[16:17]
	s_wait_loadcnt_dscnt 0x0
	v_cvt_f32_f16_e32 v14, v14
.LBB14_1320:                            ;   in Loop: Header=BB14_17 Depth=1
	s_wait_xcnt 0x0
	s_or_b32 exec_lo, exec_lo, s62
.LBB14_1321:                            ;   in Loop: Header=BB14_17 Depth=1
	s_delay_alu instid0(SALU_CYCLE_1)
	s_or_b32 exec_lo, exec_lo, s60
                                        ; implicit-def: $vgpr16_vgpr17
.LBB14_1322:                            ;   in Loop: Header=BB14_17 Depth=1
	s_and_not1_saveexec_b32 s57, s57
	s_cbranch_execz .LBB14_1340
; %bb.1323:                             ;   in Loop: Header=BB14_17 Depth=1
	s_mov_b32 s60, exec_lo
                                        ; implicit-def: $vgpr14
	v_cmpx_lt_i16_e32 1, v7
	s_xor_b32 s60, exec_lo, s60
	s_cbranch_execz .LBB14_1333
; %bb.1324:                             ;   in Loop: Header=BB14_17 Depth=1
	s_mov_b32 s62, exec_lo
                                        ; implicit-def: $vgpr14
	v_cmpx_lt_i16_e32 2, v7
	s_xor_b32 s62, exec_lo, s62
	;; [unrolled: 6-line block ×3, first 2 shown]
	s_cbranch_execz .LBB14_1327
; %bb.1326:                             ;   in Loop: Header=BB14_17 Depth=1
	flat_load_b64 v[16:17], v[16:17]
	s_wait_loadcnt_dscnt 0x0
	v_xor_b32_e32 v14, v16, v17
	v_cls_i32_e32 v20, v17
	s_delay_alu instid0(VALU_DEP_2) | instskip(NEXT) | instid1(VALU_DEP_1)
	v_ashrrev_i32_e32 v14, 31, v14
	v_add_nc_u32_e32 v14, 32, v14
	s_delay_alu instid0(VALU_DEP_1) | instskip(SKIP_1) | instid1(VALU_DEP_1)
	v_add_min_u32_e64 v14, v20, -1, v14
	s_wait_xcnt 0x0
	v_lshlrev_b64_e32 v[16:17], v14, v[16:17]
	v_sub_nc_u32_e32 v14, 32, v14
	s_delay_alu instid0(VALU_DEP_2) | instskip(NEXT) | instid1(VALU_DEP_1)
	v_min_u32_e32 v16, 1, v16
	v_or_b32_e32 v16, v17, v16
	s_delay_alu instid0(VALU_DEP_1) | instskip(NEXT) | instid1(VALU_DEP_1)
	v_cvt_f32_i32_e32 v16, v16
	v_ldexp_f32 v14, v16, v14
                                        ; implicit-def: $vgpr16_vgpr17
.LBB14_1327:                            ;   in Loop: Header=BB14_17 Depth=1
	s_and_not1_saveexec_b32 s63, s63
	s_cbranch_execz .LBB14_1329
; %bb.1328:                             ;   in Loop: Header=BB14_17 Depth=1
	s_wait_loadcnt_dscnt 0x0
	flat_load_b32 v14, v[16:17]
	s_wait_loadcnt_dscnt 0x0
	v_cvt_f32_i32_e32 v14, v14
.LBB14_1329:                            ;   in Loop: Header=BB14_17 Depth=1
	s_wait_xcnt 0x0
	s_or_b32 exec_lo, exec_lo, s63
                                        ; implicit-def: $vgpr16_vgpr17
.LBB14_1330:                            ;   in Loop: Header=BB14_17 Depth=1
	s_and_not1_saveexec_b32 s62, s62
	s_cbranch_execz .LBB14_1332
; %bb.1331:                             ;   in Loop: Header=BB14_17 Depth=1
	s_wait_loadcnt_dscnt 0x0
	flat_load_i16 v14, v[16:17]
	s_wait_loadcnt_dscnt 0x0
	v_cvt_f32_i32_e32 v14, v14
.LBB14_1332:                            ;   in Loop: Header=BB14_17 Depth=1
	s_wait_xcnt 0x0
	s_or_b32 exec_lo, exec_lo, s62
                                        ; implicit-def: $vgpr16_vgpr17
.LBB14_1333:                            ;   in Loop: Header=BB14_17 Depth=1
	s_and_not1_saveexec_b32 s60, s60
	s_cbranch_execz .LBB14_1339
; %bb.1334:                             ;   in Loop: Header=BB14_17 Depth=1
	s_mov_b32 s62, exec_lo
                                        ; implicit-def: $vgpr14
	v_cmpx_lt_i16_e32 0, v7
	s_xor_b32 s62, exec_lo, s62
	s_cbranch_execz .LBB14_1336
; %bb.1335:                             ;   in Loop: Header=BB14_17 Depth=1
	s_wait_loadcnt_dscnt 0x0
	flat_load_i8 v14, v[16:17]
                                        ; implicit-def: $vgpr16_vgpr17
	s_wait_loadcnt_dscnt 0x0
	v_cvt_f32_i32_e32 v14, v14
.LBB14_1336:                            ;   in Loop: Header=BB14_17 Depth=1
	s_wait_xcnt 0x0
	s_and_not1_saveexec_b32 s62, s62
	s_cbranch_execz .LBB14_1338
; %bb.1337:                             ;   in Loop: Header=BB14_17 Depth=1
	s_wait_loadcnt_dscnt 0x0
	flat_load_u8 v14, v[16:17]
	s_wait_loadcnt_dscnt 0x0
	v_cvt_f32_ubyte0_e32 v14, v14
.LBB14_1338:                            ;   in Loop: Header=BB14_17 Depth=1
	s_wait_xcnt 0x0
	s_or_b32 exec_lo, exec_lo, s62
.LBB14_1339:                            ;   in Loop: Header=BB14_17 Depth=1
	s_delay_alu instid0(SALU_CYCLE_1)
	s_or_b32 exec_lo, exec_lo, s60
.LBB14_1340:                            ;   in Loop: Header=BB14_17 Depth=1
	s_delay_alu instid0(SALU_CYCLE_1) | instskip(NEXT) | instid1(SALU_CYCLE_1)
	s_or_b32 exec_lo, exec_lo, s57
	s_or_b32 s61, s61, exec_lo
.LBB14_1341:                            ;   in Loop: Header=BB14_17 Depth=1
	s_or_b32 exec_lo, exec_lo, s56
	s_mov_b32 s56, -1
	s_mov_b32 s62, 0
	s_mov_b32 s57, 0
	s_and_saveexec_b32 s60, s61
	s_cbranch_execz .LBB14_1347
; %bb.1342:                             ;   in Loop: Header=BB14_17 Depth=1
	s_add_co_i32 s56, s32, s1
	s_mov_b32 s61, 0
	s_wait_loadcnt_dscnt 0x0
	scratch_store_b32 off, v14, s56 offset:92
	s_wait_xcnt 0x0
	v_mul_lo_u32 v14, v19, v10
	v_and_b32_e32 v19, 0xff, v8
	s_mov_b32 s57, exec_lo
	s_delay_alu instid0(VALU_DEP_2) | instskip(NEXT) | instid1(VALU_DEP_2)
	v_add_nc_u64_e32 v[16:17], v[4:5], v[14:15]
                                        ; implicit-def: $vgpr14
	v_cmpx_lt_i16_e32 10, v19
	s_xor_b32 s57, exec_lo, s57
	s_cbranch_execnz .LBB14_3014
; %bb.1343:                             ;   in Loop: Header=BB14_17 Depth=1
	s_and_not1_saveexec_b32 s57, s57
	s_cbranch_execnz .LBB14_3073
.LBB14_1344:                            ;   in Loop: Header=BB14_17 Depth=1
	s_or_b32 exec_lo, exec_lo, s57
	s_mov_b32 s62, 0
	s_and_saveexec_b32 s57, s61
	s_cbranch_execz .LBB14_1346
.LBB14_1345:                            ;   in Loop: Header=BB14_17 Depth=1
	v_add_nc_u32_e32 v18, 0x200, v18
	s_mov_b32 s62, exec_lo
	s_wait_loadcnt_dscnt 0x0
	scratch_store_b32 off, v14, s56 offset:88
.LBB14_1346:                            ;   in Loop: Header=BB14_17 Depth=1
	s_wait_xcnt 0x0
	s_or_b32 exec_lo, exec_lo, s57
	s_delay_alu instid0(SALU_CYCLE_1)
	s_mov_b32 s57, exec_lo
	s_xor_b32 s56, exec_lo, -1
	s_and_b32 s62, s62, exec_lo
.LBB14_1347:                            ;   in Loop: Header=BB14_17 Depth=1
	s_or_b32 exec_lo, exec_lo, s60
	s_delay_alu instid0(SALU_CYCLE_1)
	s_or_not1_b32 s60, s62, exec_lo
.LBB14_1348:                            ;   in Loop: Header=BB14_17 Depth=1
	s_or_b32 exec_lo, exec_lo, s58
	s_and_saveexec_b32 s58, s60
	s_cbranch_execz .LBB14_5
; %bb.1349:                             ;   in Loop: Header=BB14_17 Depth=1
	s_mov_b32 s62, -1
	s_mov_b32 s63, -1
	s_mov_b32 s61, exec_lo
                                        ; implicit-def: $sgpr59
                                        ; implicit-def: $sgpr60
	v_cmpx_lt_i32_e64 v18, v6
	s_cbranch_execz .LBB14_1459
; %bb.1350:                             ;   in Loop: Header=BB14_17 Depth=1
	v_add_nc_u32_e32 v19, s2, v18
	s_mov_b32 s72, 0
	s_mov_b32 s59, exec_lo
	s_wait_loadcnt_dscnt 0x0
	s_delay_alu instid0(VALU_DEP_1) | instskip(NEXT) | instid1(VALU_DEP_1)
	v_mul_lo_u32 v14, v19, v9
	v_add_nc_u64_e32 v[16:17], v[2:3], v[14:15]
                                        ; implicit-def: $vgpr14
	v_cmpx_lt_i16_e32 10, v7
	s_xor_b32 s59, exec_lo, s59
	s_cbranch_execz .LBB14_1410
; %bb.1351:                             ;   in Loop: Header=BB14_17 Depth=1
	s_mov_b32 s63, 0
	s_mov_b32 s60, exec_lo
                                        ; implicit-def: $vgpr14
	v_cmpx_lt_i16_e32 25, v7
	s_xor_b32 s60, exec_lo, s60
	s_cbranch_execz .LBB14_1383
; %bb.1352:                             ;   in Loop: Header=BB14_17 Depth=1
	s_mov_b32 s72, exec_lo
                                        ; implicit-def: $vgpr14
	v_cmpx_lt_i16_e32 28, v7
	s_xor_b32 s72, exec_lo, s72
	s_cbranch_execz .LBB14_1368
; %bb.1353:                             ;   in Loop: Header=BB14_17 Depth=1
	s_mov_b32 s73, 0
	s_mov_b32 s63, exec_lo
                                        ; implicit-def: $vgpr14
	v_cmpx_lt_i16_e32 43, v7
	s_xor_b32 s63, exec_lo, s63
	s_cbranch_execz .LBB14_1363
; %bb.1354:                             ;   in Loop: Header=BB14_17 Depth=1
	s_mov_b32 s74, exec_lo
                                        ; implicit-def: $vgpr14
	v_cmpx_lt_i16_e32 45, v7
	s_xor_b32 s74, exec_lo, s74
	s_cbranch_execz .LBB14_1358
; %bb.1355:                             ;   in Loop: Header=BB14_17 Depth=1
	s_mov_b32 s75, exec_lo
                                        ; implicit-def: $vgpr14
	v_cmpx_eq_u16_e32 46, v7
	s_cbranch_execz .LBB14_1357
; %bb.1356:                             ;   in Loop: Header=BB14_17 Depth=1
	flat_load_b32 v14, v[16:17]
	s_mov_b32 s73, exec_lo
	s_wait_loadcnt_dscnt 0x0
	v_lshlrev_b32_e32 v14, 16, v14
.LBB14_1357:                            ;   in Loop: Header=BB14_17 Depth=1
	s_wait_xcnt 0x0
	s_or_b32 exec_lo, exec_lo, s75
	s_delay_alu instid0(SALU_CYCLE_1)
	s_and_b32 s73, s73, exec_lo
                                        ; implicit-def: $vgpr16_vgpr17
.LBB14_1358:                            ;   in Loop: Header=BB14_17 Depth=1
	s_and_not1_saveexec_b32 s74, s74
	s_cbranch_execz .LBB14_1362
; %bb.1359:                             ;   in Loop: Header=BB14_17 Depth=1
	s_mov_b32 s76, s73
	s_mov_b32 s75, exec_lo
                                        ; implicit-def: $vgpr14
	v_cmpx_eq_u16_e32 44, v7
	s_cbranch_execz .LBB14_1361
; %bb.1360:                             ;   in Loop: Header=BB14_17 Depth=1
	flat_load_u8 v14, v[16:17]
	s_or_b32 s76, s73, exec_lo
	s_wait_loadcnt_dscnt 0x0
	v_lshlrev_b32_e32 v16, 23, v14
	v_cmp_ne_u32_e32 vcc_lo, 0xff, v14
	s_delay_alu instid0(VALU_DEP_2) | instskip(SKIP_1) | instid1(VALU_DEP_2)
	v_cndmask_b32_e32 v16, 0x7f800001, v16, vcc_lo
	v_cmp_ne_u32_e32 vcc_lo, 0, v14
	v_cndmask_b32_e32 v14, 0x400000, v16, vcc_lo
.LBB14_1361:                            ;   in Loop: Header=BB14_17 Depth=1
	s_or_b32 exec_lo, exec_lo, s75
	s_delay_alu instid0(SALU_CYCLE_1) | instskip(SKIP_1) | instid1(SALU_CYCLE_1)
	s_and_not1_b32 s73, s73, exec_lo
	s_and_b32 s75, s76, exec_lo
	s_or_b32 s73, s73, s75
.LBB14_1362:                            ;   in Loop: Header=BB14_17 Depth=1
	s_or_b32 exec_lo, exec_lo, s74
	s_delay_alu instid0(SALU_CYCLE_1)
	s_and_b32 s73, s73, exec_lo
                                        ; implicit-def: $vgpr16_vgpr17
.LBB14_1363:                            ;   in Loop: Header=BB14_17 Depth=1
	s_and_not1_saveexec_b32 s63, s63
	s_cbranch_execz .LBB14_1367
; %bb.1364:                             ;   in Loop: Header=BB14_17 Depth=1
	s_mov_b32 s75, s73
	s_mov_b32 s74, exec_lo
                                        ; implicit-def: $vgpr14
	v_cmpx_eq_u16_e32 29, v7
	s_cbranch_execz .LBB14_1366
; %bb.1365:                             ;   in Loop: Header=BB14_17 Depth=1
	flat_load_b64 v[16:17], v[16:17]
	s_or_b32 s75, s73, exec_lo
	s_wait_loadcnt_dscnt 0x0
	v_clz_i32_u32_e32 v14, v17
	s_delay_alu instid0(VALU_DEP_1) | instskip(SKIP_1) | instid1(VALU_DEP_1)
	v_min_u32_e32 v14, 32, v14
	s_wait_xcnt 0x0
	v_lshlrev_b64_e32 v[16:17], v14, v[16:17]
	v_sub_nc_u32_e32 v14, 32, v14
	s_delay_alu instid0(VALU_DEP_2) | instskip(NEXT) | instid1(VALU_DEP_1)
	v_min_u32_e32 v16, 1, v16
	v_or_b32_e32 v16, v17, v16
	s_delay_alu instid0(VALU_DEP_1) | instskip(NEXT) | instid1(VALU_DEP_1)
	v_cvt_f32_u32_e32 v16, v16
	v_ldexp_f32 v14, v16, v14
.LBB14_1366:                            ;   in Loop: Header=BB14_17 Depth=1
	s_or_b32 exec_lo, exec_lo, s74
	s_delay_alu instid0(SALU_CYCLE_1) | instskip(SKIP_1) | instid1(SALU_CYCLE_1)
	s_and_not1_b32 s73, s73, exec_lo
	s_and_b32 s74, s75, exec_lo
	s_or_b32 s73, s73, s74
.LBB14_1367:                            ;   in Loop: Header=BB14_17 Depth=1
	s_or_b32 exec_lo, exec_lo, s63
	s_delay_alu instid0(SALU_CYCLE_1)
	s_and_b32 s63, s73, exec_lo
                                        ; implicit-def: $vgpr16_vgpr17
.LBB14_1368:                            ;   in Loop: Header=BB14_17 Depth=1
	s_and_not1_saveexec_b32 s72, s72
	s_cbranch_execz .LBB14_1382
; %bb.1369:                             ;   in Loop: Header=BB14_17 Depth=1
	s_mov_b32 s73, exec_lo
                                        ; implicit-def: $vgpr14
	v_cmpx_lt_i16_e32 26, v7
	s_xor_b32 s73, exec_lo, s73
	s_cbranch_execz .LBB14_1375
; %bb.1370:                             ;   in Loop: Header=BB14_17 Depth=1
	s_mov_b32 s74, exec_lo
                                        ; implicit-def: $vgpr14
	v_cmpx_lt_i16_e32 27, v7
	s_xor_b32 s74, exec_lo, s74
	s_cbranch_execz .LBB14_1372
; %bb.1371:                             ;   in Loop: Header=BB14_17 Depth=1
	flat_load_b32 v14, v[16:17]
                                        ; implicit-def: $vgpr16_vgpr17
	s_wait_loadcnt_dscnt 0x0
	v_cvt_f32_u32_e32 v14, v14
.LBB14_1372:                            ;   in Loop: Header=BB14_17 Depth=1
	s_wait_xcnt 0x0
	s_and_not1_saveexec_b32 s74, s74
	s_cbranch_execz .LBB14_1374
; %bb.1373:                             ;   in Loop: Header=BB14_17 Depth=1
	flat_load_u16 v14, v[16:17]
	s_wait_loadcnt_dscnt 0x0
	v_cvt_f32_u32_e32 v14, v14
.LBB14_1374:                            ;   in Loop: Header=BB14_17 Depth=1
	s_wait_xcnt 0x0
	s_or_b32 exec_lo, exec_lo, s74
                                        ; implicit-def: $vgpr16_vgpr17
.LBB14_1375:                            ;   in Loop: Header=BB14_17 Depth=1
	s_and_not1_saveexec_b32 s73, s73
	s_cbranch_execz .LBB14_1381
; %bb.1376:                             ;   in Loop: Header=BB14_17 Depth=1
	flat_load_u8 v16, v[16:17]
	s_mov_b32 s74, 0
	s_mov_b32 s75, exec_lo
	s_wait_loadcnt_dscnt 0x0
	v_cmpx_lt_i16_e32 0x7f, v16
	s_xor_b32 s75, exec_lo, s75
	s_cbranch_execnz .LBB14_3474
; %bb.1377:                             ;   in Loop: Header=BB14_17 Depth=1
	s_or_saveexec_b32 s75, s75
	v_mov_b32_e32 v14, 0x7f800001
	s_xor_b32 exec_lo, exec_lo, s75
	s_cbranch_execnz .LBB14_3477
.LBB14_1378:                            ;   in Loop: Header=BB14_17 Depth=1
	s_or_b32 exec_lo, exec_lo, s75
	s_and_saveexec_b32 s75, s74
	s_cbranch_execz .LBB14_1380
.LBB14_1379:                            ;   in Loop: Header=BB14_17 Depth=1
	v_and_b32_e32 v14, 0xffff, v16
	s_delay_alu instid0(VALU_DEP_1) | instskip(SKIP_1) | instid1(VALU_DEP_2)
	v_and_b32_e32 v17, 7, v14
	v_bfe_u32 v22, v14, 3, 4
	v_clz_i32_u32_e32 v20, v17
	s_delay_alu instid0(VALU_DEP_2) | instskip(NEXT) | instid1(VALU_DEP_2)
	v_cmp_eq_u32_e32 vcc_lo, 0, v22
	v_min_u32_e32 v20, 32, v20
	s_delay_alu instid0(VALU_DEP_1) | instskip(NEXT) | instid1(VALU_DEP_1)
	v_subrev_nc_u32_e32 v21, 28, v20
	v_dual_lshlrev_b32 v14, v21, v14 :: v_dual_sub_nc_u32 v20, 29, v20
	s_delay_alu instid0(VALU_DEP_1) | instskip(NEXT) | instid1(VALU_DEP_1)
	v_dual_lshlrev_b32 v16, 24, v16 :: v_dual_bitop2_b32 v14, 7, v14 bitop3:0x40
	v_dual_cndmask_b32 v14, v17, v14, vcc_lo :: v_dual_cndmask_b32 v20, v22, v20, vcc_lo
	s_delay_alu instid0(VALU_DEP_2) | instskip(NEXT) | instid1(VALU_DEP_2)
	v_and_b32_e32 v16, 0x80000000, v16
	v_lshlrev_b32_e32 v14, 20, v14
	s_delay_alu instid0(VALU_DEP_3) | instskip(NEXT) | instid1(VALU_DEP_1)
	v_lshl_add_u32 v17, v20, 23, 0x3b800000
	v_or3_b32 v14, v16, v17, v14
.LBB14_1380:                            ;   in Loop: Header=BB14_17 Depth=1
	s_or_b32 exec_lo, exec_lo, s75
.LBB14_1381:                            ;   in Loop: Header=BB14_17 Depth=1
	s_delay_alu instid0(SALU_CYCLE_1) | instskip(NEXT) | instid1(SALU_CYCLE_1)
	s_or_b32 exec_lo, exec_lo, s73
	s_or_b32 s63, s63, exec_lo
.LBB14_1382:                            ;   in Loop: Header=BB14_17 Depth=1
	s_or_b32 exec_lo, exec_lo, s72
	s_delay_alu instid0(SALU_CYCLE_1)
	s_and_b32 s63, s63, exec_lo
                                        ; implicit-def: $vgpr16_vgpr17
.LBB14_1383:                            ;   in Loop: Header=BB14_17 Depth=1
	s_and_not1_saveexec_b32 s60, s60
	s_cbranch_execz .LBB14_1409
; %bb.1384:                             ;   in Loop: Header=BB14_17 Depth=1
	s_mov_b32 s73, s63
	s_mov_b32 s72, exec_lo
                                        ; implicit-def: $vgpr14
	v_cmpx_lt_i16_e32 22, v7
	s_xor_b32 s72, exec_lo, s72
	s_cbranch_execz .LBB14_1398
; %bb.1385:                             ;   in Loop: Header=BB14_17 Depth=1
	s_mov_b32 s73, exec_lo
                                        ; implicit-def: $vgpr14
	v_cmpx_lt_i16_e32 23, v7
	s_xor_b32 s73, exec_lo, s73
	s_cbranch_execz .LBB14_1395
; %bb.1386:                             ;   in Loop: Header=BB14_17 Depth=1
	;; [unrolled: 6-line block ×3, first 2 shown]
	flat_load_u8 v16, v[16:17]
	s_mov_b32 s75, 0
	s_mov_b32 s76, exec_lo
	s_wait_loadcnt_dscnt 0x0
	v_cmpx_lt_i16_e32 0x7f, v16
	s_xor_b32 s76, exec_lo, s76
	s_cbranch_execnz .LBB14_3586
; %bb.1388:                             ;   in Loop: Header=BB14_17 Depth=1
	s_or_saveexec_b32 s76, s76
	v_mov_b32_e32 v14, 0x7f800001
	s_xor_b32 exec_lo, exec_lo, s76
	s_cbranch_execnz .LBB14_3589
.LBB14_1389:                            ;   in Loop: Header=BB14_17 Depth=1
	s_or_b32 exec_lo, exec_lo, s76
	s_and_saveexec_b32 s76, s75
	s_cbranch_execz .LBB14_1391
.LBB14_1390:                            ;   in Loop: Header=BB14_17 Depth=1
	v_and_b32_e32 v14, 0xffff, v16
	s_delay_alu instid0(VALU_DEP_1) | instskip(SKIP_1) | instid1(VALU_DEP_2)
	v_and_b32_e32 v17, 3, v14
	v_bfe_u32 v22, v14, 2, 5
	v_clz_i32_u32_e32 v20, v17
	s_delay_alu instid0(VALU_DEP_2) | instskip(NEXT) | instid1(VALU_DEP_2)
	v_cmp_eq_u32_e32 vcc_lo, 0, v22
	v_min_u32_e32 v20, 32, v20
	s_delay_alu instid0(VALU_DEP_1) | instskip(NEXT) | instid1(VALU_DEP_1)
	v_subrev_nc_u32_e32 v21, 29, v20
	v_dual_lshlrev_b32 v14, v21, v14 :: v_dual_sub_nc_u32 v20, 30, v20
	s_delay_alu instid0(VALU_DEP_1) | instskip(NEXT) | instid1(VALU_DEP_1)
	v_dual_lshlrev_b32 v16, 24, v16 :: v_dual_bitop2_b32 v14, 3, v14 bitop3:0x40
	v_dual_cndmask_b32 v14, v17, v14, vcc_lo :: v_dual_cndmask_b32 v20, v22, v20, vcc_lo
	s_delay_alu instid0(VALU_DEP_2) | instskip(NEXT) | instid1(VALU_DEP_2)
	v_and_b32_e32 v16, 0x80000000, v16
	v_lshlrev_b32_e32 v14, 21, v14
	s_delay_alu instid0(VALU_DEP_3) | instskip(NEXT) | instid1(VALU_DEP_1)
	v_lshl_add_u32 v17, v20, 23, 0x37800000
	v_or3_b32 v14, v16, v17, v14
.LBB14_1391:                            ;   in Loop: Header=BB14_17 Depth=1
	s_or_b32 exec_lo, exec_lo, s76
                                        ; implicit-def: $vgpr16_vgpr17
.LBB14_1392:                            ;   in Loop: Header=BB14_17 Depth=1
	s_and_not1_saveexec_b32 s74, s74
	s_cbranch_execz .LBB14_1394
; %bb.1393:                             ;   in Loop: Header=BB14_17 Depth=1
	flat_load_u8 v14, v[16:17]
	s_wait_loadcnt_dscnt 0x0
	v_lshlrev_b32_e32 v14, 24, v14
	s_wait_xcnt 0x0
	s_delay_alu instid0(VALU_DEP_1) | instskip(NEXT) | instid1(VALU_DEP_1)
	v_and_b32_e32 v16, 0x7f000000, v14
	v_clz_i32_u32_e32 v17, v16
	v_cmp_ne_u32_e32 vcc_lo, 0, v16
	v_add_nc_u32_e32 v21, 0x1000000, v16
	s_delay_alu instid0(VALU_DEP_3) | instskip(NEXT) | instid1(VALU_DEP_1)
	v_min_u32_e32 v17, 32, v17
	v_sub_nc_u32_e64 v17, v17, 4 clamp
	s_delay_alu instid0(VALU_DEP_1) | instskip(NEXT) | instid1(VALU_DEP_1)
	v_dual_lshlrev_b32 v20, v17, v16 :: v_dual_lshlrev_b32 v17, 23, v17
	v_lshrrev_b32_e32 v20, 4, v20
	s_delay_alu instid0(VALU_DEP_1) | instskip(SKIP_1) | instid1(VALU_DEP_2)
	v_sub_nc_u32_e32 v17, v20, v17
	v_ashrrev_i32_e32 v20, 8, v21
	v_add_nc_u32_e32 v17, 0x3c000000, v17
	s_delay_alu instid0(VALU_DEP_1) | instskip(NEXT) | instid1(VALU_DEP_1)
	v_and_or_b32 v17, 0x7f800000, v20, v17
	v_cndmask_b32_e32 v16, 0, v17, vcc_lo
	s_delay_alu instid0(VALU_DEP_1)
	v_and_or_b32 v14, 0x80000000, v14, v16
.LBB14_1394:                            ;   in Loop: Header=BB14_17 Depth=1
	s_or_b32 exec_lo, exec_lo, s74
                                        ; implicit-def: $vgpr16_vgpr17
.LBB14_1395:                            ;   in Loop: Header=BB14_17 Depth=1
	s_and_not1_saveexec_b32 s73, s73
	s_cbranch_execz .LBB14_1397
; %bb.1396:                             ;   in Loop: Header=BB14_17 Depth=1
	flat_load_u8 v14, v[16:17]
	s_wait_loadcnt_dscnt 0x0
	v_lshlrev_b32_e32 v16, 25, v14
	v_lshlrev_b16 v14, 8, v14
	s_delay_alu instid0(VALU_DEP_1) | instskip(SKIP_1) | instid1(VALU_DEP_2)
	v_and_or_b32 v20, 0x7f00, v14, 0.5
	v_bfe_i32 v14, v14, 0, 16
	v_add_f32_e32 v20, -0.5, v20
	v_lshrrev_b32_e32 v17, 4, v16
	v_cmp_gt_u32_e32 vcc_lo, 0x8000000, v16
	s_delay_alu instid0(VALU_DEP_2) | instskip(NEXT) | instid1(VALU_DEP_1)
	v_or_b32_e32 v17, 0x70000000, v17
	v_mul_f32_e32 v17, 0x7800000, v17
	s_delay_alu instid0(VALU_DEP_1) | instskip(NEXT) | instid1(VALU_DEP_1)
	v_cndmask_b32_e32 v16, v17, v20, vcc_lo
	v_and_or_b32 v14, 0x80000000, v14, v16
.LBB14_1397:                            ;   in Loop: Header=BB14_17 Depth=1
	s_or_b32 exec_lo, exec_lo, s73
	s_delay_alu instid0(SALU_CYCLE_1)
	s_or_b32 s73, s63, exec_lo
                                        ; implicit-def: $vgpr16_vgpr17
.LBB14_1398:                            ;   in Loop: Header=BB14_17 Depth=1
	s_and_not1_saveexec_b32 s72, s72
	s_cbranch_execz .LBB14_1408
; %bb.1399:                             ;   in Loop: Header=BB14_17 Depth=1
	s_mov_b32 s74, s73
	s_mov_b32 s75, exec_lo
                                        ; implicit-def: $vgpr14
	v_cmpx_lt_i16_e32 14, v7
	s_xor_b32 s75, exec_lo, s75
	s_cbranch_execz .LBB14_1403
; %bb.1400:                             ;   in Loop: Header=BB14_17 Depth=1
	s_mov_b32 s74, s73
	s_mov_b32 s76, exec_lo
                                        ; implicit-def: $vgpr14
	v_cmpx_eq_u16_e32 15, v7
	s_cbranch_execz .LBB14_1402
; %bb.1401:                             ;   in Loop: Header=BB14_17 Depth=1
	flat_load_u16 v14, v[16:17]
	s_or_b32 s74, s73, exec_lo
	s_wait_loadcnt_dscnt 0x0
	v_lshlrev_b32_e32 v14, 16, v14
.LBB14_1402:                            ;   in Loop: Header=BB14_17 Depth=1
	s_wait_xcnt 0x0
	s_or_b32 exec_lo, exec_lo, s76
	s_delay_alu instid0(SALU_CYCLE_1) | instskip(SKIP_1) | instid1(SALU_CYCLE_1)
	s_and_not1_b32 s76, s73, exec_lo
	s_and_b32 s74, s74, exec_lo
                                        ; implicit-def: $vgpr16_vgpr17
	s_or_b32 s74, s76, s74
.LBB14_1403:                            ;   in Loop: Header=BB14_17 Depth=1
	s_and_not1_saveexec_b32 s75, s75
	s_cbranch_execz .LBB14_1407
; %bb.1404:                             ;   in Loop: Header=BB14_17 Depth=1
	s_mov_b32 s76, s74
	s_mov_b32 s77, exec_lo
                                        ; implicit-def: $vgpr14
	v_cmpx_eq_u16_e32 11, v7
	s_cbranch_execz .LBB14_1406
; %bb.1405:                             ;   in Loop: Header=BB14_17 Depth=1
	flat_load_u8 v14, v[16:17]
	s_or_b32 s76, s74, exec_lo
	s_wait_loadcnt_dscnt 0x0
	v_cmp_ne_u16_e32 vcc_lo, 0, v14
	v_cndmask_b32_e64 v14, 0, 1.0, vcc_lo
.LBB14_1406:                            ;   in Loop: Header=BB14_17 Depth=1
	s_wait_xcnt 0x0
	s_or_b32 exec_lo, exec_lo, s77
	s_delay_alu instid0(SALU_CYCLE_1) | instskip(SKIP_1) | instid1(SALU_CYCLE_1)
	s_and_not1_b32 s74, s74, exec_lo
	s_and_b32 s76, s76, exec_lo
	s_or_b32 s74, s74, s76
.LBB14_1407:                            ;   in Loop: Header=BB14_17 Depth=1
	s_or_b32 exec_lo, exec_lo, s75
	s_delay_alu instid0(SALU_CYCLE_1) | instskip(SKIP_1) | instid1(SALU_CYCLE_1)
	s_and_not1_b32 s73, s73, exec_lo
	s_and_b32 s74, s74, exec_lo
	s_or_b32 s73, s73, s74
.LBB14_1408:                            ;   in Loop: Header=BB14_17 Depth=1
	s_or_b32 exec_lo, exec_lo, s72
	s_delay_alu instid0(SALU_CYCLE_1) | instskip(SKIP_1) | instid1(SALU_CYCLE_1)
	s_and_not1_b32 s63, s63, exec_lo
	s_and_b32 s72, s73, exec_lo
	s_or_b32 s63, s63, s72
.LBB14_1409:                            ;   in Loop: Header=BB14_17 Depth=1
	s_or_b32 exec_lo, exec_lo, s60
	s_delay_alu instid0(SALU_CYCLE_1)
	s_and_b32 s72, s63, exec_lo
                                        ; implicit-def: $vgpr16_vgpr17
.LBB14_1410:                            ;   in Loop: Header=BB14_17 Depth=1
	s_and_not1_saveexec_b32 s59, s59
	s_cbranch_execz .LBB14_1452
; %bb.1411:                             ;   in Loop: Header=BB14_17 Depth=1
	s_mov_b32 s60, exec_lo
                                        ; implicit-def: $vgpr14
	v_cmpx_lt_i16_e32 4, v7
	s_xor_b32 s60, exec_lo, s60
	s_cbranch_execz .LBB14_1433
; %bb.1412:                             ;   in Loop: Header=BB14_17 Depth=1
	s_mov_b32 s63, exec_lo
                                        ; implicit-def: $vgpr14
	v_cmpx_lt_i16_e32 7, v7
	s_xor_b32 s63, exec_lo, s63
	s_cbranch_execz .LBB14_1422
; %bb.1413:                             ;   in Loop: Header=BB14_17 Depth=1
	s_mov_b32 s73, exec_lo
                                        ; implicit-def: $vgpr14
	v_cmpx_lt_i16_e32 8, v7
	s_xor_b32 s73, exec_lo, s73
	s_cbranch_execz .LBB14_1419
; %bb.1414:                             ;   in Loop: Header=BB14_17 Depth=1
	s_mov_b32 s74, exec_lo
                                        ; implicit-def: $vgpr14
	v_cmpx_lt_i16_e32 9, v7
	s_xor_b32 s74, exec_lo, s74
	s_cbranch_execz .LBB14_1416
; %bb.1415:                             ;   in Loop: Header=BB14_17 Depth=1
	flat_load_b64 v[16:17], v[16:17]
	s_wait_loadcnt_dscnt 0x0
	v_cvt_f32_f64_e32 v14, v[16:17]
                                        ; implicit-def: $vgpr16_vgpr17
.LBB14_1416:                            ;   in Loop: Header=BB14_17 Depth=1
	s_wait_xcnt 0x0
	s_and_not1_saveexec_b32 s74, s74
	s_cbranch_execz .LBB14_1418
; %bb.1417:                             ;   in Loop: Header=BB14_17 Depth=1
	flat_load_b32 v14, v[16:17]
.LBB14_1418:                            ;   in Loop: Header=BB14_17 Depth=1
	s_wait_xcnt 0x0
	s_or_b32 exec_lo, exec_lo, s74
                                        ; implicit-def: $vgpr16_vgpr17
.LBB14_1419:                            ;   in Loop: Header=BB14_17 Depth=1
	s_and_not1_saveexec_b32 s73, s73
	s_cbranch_execz .LBB14_1421
; %bb.1420:                             ;   in Loop: Header=BB14_17 Depth=1
	s_wait_loadcnt_dscnt 0x0
	flat_load_b32 v14, v[16:17]
	s_wait_loadcnt_dscnt 0x0
	v_cvt_f32_f16_e32 v14, v14
.LBB14_1421:                            ;   in Loop: Header=BB14_17 Depth=1
	s_wait_xcnt 0x0
	s_or_b32 exec_lo, exec_lo, s73
                                        ; implicit-def: $vgpr16_vgpr17
.LBB14_1422:                            ;   in Loop: Header=BB14_17 Depth=1
	s_and_not1_saveexec_b32 s63, s63
	s_cbranch_execz .LBB14_1432
; %bb.1423:                             ;   in Loop: Header=BB14_17 Depth=1
	s_mov_b32 s73, exec_lo
                                        ; implicit-def: $vgpr14
	v_cmpx_lt_i16_e32 5, v7
	s_xor_b32 s73, exec_lo, s73
	s_cbranch_execz .LBB14_1429
; %bb.1424:                             ;   in Loop: Header=BB14_17 Depth=1
	s_mov_b32 s74, exec_lo
                                        ; implicit-def: $vgpr14
	v_cmpx_lt_i16_e32 6, v7
	s_xor_b32 s74, exec_lo, s74
	s_cbranch_execz .LBB14_1426
; %bb.1425:                             ;   in Loop: Header=BB14_17 Depth=1
	flat_load_b64 v[16:17], v[16:17]
	s_wait_loadcnt_dscnt 0x0
	v_cvt_f32_f64_e32 v14, v[16:17]
                                        ; implicit-def: $vgpr16_vgpr17
.LBB14_1426:                            ;   in Loop: Header=BB14_17 Depth=1
	s_wait_xcnt 0x0
	s_and_not1_saveexec_b32 s74, s74
	s_cbranch_execz .LBB14_1428
; %bb.1427:                             ;   in Loop: Header=BB14_17 Depth=1
	s_wait_loadcnt_dscnt 0x0
	flat_load_b32 v14, v[16:17]
.LBB14_1428:                            ;   in Loop: Header=BB14_17 Depth=1
	s_wait_xcnt 0x0
	s_or_b32 exec_lo, exec_lo, s74
                                        ; implicit-def: $vgpr16_vgpr17
.LBB14_1429:                            ;   in Loop: Header=BB14_17 Depth=1
	s_and_not1_saveexec_b32 s73, s73
	s_cbranch_execz .LBB14_1431
; %bb.1430:                             ;   in Loop: Header=BB14_17 Depth=1
	s_wait_loadcnt_dscnt 0x0
	flat_load_u16 v14, v[16:17]
	s_wait_loadcnt_dscnt 0x0
	v_cvt_f32_f16_e32 v14, v14
.LBB14_1431:                            ;   in Loop: Header=BB14_17 Depth=1
	s_wait_xcnt 0x0
	s_or_b32 exec_lo, exec_lo, s73
.LBB14_1432:                            ;   in Loop: Header=BB14_17 Depth=1
	s_delay_alu instid0(SALU_CYCLE_1)
	s_or_b32 exec_lo, exec_lo, s63
                                        ; implicit-def: $vgpr16_vgpr17
.LBB14_1433:                            ;   in Loop: Header=BB14_17 Depth=1
	s_and_not1_saveexec_b32 s60, s60
	s_cbranch_execz .LBB14_1451
; %bb.1434:                             ;   in Loop: Header=BB14_17 Depth=1
	s_mov_b32 s63, exec_lo
                                        ; implicit-def: $vgpr14
	v_cmpx_lt_i16_e32 1, v7
	s_xor_b32 s63, exec_lo, s63
	s_cbranch_execz .LBB14_1444
; %bb.1435:                             ;   in Loop: Header=BB14_17 Depth=1
	s_mov_b32 s73, exec_lo
                                        ; implicit-def: $vgpr14
	v_cmpx_lt_i16_e32 2, v7
	s_xor_b32 s73, exec_lo, s73
	s_cbranch_execz .LBB14_1441
; %bb.1436:                             ;   in Loop: Header=BB14_17 Depth=1
	s_mov_b32 s74, exec_lo
                                        ; implicit-def: $vgpr14
	v_cmpx_lt_i16_e32 3, v7
	s_xor_b32 s74, exec_lo, s74
	s_cbranch_execz .LBB14_1438
; %bb.1437:                             ;   in Loop: Header=BB14_17 Depth=1
	flat_load_b64 v[16:17], v[16:17]
	s_wait_loadcnt_dscnt 0x0
	v_xor_b32_e32 v14, v16, v17
	v_cls_i32_e32 v20, v17
	s_delay_alu instid0(VALU_DEP_2) | instskip(NEXT) | instid1(VALU_DEP_1)
	v_ashrrev_i32_e32 v14, 31, v14
	v_add_nc_u32_e32 v14, 32, v14
	s_delay_alu instid0(VALU_DEP_1) | instskip(SKIP_1) | instid1(VALU_DEP_1)
	v_add_min_u32_e64 v14, v20, -1, v14
	s_wait_xcnt 0x0
	v_lshlrev_b64_e32 v[16:17], v14, v[16:17]
	v_sub_nc_u32_e32 v14, 32, v14
	s_delay_alu instid0(VALU_DEP_2) | instskip(NEXT) | instid1(VALU_DEP_1)
	v_min_u32_e32 v16, 1, v16
	v_or_b32_e32 v16, v17, v16
	s_delay_alu instid0(VALU_DEP_1) | instskip(NEXT) | instid1(VALU_DEP_1)
	v_cvt_f32_i32_e32 v16, v16
	v_ldexp_f32 v14, v16, v14
                                        ; implicit-def: $vgpr16_vgpr17
.LBB14_1438:                            ;   in Loop: Header=BB14_17 Depth=1
	s_and_not1_saveexec_b32 s74, s74
	s_cbranch_execz .LBB14_1440
; %bb.1439:                             ;   in Loop: Header=BB14_17 Depth=1
	s_wait_loadcnt_dscnt 0x0
	flat_load_b32 v14, v[16:17]
	s_wait_loadcnt_dscnt 0x0
	v_cvt_f32_i32_e32 v14, v14
.LBB14_1440:                            ;   in Loop: Header=BB14_17 Depth=1
	s_wait_xcnt 0x0
	s_or_b32 exec_lo, exec_lo, s74
                                        ; implicit-def: $vgpr16_vgpr17
.LBB14_1441:                            ;   in Loop: Header=BB14_17 Depth=1
	s_and_not1_saveexec_b32 s73, s73
	s_cbranch_execz .LBB14_1443
; %bb.1442:                             ;   in Loop: Header=BB14_17 Depth=1
	s_wait_loadcnt_dscnt 0x0
	flat_load_i16 v14, v[16:17]
	s_wait_loadcnt_dscnt 0x0
	v_cvt_f32_i32_e32 v14, v14
.LBB14_1443:                            ;   in Loop: Header=BB14_17 Depth=1
	s_wait_xcnt 0x0
	s_or_b32 exec_lo, exec_lo, s73
                                        ; implicit-def: $vgpr16_vgpr17
.LBB14_1444:                            ;   in Loop: Header=BB14_17 Depth=1
	s_and_not1_saveexec_b32 s63, s63
	s_cbranch_execz .LBB14_1450
; %bb.1445:                             ;   in Loop: Header=BB14_17 Depth=1
	s_mov_b32 s73, exec_lo
                                        ; implicit-def: $vgpr14
	v_cmpx_lt_i16_e32 0, v7
	s_xor_b32 s73, exec_lo, s73
	s_cbranch_execz .LBB14_1447
; %bb.1446:                             ;   in Loop: Header=BB14_17 Depth=1
	s_wait_loadcnt_dscnt 0x0
	flat_load_i8 v14, v[16:17]
                                        ; implicit-def: $vgpr16_vgpr17
	s_wait_loadcnt_dscnt 0x0
	v_cvt_f32_i32_e32 v14, v14
.LBB14_1447:                            ;   in Loop: Header=BB14_17 Depth=1
	s_wait_xcnt 0x0
	s_and_not1_saveexec_b32 s73, s73
	s_cbranch_execz .LBB14_1449
; %bb.1448:                             ;   in Loop: Header=BB14_17 Depth=1
	s_wait_loadcnt_dscnt 0x0
	flat_load_u8 v14, v[16:17]
	s_wait_loadcnt_dscnt 0x0
	v_cvt_f32_ubyte0_e32 v14, v14
.LBB14_1449:                            ;   in Loop: Header=BB14_17 Depth=1
	s_wait_xcnt 0x0
	s_or_b32 exec_lo, exec_lo, s73
.LBB14_1450:                            ;   in Loop: Header=BB14_17 Depth=1
	s_delay_alu instid0(SALU_CYCLE_1)
	s_or_b32 exec_lo, exec_lo, s63
.LBB14_1451:                            ;   in Loop: Header=BB14_17 Depth=1
	s_delay_alu instid0(SALU_CYCLE_1) | instskip(NEXT) | instid1(SALU_CYCLE_1)
	s_or_b32 exec_lo, exec_lo, s60
	s_or_b32 s72, s72, exec_lo
.LBB14_1452:                            ;   in Loop: Header=BB14_17 Depth=1
	s_or_b32 exec_lo, exec_lo, s59
	s_mov_b32 s59, -1
	s_mov_b32 s73, 0
	s_mov_b32 s60, 0
	s_and_saveexec_b32 s63, s72
	s_cbranch_execz .LBB14_1458
; %bb.1453:                             ;   in Loop: Header=BB14_17 Depth=1
	s_add_co_i32 s59, s32, s1
	s_mov_b32 s72, 0
	s_wait_loadcnt_dscnt 0x0
	scratch_store_b32 off, v14, s59 offset:100
	s_wait_xcnt 0x0
	v_mul_lo_u32 v14, v19, v10
	v_and_b32_e32 v19, 0xff, v8
	s_mov_b32 s60, exec_lo
	s_delay_alu instid0(VALU_DEP_2) | instskip(NEXT) | instid1(VALU_DEP_2)
	v_add_nc_u64_e32 v[16:17], v[4:5], v[14:15]
                                        ; implicit-def: $vgpr14
	v_cmpx_lt_i16_e32 10, v19
	s_xor_b32 s60, exec_lo, s60
	s_cbranch_execnz .LBB14_3130
; %bb.1454:                             ;   in Loop: Header=BB14_17 Depth=1
	s_and_not1_saveexec_b32 s60, s60
	s_cbranch_execnz .LBB14_3189
.LBB14_1455:                            ;   in Loop: Header=BB14_17 Depth=1
	s_or_b32 exec_lo, exec_lo, s60
	s_mov_b32 s73, 0
	s_and_saveexec_b32 s60, s72
	s_cbranch_execz .LBB14_1457
.LBB14_1456:                            ;   in Loop: Header=BB14_17 Depth=1
	v_add_nc_u32_e32 v18, 0x200, v18
	s_mov_b32 s73, exec_lo
	s_wait_loadcnt_dscnt 0x0
	scratch_store_b32 off, v14, s59 offset:96
.LBB14_1457:                            ;   in Loop: Header=BB14_17 Depth=1
	s_wait_xcnt 0x0
	s_or_b32 exec_lo, exec_lo, s60
	s_delay_alu instid0(SALU_CYCLE_1)
	s_mov_b32 s60, exec_lo
	s_xor_b32 s59, exec_lo, -1
	s_and_b32 s73, s73, exec_lo
.LBB14_1458:                            ;   in Loop: Header=BB14_17 Depth=1
	s_or_b32 exec_lo, exec_lo, s63
	s_delay_alu instid0(SALU_CYCLE_1)
	s_or_not1_b32 s63, s73, exec_lo
.LBB14_1459:                            ;   in Loop: Header=BB14_17 Depth=1
	s_or_b32 exec_lo, exec_lo, s61
	s_and_saveexec_b32 s61, s63
	s_cbranch_execz .LBB14_4
; %bb.1460:                             ;   in Loop: Header=BB14_17 Depth=1
	s_mov_b32 s73, -1
	s_mov_b32 s74, -1
	s_mov_b32 s72, exec_lo
                                        ; implicit-def: $sgpr62
                                        ; implicit-def: $sgpr63
	v_cmpx_lt_i32_e64 v18, v6
	s_cbranch_execz .LBB14_1570
; %bb.1461:                             ;   in Loop: Header=BB14_17 Depth=1
	v_add_nc_u32_e32 v19, s2, v18
	s_mov_b32 s75, 0
	s_mov_b32 s62, exec_lo
	s_wait_loadcnt_dscnt 0x0
	s_delay_alu instid0(VALU_DEP_1) | instskip(NEXT) | instid1(VALU_DEP_1)
	v_mul_lo_u32 v14, v19, v9
	v_add_nc_u64_e32 v[16:17], v[2:3], v[14:15]
                                        ; implicit-def: $vgpr14
	v_cmpx_lt_i16_e32 10, v7
	s_xor_b32 s62, exec_lo, s62
	s_cbranch_execz .LBB14_1521
; %bb.1462:                             ;   in Loop: Header=BB14_17 Depth=1
	s_mov_b32 s74, 0
	s_mov_b32 s63, exec_lo
                                        ; implicit-def: $vgpr14
	v_cmpx_lt_i16_e32 25, v7
	s_xor_b32 s63, exec_lo, s63
	s_cbranch_execz .LBB14_1494
; %bb.1463:                             ;   in Loop: Header=BB14_17 Depth=1
	s_mov_b32 s75, exec_lo
                                        ; implicit-def: $vgpr14
	v_cmpx_lt_i16_e32 28, v7
	s_xor_b32 s75, exec_lo, s75
	s_cbranch_execz .LBB14_1479
; %bb.1464:                             ;   in Loop: Header=BB14_17 Depth=1
	s_mov_b32 s76, 0
	s_mov_b32 s74, exec_lo
                                        ; implicit-def: $vgpr14
	v_cmpx_lt_i16_e32 43, v7
	s_xor_b32 s74, exec_lo, s74
	s_cbranch_execz .LBB14_1474
; %bb.1465:                             ;   in Loop: Header=BB14_17 Depth=1
	s_mov_b32 s77, exec_lo
                                        ; implicit-def: $vgpr14
	v_cmpx_lt_i16_e32 45, v7
	s_xor_b32 s77, exec_lo, s77
	s_cbranch_execz .LBB14_1469
; %bb.1466:                             ;   in Loop: Header=BB14_17 Depth=1
	s_mov_b32 s78, exec_lo
                                        ; implicit-def: $vgpr14
	v_cmpx_eq_u16_e32 46, v7
	s_cbranch_execz .LBB14_1468
; %bb.1467:                             ;   in Loop: Header=BB14_17 Depth=1
	flat_load_b32 v14, v[16:17]
	s_mov_b32 s76, exec_lo
	s_wait_loadcnt_dscnt 0x0
	v_lshlrev_b32_e32 v14, 16, v14
.LBB14_1468:                            ;   in Loop: Header=BB14_17 Depth=1
	s_wait_xcnt 0x0
	s_or_b32 exec_lo, exec_lo, s78
	s_delay_alu instid0(SALU_CYCLE_1)
	s_and_b32 s76, s76, exec_lo
                                        ; implicit-def: $vgpr16_vgpr17
.LBB14_1469:                            ;   in Loop: Header=BB14_17 Depth=1
	s_and_not1_saveexec_b32 s77, s77
	s_cbranch_execz .LBB14_1473
; %bb.1470:                             ;   in Loop: Header=BB14_17 Depth=1
	s_mov_b32 s79, s76
	s_mov_b32 s78, exec_lo
                                        ; implicit-def: $vgpr14
	v_cmpx_eq_u16_e32 44, v7
	s_cbranch_execz .LBB14_1472
; %bb.1471:                             ;   in Loop: Header=BB14_17 Depth=1
	flat_load_u8 v14, v[16:17]
	s_or_b32 s79, s76, exec_lo
	s_wait_loadcnt_dscnt 0x0
	v_lshlrev_b32_e32 v16, 23, v14
	v_cmp_ne_u32_e32 vcc_lo, 0xff, v14
	s_delay_alu instid0(VALU_DEP_2) | instskip(SKIP_1) | instid1(VALU_DEP_2)
	v_cndmask_b32_e32 v16, 0x7f800001, v16, vcc_lo
	v_cmp_ne_u32_e32 vcc_lo, 0, v14
	v_cndmask_b32_e32 v14, 0x400000, v16, vcc_lo
.LBB14_1472:                            ;   in Loop: Header=BB14_17 Depth=1
	s_or_b32 exec_lo, exec_lo, s78
	s_delay_alu instid0(SALU_CYCLE_1) | instskip(SKIP_1) | instid1(SALU_CYCLE_1)
	s_and_not1_b32 s76, s76, exec_lo
	s_and_b32 s78, s79, exec_lo
	s_or_b32 s76, s76, s78
.LBB14_1473:                            ;   in Loop: Header=BB14_17 Depth=1
	s_or_b32 exec_lo, exec_lo, s77
	s_delay_alu instid0(SALU_CYCLE_1)
	s_and_b32 s76, s76, exec_lo
                                        ; implicit-def: $vgpr16_vgpr17
.LBB14_1474:                            ;   in Loop: Header=BB14_17 Depth=1
	s_and_not1_saveexec_b32 s74, s74
	s_cbranch_execz .LBB14_1478
; %bb.1475:                             ;   in Loop: Header=BB14_17 Depth=1
	s_mov_b32 s78, s76
	s_mov_b32 s77, exec_lo
                                        ; implicit-def: $vgpr14
	v_cmpx_eq_u16_e32 29, v7
	s_cbranch_execz .LBB14_1477
; %bb.1476:                             ;   in Loop: Header=BB14_17 Depth=1
	flat_load_b64 v[16:17], v[16:17]
	s_or_b32 s78, s76, exec_lo
	s_wait_loadcnt_dscnt 0x0
	v_clz_i32_u32_e32 v14, v17
	s_delay_alu instid0(VALU_DEP_1) | instskip(SKIP_1) | instid1(VALU_DEP_1)
	v_min_u32_e32 v14, 32, v14
	s_wait_xcnt 0x0
	v_lshlrev_b64_e32 v[16:17], v14, v[16:17]
	v_sub_nc_u32_e32 v14, 32, v14
	s_delay_alu instid0(VALU_DEP_2) | instskip(NEXT) | instid1(VALU_DEP_1)
	v_min_u32_e32 v16, 1, v16
	v_or_b32_e32 v16, v17, v16
	s_delay_alu instid0(VALU_DEP_1) | instskip(NEXT) | instid1(VALU_DEP_1)
	v_cvt_f32_u32_e32 v16, v16
	v_ldexp_f32 v14, v16, v14
.LBB14_1477:                            ;   in Loop: Header=BB14_17 Depth=1
	s_or_b32 exec_lo, exec_lo, s77
	s_delay_alu instid0(SALU_CYCLE_1) | instskip(SKIP_1) | instid1(SALU_CYCLE_1)
	s_and_not1_b32 s76, s76, exec_lo
	s_and_b32 s77, s78, exec_lo
	s_or_b32 s76, s76, s77
.LBB14_1478:                            ;   in Loop: Header=BB14_17 Depth=1
	s_or_b32 exec_lo, exec_lo, s74
	s_delay_alu instid0(SALU_CYCLE_1)
	s_and_b32 s74, s76, exec_lo
                                        ; implicit-def: $vgpr16_vgpr17
.LBB14_1479:                            ;   in Loop: Header=BB14_17 Depth=1
	s_and_not1_saveexec_b32 s75, s75
	s_cbranch_execz .LBB14_1493
; %bb.1480:                             ;   in Loop: Header=BB14_17 Depth=1
	s_mov_b32 s76, exec_lo
                                        ; implicit-def: $vgpr14
	v_cmpx_lt_i16_e32 26, v7
	s_xor_b32 s76, exec_lo, s76
	s_cbranch_execz .LBB14_1486
; %bb.1481:                             ;   in Loop: Header=BB14_17 Depth=1
	s_mov_b32 s77, exec_lo
                                        ; implicit-def: $vgpr14
	v_cmpx_lt_i16_e32 27, v7
	s_xor_b32 s77, exec_lo, s77
	s_cbranch_execz .LBB14_1483
; %bb.1482:                             ;   in Loop: Header=BB14_17 Depth=1
	flat_load_b32 v14, v[16:17]
                                        ; implicit-def: $vgpr16_vgpr17
	s_wait_loadcnt_dscnt 0x0
	v_cvt_f32_u32_e32 v14, v14
.LBB14_1483:                            ;   in Loop: Header=BB14_17 Depth=1
	s_wait_xcnt 0x0
	s_and_not1_saveexec_b32 s77, s77
	s_cbranch_execz .LBB14_1485
; %bb.1484:                             ;   in Loop: Header=BB14_17 Depth=1
	flat_load_u16 v14, v[16:17]
	s_wait_loadcnt_dscnt 0x0
	v_cvt_f32_u32_e32 v14, v14
.LBB14_1485:                            ;   in Loop: Header=BB14_17 Depth=1
	s_wait_xcnt 0x0
	s_or_b32 exec_lo, exec_lo, s77
                                        ; implicit-def: $vgpr16_vgpr17
.LBB14_1486:                            ;   in Loop: Header=BB14_17 Depth=1
	s_and_not1_saveexec_b32 s76, s76
	s_cbranch_execz .LBB14_1492
; %bb.1487:                             ;   in Loop: Header=BB14_17 Depth=1
	flat_load_u8 v16, v[16:17]
	s_mov_b32 s77, 0
	s_mov_b32 s78, exec_lo
	s_wait_loadcnt_dscnt 0x0
	v_cmpx_lt_i16_e32 0x7f, v16
	s_xor_b32 s78, exec_lo, s78
	s_cbranch_execnz .LBB14_3590
; %bb.1488:                             ;   in Loop: Header=BB14_17 Depth=1
	s_or_saveexec_b32 s78, s78
	v_mov_b32_e32 v14, 0x7f800001
	s_xor_b32 exec_lo, exec_lo, s78
	s_cbranch_execnz .LBB14_3593
.LBB14_1489:                            ;   in Loop: Header=BB14_17 Depth=1
	s_or_b32 exec_lo, exec_lo, s78
	s_and_saveexec_b32 s78, s77
	s_cbranch_execz .LBB14_1491
.LBB14_1490:                            ;   in Loop: Header=BB14_17 Depth=1
	v_and_b32_e32 v14, 0xffff, v16
	s_delay_alu instid0(VALU_DEP_1) | instskip(SKIP_1) | instid1(VALU_DEP_2)
	v_and_b32_e32 v17, 7, v14
	v_bfe_u32 v22, v14, 3, 4
	v_clz_i32_u32_e32 v20, v17
	s_delay_alu instid0(VALU_DEP_2) | instskip(NEXT) | instid1(VALU_DEP_2)
	v_cmp_eq_u32_e32 vcc_lo, 0, v22
	v_min_u32_e32 v20, 32, v20
	s_delay_alu instid0(VALU_DEP_1) | instskip(NEXT) | instid1(VALU_DEP_1)
	v_subrev_nc_u32_e32 v21, 28, v20
	v_dual_lshlrev_b32 v14, v21, v14 :: v_dual_sub_nc_u32 v20, 29, v20
	s_delay_alu instid0(VALU_DEP_1) | instskip(NEXT) | instid1(VALU_DEP_1)
	v_dual_lshlrev_b32 v16, 24, v16 :: v_dual_bitop2_b32 v14, 7, v14 bitop3:0x40
	v_dual_cndmask_b32 v14, v17, v14, vcc_lo :: v_dual_cndmask_b32 v20, v22, v20, vcc_lo
	s_delay_alu instid0(VALU_DEP_2) | instskip(NEXT) | instid1(VALU_DEP_2)
	v_and_b32_e32 v16, 0x80000000, v16
	v_lshlrev_b32_e32 v14, 20, v14
	s_delay_alu instid0(VALU_DEP_3) | instskip(NEXT) | instid1(VALU_DEP_1)
	v_lshl_add_u32 v17, v20, 23, 0x3b800000
	v_or3_b32 v14, v16, v17, v14
.LBB14_1491:                            ;   in Loop: Header=BB14_17 Depth=1
	s_or_b32 exec_lo, exec_lo, s78
.LBB14_1492:                            ;   in Loop: Header=BB14_17 Depth=1
	s_delay_alu instid0(SALU_CYCLE_1) | instskip(NEXT) | instid1(SALU_CYCLE_1)
	s_or_b32 exec_lo, exec_lo, s76
	s_or_b32 s74, s74, exec_lo
.LBB14_1493:                            ;   in Loop: Header=BB14_17 Depth=1
	s_or_b32 exec_lo, exec_lo, s75
	s_delay_alu instid0(SALU_CYCLE_1)
	s_and_b32 s74, s74, exec_lo
                                        ; implicit-def: $vgpr16_vgpr17
.LBB14_1494:                            ;   in Loop: Header=BB14_17 Depth=1
	s_and_not1_saveexec_b32 s63, s63
	s_cbranch_execz .LBB14_1520
; %bb.1495:                             ;   in Loop: Header=BB14_17 Depth=1
	s_mov_b32 s76, s74
	s_mov_b32 s75, exec_lo
                                        ; implicit-def: $vgpr14
	v_cmpx_lt_i16_e32 22, v7
	s_xor_b32 s75, exec_lo, s75
	s_cbranch_execz .LBB14_1509
; %bb.1496:                             ;   in Loop: Header=BB14_17 Depth=1
	s_mov_b32 s76, exec_lo
                                        ; implicit-def: $vgpr14
	v_cmpx_lt_i16_e32 23, v7
	s_xor_b32 s76, exec_lo, s76
	s_cbranch_execz .LBB14_1506
; %bb.1497:                             ;   in Loop: Header=BB14_17 Depth=1
	;; [unrolled: 6-line block ×3, first 2 shown]
	flat_load_u8 v16, v[16:17]
	s_mov_b32 s78, 0
	s_mov_b32 s79, exec_lo
	s_wait_loadcnt_dscnt 0x0
	v_cmpx_lt_i16_e32 0x7f, v16
	s_xor_b32 s79, exec_lo, s79
	s_cbranch_execnz .LBB14_3602
; %bb.1499:                             ;   in Loop: Header=BB14_17 Depth=1
	s_or_saveexec_b32 s79, s79
	v_mov_b32_e32 v14, 0x7f800001
	s_xor_b32 exec_lo, exec_lo, s79
	s_cbranch_execnz .LBB14_3605
.LBB14_1500:                            ;   in Loop: Header=BB14_17 Depth=1
	s_or_b32 exec_lo, exec_lo, s79
	s_and_saveexec_b32 s79, s78
	s_cbranch_execz .LBB14_1502
.LBB14_1501:                            ;   in Loop: Header=BB14_17 Depth=1
	v_and_b32_e32 v14, 0xffff, v16
	s_delay_alu instid0(VALU_DEP_1) | instskip(SKIP_1) | instid1(VALU_DEP_2)
	v_and_b32_e32 v17, 3, v14
	v_bfe_u32 v22, v14, 2, 5
	v_clz_i32_u32_e32 v20, v17
	s_delay_alu instid0(VALU_DEP_2) | instskip(NEXT) | instid1(VALU_DEP_2)
	v_cmp_eq_u32_e32 vcc_lo, 0, v22
	v_min_u32_e32 v20, 32, v20
	s_delay_alu instid0(VALU_DEP_1) | instskip(NEXT) | instid1(VALU_DEP_1)
	v_subrev_nc_u32_e32 v21, 29, v20
	v_dual_lshlrev_b32 v14, v21, v14 :: v_dual_sub_nc_u32 v20, 30, v20
	s_delay_alu instid0(VALU_DEP_1) | instskip(NEXT) | instid1(VALU_DEP_1)
	v_dual_lshlrev_b32 v16, 24, v16 :: v_dual_bitop2_b32 v14, 3, v14 bitop3:0x40
	v_dual_cndmask_b32 v14, v17, v14, vcc_lo :: v_dual_cndmask_b32 v20, v22, v20, vcc_lo
	s_delay_alu instid0(VALU_DEP_2) | instskip(NEXT) | instid1(VALU_DEP_2)
	v_and_b32_e32 v16, 0x80000000, v16
	v_lshlrev_b32_e32 v14, 21, v14
	s_delay_alu instid0(VALU_DEP_3) | instskip(NEXT) | instid1(VALU_DEP_1)
	v_lshl_add_u32 v17, v20, 23, 0x37800000
	v_or3_b32 v14, v16, v17, v14
.LBB14_1502:                            ;   in Loop: Header=BB14_17 Depth=1
	s_or_b32 exec_lo, exec_lo, s79
                                        ; implicit-def: $vgpr16_vgpr17
.LBB14_1503:                            ;   in Loop: Header=BB14_17 Depth=1
	s_and_not1_saveexec_b32 s77, s77
	s_cbranch_execz .LBB14_1505
; %bb.1504:                             ;   in Loop: Header=BB14_17 Depth=1
	flat_load_u8 v14, v[16:17]
	s_wait_loadcnt_dscnt 0x0
	v_lshlrev_b32_e32 v14, 24, v14
	s_wait_xcnt 0x0
	s_delay_alu instid0(VALU_DEP_1) | instskip(NEXT) | instid1(VALU_DEP_1)
	v_and_b32_e32 v16, 0x7f000000, v14
	v_clz_i32_u32_e32 v17, v16
	v_cmp_ne_u32_e32 vcc_lo, 0, v16
	v_add_nc_u32_e32 v21, 0x1000000, v16
	s_delay_alu instid0(VALU_DEP_3) | instskip(NEXT) | instid1(VALU_DEP_1)
	v_min_u32_e32 v17, 32, v17
	v_sub_nc_u32_e64 v17, v17, 4 clamp
	s_delay_alu instid0(VALU_DEP_1) | instskip(NEXT) | instid1(VALU_DEP_1)
	v_dual_lshlrev_b32 v20, v17, v16 :: v_dual_lshlrev_b32 v17, 23, v17
	v_lshrrev_b32_e32 v20, 4, v20
	s_delay_alu instid0(VALU_DEP_1) | instskip(SKIP_1) | instid1(VALU_DEP_2)
	v_sub_nc_u32_e32 v17, v20, v17
	v_ashrrev_i32_e32 v20, 8, v21
	v_add_nc_u32_e32 v17, 0x3c000000, v17
	s_delay_alu instid0(VALU_DEP_1) | instskip(NEXT) | instid1(VALU_DEP_1)
	v_and_or_b32 v17, 0x7f800000, v20, v17
	v_cndmask_b32_e32 v16, 0, v17, vcc_lo
	s_delay_alu instid0(VALU_DEP_1)
	v_and_or_b32 v14, 0x80000000, v14, v16
.LBB14_1505:                            ;   in Loop: Header=BB14_17 Depth=1
	s_or_b32 exec_lo, exec_lo, s77
                                        ; implicit-def: $vgpr16_vgpr17
.LBB14_1506:                            ;   in Loop: Header=BB14_17 Depth=1
	s_and_not1_saveexec_b32 s76, s76
	s_cbranch_execz .LBB14_1508
; %bb.1507:                             ;   in Loop: Header=BB14_17 Depth=1
	flat_load_u8 v14, v[16:17]
	s_wait_loadcnt_dscnt 0x0
	v_lshlrev_b32_e32 v16, 25, v14
	v_lshlrev_b16 v14, 8, v14
	s_delay_alu instid0(VALU_DEP_1) | instskip(SKIP_1) | instid1(VALU_DEP_2)
	v_and_or_b32 v20, 0x7f00, v14, 0.5
	v_bfe_i32 v14, v14, 0, 16
	v_add_f32_e32 v20, -0.5, v20
	v_lshrrev_b32_e32 v17, 4, v16
	v_cmp_gt_u32_e32 vcc_lo, 0x8000000, v16
	s_delay_alu instid0(VALU_DEP_2) | instskip(NEXT) | instid1(VALU_DEP_1)
	v_or_b32_e32 v17, 0x70000000, v17
	v_mul_f32_e32 v17, 0x7800000, v17
	s_delay_alu instid0(VALU_DEP_1) | instskip(NEXT) | instid1(VALU_DEP_1)
	v_cndmask_b32_e32 v16, v17, v20, vcc_lo
	v_and_or_b32 v14, 0x80000000, v14, v16
.LBB14_1508:                            ;   in Loop: Header=BB14_17 Depth=1
	s_or_b32 exec_lo, exec_lo, s76
	s_delay_alu instid0(SALU_CYCLE_1)
	s_or_b32 s76, s74, exec_lo
                                        ; implicit-def: $vgpr16_vgpr17
.LBB14_1509:                            ;   in Loop: Header=BB14_17 Depth=1
	s_and_not1_saveexec_b32 s75, s75
	s_cbranch_execz .LBB14_1519
; %bb.1510:                             ;   in Loop: Header=BB14_17 Depth=1
	s_mov_b32 s77, s76
	s_mov_b32 s78, exec_lo
                                        ; implicit-def: $vgpr14
	v_cmpx_lt_i16_e32 14, v7
	s_xor_b32 s78, exec_lo, s78
	s_cbranch_execz .LBB14_1514
; %bb.1511:                             ;   in Loop: Header=BB14_17 Depth=1
	s_mov_b32 s77, s76
	s_mov_b32 s79, exec_lo
                                        ; implicit-def: $vgpr14
	v_cmpx_eq_u16_e32 15, v7
	s_cbranch_execz .LBB14_1513
; %bb.1512:                             ;   in Loop: Header=BB14_17 Depth=1
	flat_load_u16 v14, v[16:17]
	s_or_b32 s77, s76, exec_lo
	s_wait_loadcnt_dscnt 0x0
	v_lshlrev_b32_e32 v14, 16, v14
.LBB14_1513:                            ;   in Loop: Header=BB14_17 Depth=1
	s_wait_xcnt 0x0
	s_or_b32 exec_lo, exec_lo, s79
	s_delay_alu instid0(SALU_CYCLE_1) | instskip(SKIP_1) | instid1(SALU_CYCLE_1)
	s_and_not1_b32 s79, s76, exec_lo
	s_and_b32 s77, s77, exec_lo
                                        ; implicit-def: $vgpr16_vgpr17
	s_or_b32 s77, s79, s77
.LBB14_1514:                            ;   in Loop: Header=BB14_17 Depth=1
	s_and_not1_saveexec_b32 s78, s78
	s_cbranch_execz .LBB14_1518
; %bb.1515:                             ;   in Loop: Header=BB14_17 Depth=1
	s_mov_b32 s79, s77
	s_mov_b32 s88, exec_lo
                                        ; implicit-def: $vgpr14
	v_cmpx_eq_u16_e32 11, v7
	s_cbranch_execz .LBB14_1517
; %bb.1516:                             ;   in Loop: Header=BB14_17 Depth=1
	flat_load_u8 v14, v[16:17]
	s_or_b32 s79, s77, exec_lo
	s_wait_loadcnt_dscnt 0x0
	v_cmp_ne_u16_e32 vcc_lo, 0, v14
	v_cndmask_b32_e64 v14, 0, 1.0, vcc_lo
.LBB14_1517:                            ;   in Loop: Header=BB14_17 Depth=1
	s_wait_xcnt 0x0
	s_or_b32 exec_lo, exec_lo, s88
	s_delay_alu instid0(SALU_CYCLE_1) | instskip(SKIP_1) | instid1(SALU_CYCLE_1)
	s_and_not1_b32 s77, s77, exec_lo
	s_and_b32 s79, s79, exec_lo
	s_or_b32 s77, s77, s79
.LBB14_1518:                            ;   in Loop: Header=BB14_17 Depth=1
	s_or_b32 exec_lo, exec_lo, s78
	s_delay_alu instid0(SALU_CYCLE_1) | instskip(SKIP_1) | instid1(SALU_CYCLE_1)
	s_and_not1_b32 s76, s76, exec_lo
	s_and_b32 s77, s77, exec_lo
	s_or_b32 s76, s76, s77
.LBB14_1519:                            ;   in Loop: Header=BB14_17 Depth=1
	s_or_b32 exec_lo, exec_lo, s75
	s_delay_alu instid0(SALU_CYCLE_1) | instskip(SKIP_1) | instid1(SALU_CYCLE_1)
	s_and_not1_b32 s74, s74, exec_lo
	s_and_b32 s75, s76, exec_lo
	s_or_b32 s74, s74, s75
.LBB14_1520:                            ;   in Loop: Header=BB14_17 Depth=1
	s_or_b32 exec_lo, exec_lo, s63
	s_delay_alu instid0(SALU_CYCLE_1)
	s_and_b32 s75, s74, exec_lo
                                        ; implicit-def: $vgpr16_vgpr17
.LBB14_1521:                            ;   in Loop: Header=BB14_17 Depth=1
	s_and_not1_saveexec_b32 s62, s62
	s_cbranch_execz .LBB14_1563
; %bb.1522:                             ;   in Loop: Header=BB14_17 Depth=1
	s_mov_b32 s63, exec_lo
                                        ; implicit-def: $vgpr14
	v_cmpx_lt_i16_e32 4, v7
	s_xor_b32 s63, exec_lo, s63
	s_cbranch_execz .LBB14_1544
; %bb.1523:                             ;   in Loop: Header=BB14_17 Depth=1
	s_mov_b32 s74, exec_lo
                                        ; implicit-def: $vgpr14
	v_cmpx_lt_i16_e32 7, v7
	s_xor_b32 s74, exec_lo, s74
	;; [unrolled: 6-line block ×4, first 2 shown]
	s_cbranch_execz .LBB14_1527
; %bb.1526:                             ;   in Loop: Header=BB14_17 Depth=1
	flat_load_b64 v[16:17], v[16:17]
	s_wait_loadcnt_dscnt 0x0
	v_cvt_f32_f64_e32 v14, v[16:17]
                                        ; implicit-def: $vgpr16_vgpr17
.LBB14_1527:                            ;   in Loop: Header=BB14_17 Depth=1
	s_wait_xcnt 0x0
	s_and_not1_saveexec_b32 s77, s77
	s_cbranch_execz .LBB14_1529
; %bb.1528:                             ;   in Loop: Header=BB14_17 Depth=1
	flat_load_b32 v14, v[16:17]
.LBB14_1529:                            ;   in Loop: Header=BB14_17 Depth=1
	s_wait_xcnt 0x0
	s_or_b32 exec_lo, exec_lo, s77
                                        ; implicit-def: $vgpr16_vgpr17
.LBB14_1530:                            ;   in Loop: Header=BB14_17 Depth=1
	s_and_not1_saveexec_b32 s76, s76
	s_cbranch_execz .LBB14_1532
; %bb.1531:                             ;   in Loop: Header=BB14_17 Depth=1
	s_wait_loadcnt_dscnt 0x0
	flat_load_b32 v14, v[16:17]
	s_wait_loadcnt_dscnt 0x0
	v_cvt_f32_f16_e32 v14, v14
.LBB14_1532:                            ;   in Loop: Header=BB14_17 Depth=1
	s_wait_xcnt 0x0
	s_or_b32 exec_lo, exec_lo, s76
                                        ; implicit-def: $vgpr16_vgpr17
.LBB14_1533:                            ;   in Loop: Header=BB14_17 Depth=1
	s_and_not1_saveexec_b32 s74, s74
	s_cbranch_execz .LBB14_1543
; %bb.1534:                             ;   in Loop: Header=BB14_17 Depth=1
	s_mov_b32 s76, exec_lo
                                        ; implicit-def: $vgpr14
	v_cmpx_lt_i16_e32 5, v7
	s_xor_b32 s76, exec_lo, s76
	s_cbranch_execz .LBB14_1540
; %bb.1535:                             ;   in Loop: Header=BB14_17 Depth=1
	s_mov_b32 s77, exec_lo
                                        ; implicit-def: $vgpr14
	v_cmpx_lt_i16_e32 6, v7
	s_xor_b32 s77, exec_lo, s77
	s_cbranch_execz .LBB14_1537
; %bb.1536:                             ;   in Loop: Header=BB14_17 Depth=1
	flat_load_b64 v[16:17], v[16:17]
	s_wait_loadcnt_dscnt 0x0
	v_cvt_f32_f64_e32 v14, v[16:17]
                                        ; implicit-def: $vgpr16_vgpr17
.LBB14_1537:                            ;   in Loop: Header=BB14_17 Depth=1
	s_wait_xcnt 0x0
	s_and_not1_saveexec_b32 s77, s77
	s_cbranch_execz .LBB14_1539
; %bb.1538:                             ;   in Loop: Header=BB14_17 Depth=1
	s_wait_loadcnt_dscnt 0x0
	flat_load_b32 v14, v[16:17]
.LBB14_1539:                            ;   in Loop: Header=BB14_17 Depth=1
	s_wait_xcnt 0x0
	s_or_b32 exec_lo, exec_lo, s77
                                        ; implicit-def: $vgpr16_vgpr17
.LBB14_1540:                            ;   in Loop: Header=BB14_17 Depth=1
	s_and_not1_saveexec_b32 s76, s76
	s_cbranch_execz .LBB14_1542
; %bb.1541:                             ;   in Loop: Header=BB14_17 Depth=1
	s_wait_loadcnt_dscnt 0x0
	flat_load_u16 v14, v[16:17]
	s_wait_loadcnt_dscnt 0x0
	v_cvt_f32_f16_e32 v14, v14
.LBB14_1542:                            ;   in Loop: Header=BB14_17 Depth=1
	s_wait_xcnt 0x0
	s_or_b32 exec_lo, exec_lo, s76
.LBB14_1543:                            ;   in Loop: Header=BB14_17 Depth=1
	s_delay_alu instid0(SALU_CYCLE_1)
	s_or_b32 exec_lo, exec_lo, s74
                                        ; implicit-def: $vgpr16_vgpr17
.LBB14_1544:                            ;   in Loop: Header=BB14_17 Depth=1
	s_and_not1_saveexec_b32 s63, s63
	s_cbranch_execz .LBB14_1562
; %bb.1545:                             ;   in Loop: Header=BB14_17 Depth=1
	s_mov_b32 s74, exec_lo
                                        ; implicit-def: $vgpr14
	v_cmpx_lt_i16_e32 1, v7
	s_xor_b32 s74, exec_lo, s74
	s_cbranch_execz .LBB14_1555
; %bb.1546:                             ;   in Loop: Header=BB14_17 Depth=1
	s_mov_b32 s76, exec_lo
                                        ; implicit-def: $vgpr14
	v_cmpx_lt_i16_e32 2, v7
	s_xor_b32 s76, exec_lo, s76
	;; [unrolled: 6-line block ×3, first 2 shown]
	s_cbranch_execz .LBB14_1549
; %bb.1548:                             ;   in Loop: Header=BB14_17 Depth=1
	flat_load_b64 v[16:17], v[16:17]
	s_wait_loadcnt_dscnt 0x0
	v_xor_b32_e32 v14, v16, v17
	v_cls_i32_e32 v20, v17
	s_delay_alu instid0(VALU_DEP_2) | instskip(NEXT) | instid1(VALU_DEP_1)
	v_ashrrev_i32_e32 v14, 31, v14
	v_add_nc_u32_e32 v14, 32, v14
	s_delay_alu instid0(VALU_DEP_1) | instskip(SKIP_1) | instid1(VALU_DEP_1)
	v_add_min_u32_e64 v14, v20, -1, v14
	s_wait_xcnt 0x0
	v_lshlrev_b64_e32 v[16:17], v14, v[16:17]
	v_sub_nc_u32_e32 v14, 32, v14
	s_delay_alu instid0(VALU_DEP_2) | instskip(NEXT) | instid1(VALU_DEP_1)
	v_min_u32_e32 v16, 1, v16
	v_or_b32_e32 v16, v17, v16
	s_delay_alu instid0(VALU_DEP_1) | instskip(NEXT) | instid1(VALU_DEP_1)
	v_cvt_f32_i32_e32 v16, v16
	v_ldexp_f32 v14, v16, v14
                                        ; implicit-def: $vgpr16_vgpr17
.LBB14_1549:                            ;   in Loop: Header=BB14_17 Depth=1
	s_and_not1_saveexec_b32 s77, s77
	s_cbranch_execz .LBB14_1551
; %bb.1550:                             ;   in Loop: Header=BB14_17 Depth=1
	s_wait_loadcnt_dscnt 0x0
	flat_load_b32 v14, v[16:17]
	s_wait_loadcnt_dscnt 0x0
	v_cvt_f32_i32_e32 v14, v14
.LBB14_1551:                            ;   in Loop: Header=BB14_17 Depth=1
	s_wait_xcnt 0x0
	s_or_b32 exec_lo, exec_lo, s77
                                        ; implicit-def: $vgpr16_vgpr17
.LBB14_1552:                            ;   in Loop: Header=BB14_17 Depth=1
	s_and_not1_saveexec_b32 s76, s76
	s_cbranch_execz .LBB14_1554
; %bb.1553:                             ;   in Loop: Header=BB14_17 Depth=1
	s_wait_loadcnt_dscnt 0x0
	flat_load_i16 v14, v[16:17]
	s_wait_loadcnt_dscnt 0x0
	v_cvt_f32_i32_e32 v14, v14
.LBB14_1554:                            ;   in Loop: Header=BB14_17 Depth=1
	s_wait_xcnt 0x0
	s_or_b32 exec_lo, exec_lo, s76
                                        ; implicit-def: $vgpr16_vgpr17
.LBB14_1555:                            ;   in Loop: Header=BB14_17 Depth=1
	s_and_not1_saveexec_b32 s74, s74
	s_cbranch_execz .LBB14_1561
; %bb.1556:                             ;   in Loop: Header=BB14_17 Depth=1
	s_mov_b32 s76, exec_lo
                                        ; implicit-def: $vgpr14
	v_cmpx_lt_i16_e32 0, v7
	s_xor_b32 s76, exec_lo, s76
	s_cbranch_execz .LBB14_1558
; %bb.1557:                             ;   in Loop: Header=BB14_17 Depth=1
	s_wait_loadcnt_dscnt 0x0
	flat_load_i8 v14, v[16:17]
                                        ; implicit-def: $vgpr16_vgpr17
	s_wait_loadcnt_dscnt 0x0
	v_cvt_f32_i32_e32 v14, v14
.LBB14_1558:                            ;   in Loop: Header=BB14_17 Depth=1
	s_wait_xcnt 0x0
	s_and_not1_saveexec_b32 s76, s76
	s_cbranch_execz .LBB14_1560
; %bb.1559:                             ;   in Loop: Header=BB14_17 Depth=1
	s_wait_loadcnt_dscnt 0x0
	flat_load_u8 v14, v[16:17]
	s_wait_loadcnt_dscnt 0x0
	v_cvt_f32_ubyte0_e32 v14, v14
.LBB14_1560:                            ;   in Loop: Header=BB14_17 Depth=1
	s_wait_xcnt 0x0
	s_or_b32 exec_lo, exec_lo, s76
.LBB14_1561:                            ;   in Loop: Header=BB14_17 Depth=1
	s_delay_alu instid0(SALU_CYCLE_1)
	s_or_b32 exec_lo, exec_lo, s74
.LBB14_1562:                            ;   in Loop: Header=BB14_17 Depth=1
	s_delay_alu instid0(SALU_CYCLE_1) | instskip(NEXT) | instid1(SALU_CYCLE_1)
	s_or_b32 exec_lo, exec_lo, s63
	s_or_b32 s75, s75, exec_lo
.LBB14_1563:                            ;   in Loop: Header=BB14_17 Depth=1
	s_or_b32 exec_lo, exec_lo, s62
	s_mov_b32 s62, -1
	s_mov_b32 s76, 0
	s_mov_b32 s63, 0
	s_and_saveexec_b32 s74, s75
	s_cbranch_execz .LBB14_1569
; %bb.1564:                             ;   in Loop: Header=BB14_17 Depth=1
	s_add_co_i32 s62, s32, s1
	s_mov_b32 s75, 0
	s_wait_loadcnt_dscnt 0x0
	scratch_store_b32 off, v14, s62 offset:108
	s_wait_xcnt 0x0
	v_mul_lo_u32 v14, v19, v10
	v_and_b32_e32 v19, 0xff, v8
	s_mov_b32 s63, exec_lo
	s_delay_alu instid0(VALU_DEP_2) | instskip(NEXT) | instid1(VALU_DEP_2)
	v_add_nc_u64_e32 v[16:17], v[4:5], v[14:15]
                                        ; implicit-def: $vgpr14
	v_cmpx_lt_i16_e32 10, v19
	s_xor_b32 s63, exec_lo, s63
	s_cbranch_execnz .LBB14_3246
; %bb.1565:                             ;   in Loop: Header=BB14_17 Depth=1
	s_and_not1_saveexec_b32 s63, s63
	s_cbranch_execnz .LBB14_3305
.LBB14_1566:                            ;   in Loop: Header=BB14_17 Depth=1
	s_or_b32 exec_lo, exec_lo, s63
	s_mov_b32 s76, 0
	s_and_saveexec_b32 s63, s75
	s_cbranch_execz .LBB14_1568
.LBB14_1567:                            ;   in Loop: Header=BB14_17 Depth=1
	v_add_nc_u32_e32 v18, 0x200, v18
	s_mov_b32 s76, exec_lo
	s_wait_loadcnt_dscnt 0x0
	scratch_store_b32 off, v14, s62 offset:104
.LBB14_1568:                            ;   in Loop: Header=BB14_17 Depth=1
	s_wait_xcnt 0x0
	s_or_b32 exec_lo, exec_lo, s63
	s_delay_alu instid0(SALU_CYCLE_1)
	s_mov_b32 s63, exec_lo
	s_xor_b32 s62, exec_lo, -1
	s_and_b32 s76, s76, exec_lo
.LBB14_1569:                            ;   in Loop: Header=BB14_17 Depth=1
	s_or_b32 exec_lo, exec_lo, s74
	s_delay_alu instid0(SALU_CYCLE_1)
	s_or_not1_b32 s74, s76, exec_lo
.LBB14_1570:                            ;   in Loop: Header=BB14_17 Depth=1
	s_or_b32 exec_lo, exec_lo, s72
	s_and_saveexec_b32 s72, s74
	s_cbranch_execz .LBB14_3
; %bb.1571:                             ;   in Loop: Header=BB14_17 Depth=1
	s_mov_b32 s76, -1
	s_mov_b32 s77, -1
	s_mov_b32 s75, exec_lo
                                        ; implicit-def: $sgpr73
                                        ; implicit-def: $sgpr74
	v_cmpx_lt_i32_e64 v18, v6
	s_cbranch_execz .LBB14_1681
; %bb.1572:                             ;   in Loop: Header=BB14_17 Depth=1
	v_add_nc_u32_e32 v19, s2, v18
	s_mov_b32 s78, 0
	s_mov_b32 s73, exec_lo
	s_wait_loadcnt_dscnt 0x0
	s_delay_alu instid0(VALU_DEP_1) | instskip(NEXT) | instid1(VALU_DEP_1)
	v_mul_lo_u32 v14, v19, v9
	v_add_nc_u64_e32 v[16:17], v[2:3], v[14:15]
                                        ; implicit-def: $vgpr14
	v_cmpx_lt_i16_e32 10, v7
	s_xor_b32 s73, exec_lo, s73
	s_cbranch_execz .LBB14_1632
; %bb.1573:                             ;   in Loop: Header=BB14_17 Depth=1
	s_mov_b32 s77, 0
	s_mov_b32 s74, exec_lo
                                        ; implicit-def: $vgpr14
	v_cmpx_lt_i16_e32 25, v7
	s_xor_b32 s74, exec_lo, s74
	s_cbranch_execz .LBB14_1605
; %bb.1574:                             ;   in Loop: Header=BB14_17 Depth=1
	s_mov_b32 s78, exec_lo
                                        ; implicit-def: $vgpr14
	v_cmpx_lt_i16_e32 28, v7
	s_xor_b32 s78, exec_lo, s78
	s_cbranch_execz .LBB14_1590
; %bb.1575:                             ;   in Loop: Header=BB14_17 Depth=1
	s_mov_b32 s79, 0
	s_mov_b32 s77, exec_lo
                                        ; implicit-def: $vgpr14
	v_cmpx_lt_i16_e32 43, v7
	s_xor_b32 s77, exec_lo, s77
	s_cbranch_execz .LBB14_1585
; %bb.1576:                             ;   in Loop: Header=BB14_17 Depth=1
	s_mov_b32 s88, exec_lo
                                        ; implicit-def: $vgpr14
	v_cmpx_lt_i16_e32 45, v7
	s_xor_b32 s88, exec_lo, s88
	s_cbranch_execz .LBB14_1580
; %bb.1577:                             ;   in Loop: Header=BB14_17 Depth=1
	s_mov_b32 s89, exec_lo
                                        ; implicit-def: $vgpr14
	v_cmpx_eq_u16_e32 46, v7
	s_cbranch_execz .LBB14_1579
; %bb.1578:                             ;   in Loop: Header=BB14_17 Depth=1
	flat_load_b32 v14, v[16:17]
	s_mov_b32 s79, exec_lo
	s_wait_loadcnt_dscnt 0x0
	v_lshlrev_b32_e32 v14, 16, v14
.LBB14_1579:                            ;   in Loop: Header=BB14_17 Depth=1
	s_wait_xcnt 0x0
	s_or_b32 exec_lo, exec_lo, s89
	s_delay_alu instid0(SALU_CYCLE_1)
	s_and_b32 s79, s79, exec_lo
                                        ; implicit-def: $vgpr16_vgpr17
.LBB14_1580:                            ;   in Loop: Header=BB14_17 Depth=1
	s_and_not1_saveexec_b32 s88, s88
	s_cbranch_execz .LBB14_1584
; %bb.1581:                             ;   in Loop: Header=BB14_17 Depth=1
	s_mov_b32 s90, s79
	s_mov_b32 s89, exec_lo
                                        ; implicit-def: $vgpr14
	v_cmpx_eq_u16_e32 44, v7
	s_cbranch_execz .LBB14_1583
; %bb.1582:                             ;   in Loop: Header=BB14_17 Depth=1
	flat_load_u8 v14, v[16:17]
	s_or_b32 s90, s79, exec_lo
	s_wait_loadcnt_dscnt 0x0
	v_lshlrev_b32_e32 v16, 23, v14
	v_cmp_ne_u32_e32 vcc_lo, 0xff, v14
	s_delay_alu instid0(VALU_DEP_2) | instskip(SKIP_1) | instid1(VALU_DEP_2)
	v_cndmask_b32_e32 v16, 0x7f800001, v16, vcc_lo
	v_cmp_ne_u32_e32 vcc_lo, 0, v14
	v_cndmask_b32_e32 v14, 0x400000, v16, vcc_lo
.LBB14_1583:                            ;   in Loop: Header=BB14_17 Depth=1
	s_or_b32 exec_lo, exec_lo, s89
	s_delay_alu instid0(SALU_CYCLE_1) | instskip(SKIP_1) | instid1(SALU_CYCLE_1)
	s_and_not1_b32 s79, s79, exec_lo
	s_and_b32 s89, s90, exec_lo
	s_or_b32 s79, s79, s89
.LBB14_1584:                            ;   in Loop: Header=BB14_17 Depth=1
	s_or_b32 exec_lo, exec_lo, s88
	s_delay_alu instid0(SALU_CYCLE_1)
	s_and_b32 s79, s79, exec_lo
                                        ; implicit-def: $vgpr16_vgpr17
.LBB14_1585:                            ;   in Loop: Header=BB14_17 Depth=1
	s_and_not1_saveexec_b32 s77, s77
	s_cbranch_execz .LBB14_1589
; %bb.1586:                             ;   in Loop: Header=BB14_17 Depth=1
	s_mov_b32 s89, s79
	s_mov_b32 s88, exec_lo
                                        ; implicit-def: $vgpr14
	v_cmpx_eq_u16_e32 29, v7
	s_cbranch_execz .LBB14_1588
; %bb.1587:                             ;   in Loop: Header=BB14_17 Depth=1
	flat_load_b64 v[16:17], v[16:17]
	s_or_b32 s89, s79, exec_lo
	s_wait_loadcnt_dscnt 0x0
	v_clz_i32_u32_e32 v14, v17
	s_delay_alu instid0(VALU_DEP_1) | instskip(SKIP_1) | instid1(VALU_DEP_1)
	v_min_u32_e32 v14, 32, v14
	s_wait_xcnt 0x0
	v_lshlrev_b64_e32 v[16:17], v14, v[16:17]
	v_sub_nc_u32_e32 v14, 32, v14
	s_delay_alu instid0(VALU_DEP_2) | instskip(NEXT) | instid1(VALU_DEP_1)
	v_min_u32_e32 v16, 1, v16
	v_or_b32_e32 v16, v17, v16
	s_delay_alu instid0(VALU_DEP_1) | instskip(NEXT) | instid1(VALU_DEP_1)
	v_cvt_f32_u32_e32 v16, v16
	v_ldexp_f32 v14, v16, v14
.LBB14_1588:                            ;   in Loop: Header=BB14_17 Depth=1
	s_or_b32 exec_lo, exec_lo, s88
	s_delay_alu instid0(SALU_CYCLE_1) | instskip(SKIP_1) | instid1(SALU_CYCLE_1)
	s_and_not1_b32 s79, s79, exec_lo
	s_and_b32 s88, s89, exec_lo
	s_or_b32 s79, s79, s88
.LBB14_1589:                            ;   in Loop: Header=BB14_17 Depth=1
	s_or_b32 exec_lo, exec_lo, s77
	s_delay_alu instid0(SALU_CYCLE_1)
	s_and_b32 s77, s79, exec_lo
                                        ; implicit-def: $vgpr16_vgpr17
.LBB14_1590:                            ;   in Loop: Header=BB14_17 Depth=1
	s_and_not1_saveexec_b32 s78, s78
	s_cbranch_execz .LBB14_1604
; %bb.1591:                             ;   in Loop: Header=BB14_17 Depth=1
	s_mov_b32 s79, exec_lo
                                        ; implicit-def: $vgpr14
	v_cmpx_lt_i16_e32 26, v7
	s_xor_b32 s79, exec_lo, s79
	s_cbranch_execz .LBB14_1597
; %bb.1592:                             ;   in Loop: Header=BB14_17 Depth=1
	s_mov_b32 s88, exec_lo
                                        ; implicit-def: $vgpr14
	v_cmpx_lt_i16_e32 27, v7
	s_xor_b32 s88, exec_lo, s88
	s_cbranch_execz .LBB14_1594
; %bb.1593:                             ;   in Loop: Header=BB14_17 Depth=1
	flat_load_b32 v14, v[16:17]
                                        ; implicit-def: $vgpr16_vgpr17
	s_wait_loadcnt_dscnt 0x0
	v_cvt_f32_u32_e32 v14, v14
.LBB14_1594:                            ;   in Loop: Header=BB14_17 Depth=1
	s_wait_xcnt 0x0
	s_and_not1_saveexec_b32 s88, s88
	s_cbranch_execz .LBB14_1596
; %bb.1595:                             ;   in Loop: Header=BB14_17 Depth=1
	flat_load_u16 v14, v[16:17]
	s_wait_loadcnt_dscnt 0x0
	v_cvt_f32_u32_e32 v14, v14
.LBB14_1596:                            ;   in Loop: Header=BB14_17 Depth=1
	s_wait_xcnt 0x0
	s_or_b32 exec_lo, exec_lo, s88
                                        ; implicit-def: $vgpr16_vgpr17
.LBB14_1597:                            ;   in Loop: Header=BB14_17 Depth=1
	s_and_not1_saveexec_b32 s79, s79
	s_cbranch_execz .LBB14_1603
; %bb.1598:                             ;   in Loop: Header=BB14_17 Depth=1
	flat_load_u8 v16, v[16:17]
	s_mov_b32 s88, 0
	s_mov_b32 s89, exec_lo
	s_wait_loadcnt_dscnt 0x0
	v_cmpx_lt_i16_e32 0x7f, v16
	s_xor_b32 s89, exec_lo, s89
	s_cbranch_execnz .LBB14_3606
; %bb.1599:                             ;   in Loop: Header=BB14_17 Depth=1
	s_or_saveexec_b32 s89, s89
	v_mov_b32_e32 v14, 0x7f800001
	s_xor_b32 exec_lo, exec_lo, s89
	s_cbranch_execnz .LBB14_3609
.LBB14_1600:                            ;   in Loop: Header=BB14_17 Depth=1
	s_or_b32 exec_lo, exec_lo, s89
	s_and_saveexec_b32 s89, s88
	s_cbranch_execz .LBB14_1602
.LBB14_1601:                            ;   in Loop: Header=BB14_17 Depth=1
	v_and_b32_e32 v14, 0xffff, v16
	s_delay_alu instid0(VALU_DEP_1) | instskip(SKIP_1) | instid1(VALU_DEP_2)
	v_and_b32_e32 v17, 7, v14
	v_bfe_u32 v22, v14, 3, 4
	v_clz_i32_u32_e32 v20, v17
	s_delay_alu instid0(VALU_DEP_2) | instskip(NEXT) | instid1(VALU_DEP_2)
	v_cmp_eq_u32_e32 vcc_lo, 0, v22
	v_min_u32_e32 v20, 32, v20
	s_delay_alu instid0(VALU_DEP_1) | instskip(NEXT) | instid1(VALU_DEP_1)
	v_subrev_nc_u32_e32 v21, 28, v20
	v_dual_lshlrev_b32 v14, v21, v14 :: v_dual_sub_nc_u32 v20, 29, v20
	s_delay_alu instid0(VALU_DEP_1) | instskip(NEXT) | instid1(VALU_DEP_1)
	v_dual_lshlrev_b32 v16, 24, v16 :: v_dual_bitop2_b32 v14, 7, v14 bitop3:0x40
	v_dual_cndmask_b32 v14, v17, v14, vcc_lo :: v_dual_cndmask_b32 v20, v22, v20, vcc_lo
	s_delay_alu instid0(VALU_DEP_2) | instskip(NEXT) | instid1(VALU_DEP_2)
	v_and_b32_e32 v16, 0x80000000, v16
	v_lshlrev_b32_e32 v14, 20, v14
	s_delay_alu instid0(VALU_DEP_3) | instskip(NEXT) | instid1(VALU_DEP_1)
	v_lshl_add_u32 v17, v20, 23, 0x3b800000
	v_or3_b32 v14, v16, v17, v14
.LBB14_1602:                            ;   in Loop: Header=BB14_17 Depth=1
	s_or_b32 exec_lo, exec_lo, s89
.LBB14_1603:                            ;   in Loop: Header=BB14_17 Depth=1
	s_delay_alu instid0(SALU_CYCLE_1) | instskip(NEXT) | instid1(SALU_CYCLE_1)
	s_or_b32 exec_lo, exec_lo, s79
	s_or_b32 s77, s77, exec_lo
.LBB14_1604:                            ;   in Loop: Header=BB14_17 Depth=1
	s_or_b32 exec_lo, exec_lo, s78
	s_delay_alu instid0(SALU_CYCLE_1)
	s_and_b32 s77, s77, exec_lo
                                        ; implicit-def: $vgpr16_vgpr17
.LBB14_1605:                            ;   in Loop: Header=BB14_17 Depth=1
	s_and_not1_saveexec_b32 s74, s74
	s_cbranch_execz .LBB14_1631
; %bb.1606:                             ;   in Loop: Header=BB14_17 Depth=1
	s_mov_b32 s79, s77
	s_mov_b32 s78, exec_lo
                                        ; implicit-def: $vgpr14
	v_cmpx_lt_i16_e32 22, v7
	s_xor_b32 s78, exec_lo, s78
	s_cbranch_execz .LBB14_1620
; %bb.1607:                             ;   in Loop: Header=BB14_17 Depth=1
	s_mov_b32 s79, exec_lo
                                        ; implicit-def: $vgpr14
	v_cmpx_lt_i16_e32 23, v7
	s_xor_b32 s79, exec_lo, s79
	s_cbranch_execz .LBB14_1617
; %bb.1608:                             ;   in Loop: Header=BB14_17 Depth=1
	;; [unrolled: 6-line block ×3, first 2 shown]
	flat_load_u8 v16, v[16:17]
	s_mov_b32 s89, 0
	s_mov_b32 s90, exec_lo
	s_wait_loadcnt_dscnt 0x0
	v_cmpx_lt_i16_e32 0x7f, v16
	s_xor_b32 s90, exec_lo, s90
	s_cbranch_execnz .LBB14_3618
; %bb.1610:                             ;   in Loop: Header=BB14_17 Depth=1
	s_or_saveexec_b32 s90, s90
	v_mov_b32_e32 v14, 0x7f800001
	s_xor_b32 exec_lo, exec_lo, s90
	s_cbranch_execnz .LBB14_3621
.LBB14_1611:                            ;   in Loop: Header=BB14_17 Depth=1
	s_or_b32 exec_lo, exec_lo, s90
	s_and_saveexec_b32 s90, s89
	s_cbranch_execz .LBB14_1613
.LBB14_1612:                            ;   in Loop: Header=BB14_17 Depth=1
	v_and_b32_e32 v14, 0xffff, v16
	s_delay_alu instid0(VALU_DEP_1) | instskip(SKIP_1) | instid1(VALU_DEP_2)
	v_and_b32_e32 v17, 3, v14
	v_bfe_u32 v22, v14, 2, 5
	v_clz_i32_u32_e32 v20, v17
	s_delay_alu instid0(VALU_DEP_2) | instskip(NEXT) | instid1(VALU_DEP_2)
	v_cmp_eq_u32_e32 vcc_lo, 0, v22
	v_min_u32_e32 v20, 32, v20
	s_delay_alu instid0(VALU_DEP_1) | instskip(NEXT) | instid1(VALU_DEP_1)
	v_subrev_nc_u32_e32 v21, 29, v20
	v_dual_lshlrev_b32 v14, v21, v14 :: v_dual_sub_nc_u32 v20, 30, v20
	s_delay_alu instid0(VALU_DEP_1) | instskip(NEXT) | instid1(VALU_DEP_1)
	v_dual_lshlrev_b32 v16, 24, v16 :: v_dual_bitop2_b32 v14, 3, v14 bitop3:0x40
	v_dual_cndmask_b32 v14, v17, v14, vcc_lo :: v_dual_cndmask_b32 v20, v22, v20, vcc_lo
	s_delay_alu instid0(VALU_DEP_2) | instskip(NEXT) | instid1(VALU_DEP_2)
	v_and_b32_e32 v16, 0x80000000, v16
	v_lshlrev_b32_e32 v14, 21, v14
	s_delay_alu instid0(VALU_DEP_3) | instskip(NEXT) | instid1(VALU_DEP_1)
	v_lshl_add_u32 v17, v20, 23, 0x37800000
	v_or3_b32 v14, v16, v17, v14
.LBB14_1613:                            ;   in Loop: Header=BB14_17 Depth=1
	s_or_b32 exec_lo, exec_lo, s90
                                        ; implicit-def: $vgpr16_vgpr17
.LBB14_1614:                            ;   in Loop: Header=BB14_17 Depth=1
	s_and_not1_saveexec_b32 s88, s88
	s_cbranch_execz .LBB14_1616
; %bb.1615:                             ;   in Loop: Header=BB14_17 Depth=1
	flat_load_u8 v14, v[16:17]
	s_wait_loadcnt_dscnt 0x0
	v_lshlrev_b32_e32 v14, 24, v14
	s_wait_xcnt 0x0
	s_delay_alu instid0(VALU_DEP_1) | instskip(NEXT) | instid1(VALU_DEP_1)
	v_and_b32_e32 v16, 0x7f000000, v14
	v_clz_i32_u32_e32 v17, v16
	v_cmp_ne_u32_e32 vcc_lo, 0, v16
	v_add_nc_u32_e32 v21, 0x1000000, v16
	s_delay_alu instid0(VALU_DEP_3) | instskip(NEXT) | instid1(VALU_DEP_1)
	v_min_u32_e32 v17, 32, v17
	v_sub_nc_u32_e64 v17, v17, 4 clamp
	s_delay_alu instid0(VALU_DEP_1) | instskip(NEXT) | instid1(VALU_DEP_1)
	v_dual_lshlrev_b32 v20, v17, v16 :: v_dual_lshlrev_b32 v17, 23, v17
	v_lshrrev_b32_e32 v20, 4, v20
	s_delay_alu instid0(VALU_DEP_1) | instskip(SKIP_1) | instid1(VALU_DEP_2)
	v_sub_nc_u32_e32 v17, v20, v17
	v_ashrrev_i32_e32 v20, 8, v21
	v_add_nc_u32_e32 v17, 0x3c000000, v17
	s_delay_alu instid0(VALU_DEP_1) | instskip(NEXT) | instid1(VALU_DEP_1)
	v_and_or_b32 v17, 0x7f800000, v20, v17
	v_cndmask_b32_e32 v16, 0, v17, vcc_lo
	s_delay_alu instid0(VALU_DEP_1)
	v_and_or_b32 v14, 0x80000000, v14, v16
.LBB14_1616:                            ;   in Loop: Header=BB14_17 Depth=1
	s_or_b32 exec_lo, exec_lo, s88
                                        ; implicit-def: $vgpr16_vgpr17
.LBB14_1617:                            ;   in Loop: Header=BB14_17 Depth=1
	s_and_not1_saveexec_b32 s79, s79
	s_cbranch_execz .LBB14_1619
; %bb.1618:                             ;   in Loop: Header=BB14_17 Depth=1
	flat_load_u8 v14, v[16:17]
	s_wait_loadcnt_dscnt 0x0
	v_lshlrev_b32_e32 v16, 25, v14
	v_lshlrev_b16 v14, 8, v14
	s_delay_alu instid0(VALU_DEP_1) | instskip(SKIP_1) | instid1(VALU_DEP_2)
	v_and_or_b32 v20, 0x7f00, v14, 0.5
	v_bfe_i32 v14, v14, 0, 16
	v_add_f32_e32 v20, -0.5, v20
	v_lshrrev_b32_e32 v17, 4, v16
	v_cmp_gt_u32_e32 vcc_lo, 0x8000000, v16
	s_delay_alu instid0(VALU_DEP_2) | instskip(NEXT) | instid1(VALU_DEP_1)
	v_or_b32_e32 v17, 0x70000000, v17
	v_mul_f32_e32 v17, 0x7800000, v17
	s_delay_alu instid0(VALU_DEP_1) | instskip(NEXT) | instid1(VALU_DEP_1)
	v_cndmask_b32_e32 v16, v17, v20, vcc_lo
	v_and_or_b32 v14, 0x80000000, v14, v16
.LBB14_1619:                            ;   in Loop: Header=BB14_17 Depth=1
	s_or_b32 exec_lo, exec_lo, s79
	s_delay_alu instid0(SALU_CYCLE_1)
	s_or_b32 s79, s77, exec_lo
                                        ; implicit-def: $vgpr16_vgpr17
.LBB14_1620:                            ;   in Loop: Header=BB14_17 Depth=1
	s_and_not1_saveexec_b32 s78, s78
	s_cbranch_execz .LBB14_1630
; %bb.1621:                             ;   in Loop: Header=BB14_17 Depth=1
	s_mov_b32 s88, s79
	s_mov_b32 s89, exec_lo
                                        ; implicit-def: $vgpr14
	v_cmpx_lt_i16_e32 14, v7
	s_xor_b32 s89, exec_lo, s89
	s_cbranch_execz .LBB14_1625
; %bb.1622:                             ;   in Loop: Header=BB14_17 Depth=1
	s_mov_b32 s88, s79
	s_mov_b32 s90, exec_lo
                                        ; implicit-def: $vgpr14
	v_cmpx_eq_u16_e32 15, v7
	s_cbranch_execz .LBB14_1624
; %bb.1623:                             ;   in Loop: Header=BB14_17 Depth=1
	flat_load_u16 v14, v[16:17]
	s_or_b32 s88, s79, exec_lo
	s_wait_loadcnt_dscnt 0x0
	v_lshlrev_b32_e32 v14, 16, v14
.LBB14_1624:                            ;   in Loop: Header=BB14_17 Depth=1
	s_wait_xcnt 0x0
	s_or_b32 exec_lo, exec_lo, s90
	s_delay_alu instid0(SALU_CYCLE_1) | instskip(SKIP_1) | instid1(SALU_CYCLE_1)
	s_and_not1_b32 s90, s79, exec_lo
	s_and_b32 s88, s88, exec_lo
                                        ; implicit-def: $vgpr16_vgpr17
	s_or_b32 s88, s90, s88
.LBB14_1625:                            ;   in Loop: Header=BB14_17 Depth=1
	s_and_not1_saveexec_b32 s89, s89
	s_cbranch_execz .LBB14_1629
; %bb.1626:                             ;   in Loop: Header=BB14_17 Depth=1
	s_mov_b32 s90, s88
	s_mov_b32 s91, exec_lo
                                        ; implicit-def: $vgpr14
	v_cmpx_eq_u16_e32 11, v7
	s_cbranch_execz .LBB14_1628
; %bb.1627:                             ;   in Loop: Header=BB14_17 Depth=1
	flat_load_u8 v14, v[16:17]
	s_or_b32 s90, s88, exec_lo
	s_wait_loadcnt_dscnt 0x0
	v_cmp_ne_u16_e32 vcc_lo, 0, v14
	v_cndmask_b32_e64 v14, 0, 1.0, vcc_lo
.LBB14_1628:                            ;   in Loop: Header=BB14_17 Depth=1
	s_wait_xcnt 0x0
	s_or_b32 exec_lo, exec_lo, s91
	s_delay_alu instid0(SALU_CYCLE_1) | instskip(SKIP_1) | instid1(SALU_CYCLE_1)
	s_and_not1_b32 s88, s88, exec_lo
	s_and_b32 s90, s90, exec_lo
	s_or_b32 s88, s88, s90
.LBB14_1629:                            ;   in Loop: Header=BB14_17 Depth=1
	s_or_b32 exec_lo, exec_lo, s89
	s_delay_alu instid0(SALU_CYCLE_1) | instskip(SKIP_1) | instid1(SALU_CYCLE_1)
	s_and_not1_b32 s79, s79, exec_lo
	s_and_b32 s88, s88, exec_lo
	s_or_b32 s79, s79, s88
.LBB14_1630:                            ;   in Loop: Header=BB14_17 Depth=1
	s_or_b32 exec_lo, exec_lo, s78
	s_delay_alu instid0(SALU_CYCLE_1) | instskip(SKIP_1) | instid1(SALU_CYCLE_1)
	s_and_not1_b32 s77, s77, exec_lo
	s_and_b32 s78, s79, exec_lo
	s_or_b32 s77, s77, s78
.LBB14_1631:                            ;   in Loop: Header=BB14_17 Depth=1
	s_or_b32 exec_lo, exec_lo, s74
	s_delay_alu instid0(SALU_CYCLE_1)
	s_and_b32 s78, s77, exec_lo
                                        ; implicit-def: $vgpr16_vgpr17
.LBB14_1632:                            ;   in Loop: Header=BB14_17 Depth=1
	s_and_not1_saveexec_b32 s73, s73
	s_cbranch_execz .LBB14_1674
; %bb.1633:                             ;   in Loop: Header=BB14_17 Depth=1
	s_mov_b32 s74, exec_lo
                                        ; implicit-def: $vgpr14
	v_cmpx_lt_i16_e32 4, v7
	s_xor_b32 s74, exec_lo, s74
	s_cbranch_execz .LBB14_1655
; %bb.1634:                             ;   in Loop: Header=BB14_17 Depth=1
	s_mov_b32 s77, exec_lo
                                        ; implicit-def: $vgpr14
	v_cmpx_lt_i16_e32 7, v7
	s_xor_b32 s77, exec_lo, s77
	;; [unrolled: 6-line block ×4, first 2 shown]
	s_cbranch_execz .LBB14_1638
; %bb.1637:                             ;   in Loop: Header=BB14_17 Depth=1
	flat_load_b64 v[16:17], v[16:17]
	s_wait_loadcnt_dscnt 0x0
	v_cvt_f32_f64_e32 v14, v[16:17]
                                        ; implicit-def: $vgpr16_vgpr17
.LBB14_1638:                            ;   in Loop: Header=BB14_17 Depth=1
	s_wait_xcnt 0x0
	s_and_not1_saveexec_b32 s88, s88
	s_cbranch_execz .LBB14_1640
; %bb.1639:                             ;   in Loop: Header=BB14_17 Depth=1
	flat_load_b32 v14, v[16:17]
.LBB14_1640:                            ;   in Loop: Header=BB14_17 Depth=1
	s_wait_xcnt 0x0
	s_or_b32 exec_lo, exec_lo, s88
                                        ; implicit-def: $vgpr16_vgpr17
.LBB14_1641:                            ;   in Loop: Header=BB14_17 Depth=1
	s_and_not1_saveexec_b32 s79, s79
	s_cbranch_execz .LBB14_1643
; %bb.1642:                             ;   in Loop: Header=BB14_17 Depth=1
	s_wait_loadcnt_dscnt 0x0
	flat_load_b32 v14, v[16:17]
	s_wait_loadcnt_dscnt 0x0
	v_cvt_f32_f16_e32 v14, v14
.LBB14_1643:                            ;   in Loop: Header=BB14_17 Depth=1
	s_wait_xcnt 0x0
	s_or_b32 exec_lo, exec_lo, s79
                                        ; implicit-def: $vgpr16_vgpr17
.LBB14_1644:                            ;   in Loop: Header=BB14_17 Depth=1
	s_and_not1_saveexec_b32 s77, s77
	s_cbranch_execz .LBB14_1654
; %bb.1645:                             ;   in Loop: Header=BB14_17 Depth=1
	s_mov_b32 s79, exec_lo
                                        ; implicit-def: $vgpr14
	v_cmpx_lt_i16_e32 5, v7
	s_xor_b32 s79, exec_lo, s79
	s_cbranch_execz .LBB14_1651
; %bb.1646:                             ;   in Loop: Header=BB14_17 Depth=1
	s_mov_b32 s88, exec_lo
                                        ; implicit-def: $vgpr14
	v_cmpx_lt_i16_e32 6, v7
	s_xor_b32 s88, exec_lo, s88
	s_cbranch_execz .LBB14_1648
; %bb.1647:                             ;   in Loop: Header=BB14_17 Depth=1
	flat_load_b64 v[16:17], v[16:17]
	s_wait_loadcnt_dscnt 0x0
	v_cvt_f32_f64_e32 v14, v[16:17]
                                        ; implicit-def: $vgpr16_vgpr17
.LBB14_1648:                            ;   in Loop: Header=BB14_17 Depth=1
	s_wait_xcnt 0x0
	s_and_not1_saveexec_b32 s88, s88
	s_cbranch_execz .LBB14_1650
; %bb.1649:                             ;   in Loop: Header=BB14_17 Depth=1
	s_wait_loadcnt_dscnt 0x0
	flat_load_b32 v14, v[16:17]
.LBB14_1650:                            ;   in Loop: Header=BB14_17 Depth=1
	s_wait_xcnt 0x0
	s_or_b32 exec_lo, exec_lo, s88
                                        ; implicit-def: $vgpr16_vgpr17
.LBB14_1651:                            ;   in Loop: Header=BB14_17 Depth=1
	s_and_not1_saveexec_b32 s79, s79
	s_cbranch_execz .LBB14_1653
; %bb.1652:                             ;   in Loop: Header=BB14_17 Depth=1
	s_wait_loadcnt_dscnt 0x0
	flat_load_u16 v14, v[16:17]
	s_wait_loadcnt_dscnt 0x0
	v_cvt_f32_f16_e32 v14, v14
.LBB14_1653:                            ;   in Loop: Header=BB14_17 Depth=1
	s_wait_xcnt 0x0
	s_or_b32 exec_lo, exec_lo, s79
.LBB14_1654:                            ;   in Loop: Header=BB14_17 Depth=1
	s_delay_alu instid0(SALU_CYCLE_1)
	s_or_b32 exec_lo, exec_lo, s77
                                        ; implicit-def: $vgpr16_vgpr17
.LBB14_1655:                            ;   in Loop: Header=BB14_17 Depth=1
	s_and_not1_saveexec_b32 s74, s74
	s_cbranch_execz .LBB14_1673
; %bb.1656:                             ;   in Loop: Header=BB14_17 Depth=1
	s_mov_b32 s77, exec_lo
                                        ; implicit-def: $vgpr14
	v_cmpx_lt_i16_e32 1, v7
	s_xor_b32 s77, exec_lo, s77
	s_cbranch_execz .LBB14_1666
; %bb.1657:                             ;   in Loop: Header=BB14_17 Depth=1
	s_mov_b32 s79, exec_lo
                                        ; implicit-def: $vgpr14
	v_cmpx_lt_i16_e32 2, v7
	s_xor_b32 s79, exec_lo, s79
	;; [unrolled: 6-line block ×3, first 2 shown]
	s_cbranch_execz .LBB14_1660
; %bb.1659:                             ;   in Loop: Header=BB14_17 Depth=1
	flat_load_b64 v[16:17], v[16:17]
	s_wait_loadcnt_dscnt 0x0
	v_xor_b32_e32 v14, v16, v17
	v_cls_i32_e32 v20, v17
	s_delay_alu instid0(VALU_DEP_2) | instskip(NEXT) | instid1(VALU_DEP_1)
	v_ashrrev_i32_e32 v14, 31, v14
	v_add_nc_u32_e32 v14, 32, v14
	s_delay_alu instid0(VALU_DEP_1) | instskip(SKIP_1) | instid1(VALU_DEP_1)
	v_add_min_u32_e64 v14, v20, -1, v14
	s_wait_xcnt 0x0
	v_lshlrev_b64_e32 v[16:17], v14, v[16:17]
	v_sub_nc_u32_e32 v14, 32, v14
	s_delay_alu instid0(VALU_DEP_2) | instskip(NEXT) | instid1(VALU_DEP_1)
	v_min_u32_e32 v16, 1, v16
	v_or_b32_e32 v16, v17, v16
	s_delay_alu instid0(VALU_DEP_1) | instskip(NEXT) | instid1(VALU_DEP_1)
	v_cvt_f32_i32_e32 v16, v16
	v_ldexp_f32 v14, v16, v14
                                        ; implicit-def: $vgpr16_vgpr17
.LBB14_1660:                            ;   in Loop: Header=BB14_17 Depth=1
	s_and_not1_saveexec_b32 s88, s88
	s_cbranch_execz .LBB14_1662
; %bb.1661:                             ;   in Loop: Header=BB14_17 Depth=1
	s_wait_loadcnt_dscnt 0x0
	flat_load_b32 v14, v[16:17]
	s_wait_loadcnt_dscnt 0x0
	v_cvt_f32_i32_e32 v14, v14
.LBB14_1662:                            ;   in Loop: Header=BB14_17 Depth=1
	s_wait_xcnt 0x0
	s_or_b32 exec_lo, exec_lo, s88
                                        ; implicit-def: $vgpr16_vgpr17
.LBB14_1663:                            ;   in Loop: Header=BB14_17 Depth=1
	s_and_not1_saveexec_b32 s79, s79
	s_cbranch_execz .LBB14_1665
; %bb.1664:                             ;   in Loop: Header=BB14_17 Depth=1
	s_wait_loadcnt_dscnt 0x0
	flat_load_i16 v14, v[16:17]
	s_wait_loadcnt_dscnt 0x0
	v_cvt_f32_i32_e32 v14, v14
.LBB14_1665:                            ;   in Loop: Header=BB14_17 Depth=1
	s_wait_xcnt 0x0
	s_or_b32 exec_lo, exec_lo, s79
                                        ; implicit-def: $vgpr16_vgpr17
.LBB14_1666:                            ;   in Loop: Header=BB14_17 Depth=1
	s_and_not1_saveexec_b32 s77, s77
	s_cbranch_execz .LBB14_1672
; %bb.1667:                             ;   in Loop: Header=BB14_17 Depth=1
	s_mov_b32 s79, exec_lo
                                        ; implicit-def: $vgpr14
	v_cmpx_lt_i16_e32 0, v7
	s_xor_b32 s79, exec_lo, s79
	s_cbranch_execz .LBB14_1669
; %bb.1668:                             ;   in Loop: Header=BB14_17 Depth=1
	s_wait_loadcnt_dscnt 0x0
	flat_load_i8 v14, v[16:17]
                                        ; implicit-def: $vgpr16_vgpr17
	s_wait_loadcnt_dscnt 0x0
	v_cvt_f32_i32_e32 v14, v14
.LBB14_1669:                            ;   in Loop: Header=BB14_17 Depth=1
	s_wait_xcnt 0x0
	s_and_not1_saveexec_b32 s79, s79
	s_cbranch_execz .LBB14_1671
; %bb.1670:                             ;   in Loop: Header=BB14_17 Depth=1
	s_wait_loadcnt_dscnt 0x0
	flat_load_u8 v14, v[16:17]
	s_wait_loadcnt_dscnt 0x0
	v_cvt_f32_ubyte0_e32 v14, v14
.LBB14_1671:                            ;   in Loop: Header=BB14_17 Depth=1
	s_wait_xcnt 0x0
	s_or_b32 exec_lo, exec_lo, s79
.LBB14_1672:                            ;   in Loop: Header=BB14_17 Depth=1
	s_delay_alu instid0(SALU_CYCLE_1)
	s_or_b32 exec_lo, exec_lo, s77
.LBB14_1673:                            ;   in Loop: Header=BB14_17 Depth=1
	s_delay_alu instid0(SALU_CYCLE_1) | instskip(NEXT) | instid1(SALU_CYCLE_1)
	s_or_b32 exec_lo, exec_lo, s74
	s_or_b32 s78, s78, exec_lo
.LBB14_1674:                            ;   in Loop: Header=BB14_17 Depth=1
	s_or_b32 exec_lo, exec_lo, s73
	s_mov_b32 s73, -1
	s_mov_b32 s79, 0
	s_mov_b32 s74, 0
	s_and_saveexec_b32 s77, s78
	s_cbranch_execz .LBB14_1680
; %bb.1675:                             ;   in Loop: Header=BB14_17 Depth=1
	s_add_co_i32 s73, s32, s1
	s_mov_b32 s78, 0
	s_wait_loadcnt_dscnt 0x0
	scratch_store_b32 off, v14, s73 offset:116
	s_wait_xcnt 0x0
	v_mul_lo_u32 v14, v19, v10
	v_and_b32_e32 v19, 0xff, v8
	s_mov_b32 s74, exec_lo
	s_delay_alu instid0(VALU_DEP_2) | instskip(NEXT) | instid1(VALU_DEP_2)
	v_add_nc_u64_e32 v[16:17], v[4:5], v[14:15]
                                        ; implicit-def: $vgpr14
	v_cmpx_lt_i16_e32 10, v19
	s_xor_b32 s74, exec_lo, s74
	s_cbranch_execnz .LBB14_3362
; %bb.1676:                             ;   in Loop: Header=BB14_17 Depth=1
	s_and_not1_saveexec_b32 s74, s74
	s_cbranch_execnz .LBB14_3421
.LBB14_1677:                            ;   in Loop: Header=BB14_17 Depth=1
	s_or_b32 exec_lo, exec_lo, s74
	s_mov_b32 s79, 0
	s_and_saveexec_b32 s74, s78
	s_cbranch_execz .LBB14_1679
.LBB14_1678:                            ;   in Loop: Header=BB14_17 Depth=1
	v_add_nc_u32_e32 v18, 0x200, v18
	s_mov_b32 s79, exec_lo
	s_wait_loadcnt_dscnt 0x0
	scratch_store_b32 off, v14, s73 offset:112
.LBB14_1679:                            ;   in Loop: Header=BB14_17 Depth=1
	s_wait_xcnt 0x0
	s_or_b32 exec_lo, exec_lo, s74
	s_delay_alu instid0(SALU_CYCLE_1)
	s_mov_b32 s74, exec_lo
	s_xor_b32 s73, exec_lo, -1
	s_and_b32 s79, s79, exec_lo
.LBB14_1680:                            ;   in Loop: Header=BB14_17 Depth=1
	s_or_b32 exec_lo, exec_lo, s77
	s_delay_alu instid0(SALU_CYCLE_1)
	s_or_not1_b32 s77, s79, exec_lo
.LBB14_1681:                            ;   in Loop: Header=BB14_17 Depth=1
	s_or_b32 exec_lo, exec_lo, s75
	s_and_saveexec_b32 s75, s77
	s_cbranch_execz .LBB14_2
; %bb.1682:                             ;   in Loop: Header=BB14_17 Depth=1
	s_mov_b32 s78, -1
	s_mov_b32 s77, exec_lo
                                        ; implicit-def: $sgpr88
                                        ; implicit-def: $sgpr89
	v_cmpx_lt_i32_e64 v18, v6
	s_cbranch_execz .LBB14_1792
; %bb.1683:                             ;   in Loop: Header=BB14_17 Depth=1
	v_add_nc_u32_e32 v19, s2, v18
	s_mov_b32 s79, 0
	s_mov_b32 s78, exec_lo
	s_wait_loadcnt_dscnt 0x0
	s_delay_alu instid0(VALU_DEP_1) | instskip(NEXT) | instid1(VALU_DEP_1)
	v_mul_lo_u32 v14, v19, v9
	v_add_nc_u64_e32 v[16:17], v[2:3], v[14:15]
                                        ; implicit-def: $vgpr14
	v_cmpx_lt_i16_e32 10, v7
	s_xor_b32 s78, exec_lo, s78
	s_cbranch_execz .LBB14_1743
; %bb.1684:                             ;   in Loop: Header=BB14_17 Depth=1
	s_mov_b32 s88, 0
	s_mov_b32 s79, exec_lo
                                        ; implicit-def: $vgpr14
	v_cmpx_lt_i16_e32 25, v7
	s_xor_b32 s79, exec_lo, s79
	s_cbranch_execz .LBB14_1716
; %bb.1685:                             ;   in Loop: Header=BB14_17 Depth=1
	s_mov_b32 s89, exec_lo
                                        ; implicit-def: $vgpr14
	v_cmpx_lt_i16_e32 28, v7
	s_xor_b32 s89, exec_lo, s89
	s_cbranch_execz .LBB14_1701
; %bb.1686:                             ;   in Loop: Header=BB14_17 Depth=1
	s_mov_b32 s90, 0
	s_mov_b32 s88, exec_lo
                                        ; implicit-def: $vgpr14
	v_cmpx_lt_i16_e32 43, v7
	s_xor_b32 s88, exec_lo, s88
	s_cbranch_execz .LBB14_1696
; %bb.1687:                             ;   in Loop: Header=BB14_17 Depth=1
	s_mov_b32 s91, exec_lo
                                        ; implicit-def: $vgpr14
	v_cmpx_lt_i16_e32 45, v7
	s_xor_b32 s91, exec_lo, s91
	s_cbranch_execz .LBB14_1691
; %bb.1688:                             ;   in Loop: Header=BB14_17 Depth=1
	s_mov_b32 s92, exec_lo
                                        ; implicit-def: $vgpr14
	v_cmpx_eq_u16_e32 46, v7
	s_cbranch_execz .LBB14_1690
; %bb.1689:                             ;   in Loop: Header=BB14_17 Depth=1
	flat_load_b32 v14, v[16:17]
	s_mov_b32 s90, exec_lo
	s_wait_loadcnt_dscnt 0x0
	v_lshlrev_b32_e32 v14, 16, v14
.LBB14_1690:                            ;   in Loop: Header=BB14_17 Depth=1
	s_wait_xcnt 0x0
	s_or_b32 exec_lo, exec_lo, s92
	s_delay_alu instid0(SALU_CYCLE_1)
	s_and_b32 s90, s90, exec_lo
                                        ; implicit-def: $vgpr16_vgpr17
.LBB14_1691:                            ;   in Loop: Header=BB14_17 Depth=1
	s_and_not1_saveexec_b32 s91, s91
	s_cbranch_execz .LBB14_1695
; %bb.1692:                             ;   in Loop: Header=BB14_17 Depth=1
	s_mov_b32 s93, s90
	s_mov_b32 s92, exec_lo
                                        ; implicit-def: $vgpr14
	v_cmpx_eq_u16_e32 44, v7
	s_cbranch_execz .LBB14_1694
; %bb.1693:                             ;   in Loop: Header=BB14_17 Depth=1
	flat_load_u8 v14, v[16:17]
	s_or_b32 s93, s90, exec_lo
	s_wait_loadcnt_dscnt 0x0
	v_lshlrev_b32_e32 v16, 23, v14
	v_cmp_ne_u32_e32 vcc_lo, 0xff, v14
	s_delay_alu instid0(VALU_DEP_2) | instskip(SKIP_1) | instid1(VALU_DEP_2)
	v_cndmask_b32_e32 v16, 0x7f800001, v16, vcc_lo
	v_cmp_ne_u32_e32 vcc_lo, 0, v14
	v_cndmask_b32_e32 v14, 0x400000, v16, vcc_lo
.LBB14_1694:                            ;   in Loop: Header=BB14_17 Depth=1
	s_or_b32 exec_lo, exec_lo, s92
	s_delay_alu instid0(SALU_CYCLE_1) | instskip(SKIP_1) | instid1(SALU_CYCLE_1)
	s_and_not1_b32 s90, s90, exec_lo
	s_and_b32 s92, s93, exec_lo
	s_or_b32 s90, s90, s92
.LBB14_1695:                            ;   in Loop: Header=BB14_17 Depth=1
	s_or_b32 exec_lo, exec_lo, s91
	s_delay_alu instid0(SALU_CYCLE_1)
	s_and_b32 s90, s90, exec_lo
                                        ; implicit-def: $vgpr16_vgpr17
.LBB14_1696:                            ;   in Loop: Header=BB14_17 Depth=1
	s_and_not1_saveexec_b32 s88, s88
	s_cbranch_execz .LBB14_1700
; %bb.1697:                             ;   in Loop: Header=BB14_17 Depth=1
	s_mov_b32 s92, s90
	s_mov_b32 s91, exec_lo
                                        ; implicit-def: $vgpr14
	v_cmpx_eq_u16_e32 29, v7
	s_cbranch_execz .LBB14_1699
; %bb.1698:                             ;   in Loop: Header=BB14_17 Depth=1
	flat_load_b64 v[16:17], v[16:17]
	s_or_b32 s92, s90, exec_lo
	s_wait_loadcnt_dscnt 0x0
	v_clz_i32_u32_e32 v14, v17
	s_delay_alu instid0(VALU_DEP_1) | instskip(SKIP_1) | instid1(VALU_DEP_1)
	v_min_u32_e32 v14, 32, v14
	s_wait_xcnt 0x0
	v_lshlrev_b64_e32 v[16:17], v14, v[16:17]
	v_sub_nc_u32_e32 v14, 32, v14
	s_delay_alu instid0(VALU_DEP_2) | instskip(NEXT) | instid1(VALU_DEP_1)
	v_min_u32_e32 v16, 1, v16
	v_or_b32_e32 v16, v17, v16
	s_delay_alu instid0(VALU_DEP_1) | instskip(NEXT) | instid1(VALU_DEP_1)
	v_cvt_f32_u32_e32 v16, v16
	v_ldexp_f32 v14, v16, v14
.LBB14_1699:                            ;   in Loop: Header=BB14_17 Depth=1
	s_or_b32 exec_lo, exec_lo, s91
	s_delay_alu instid0(SALU_CYCLE_1) | instskip(SKIP_1) | instid1(SALU_CYCLE_1)
	s_and_not1_b32 s90, s90, exec_lo
	s_and_b32 s91, s92, exec_lo
	s_or_b32 s90, s90, s91
.LBB14_1700:                            ;   in Loop: Header=BB14_17 Depth=1
	s_or_b32 exec_lo, exec_lo, s88
	s_delay_alu instid0(SALU_CYCLE_1)
	s_and_b32 s88, s90, exec_lo
                                        ; implicit-def: $vgpr16_vgpr17
.LBB14_1701:                            ;   in Loop: Header=BB14_17 Depth=1
	s_and_not1_saveexec_b32 s89, s89
	s_cbranch_execz .LBB14_1715
; %bb.1702:                             ;   in Loop: Header=BB14_17 Depth=1
	s_mov_b32 s90, exec_lo
                                        ; implicit-def: $vgpr14
	v_cmpx_lt_i16_e32 26, v7
	s_xor_b32 s90, exec_lo, s90
	s_cbranch_execz .LBB14_1708
; %bb.1703:                             ;   in Loop: Header=BB14_17 Depth=1
	s_mov_b32 s91, exec_lo
                                        ; implicit-def: $vgpr14
	v_cmpx_lt_i16_e32 27, v7
	s_xor_b32 s91, exec_lo, s91
	s_cbranch_execz .LBB14_1705
; %bb.1704:                             ;   in Loop: Header=BB14_17 Depth=1
	flat_load_b32 v14, v[16:17]
                                        ; implicit-def: $vgpr16_vgpr17
	s_wait_loadcnt_dscnt 0x0
	v_cvt_f32_u32_e32 v14, v14
.LBB14_1705:                            ;   in Loop: Header=BB14_17 Depth=1
	s_wait_xcnt 0x0
	s_and_not1_saveexec_b32 s91, s91
	s_cbranch_execz .LBB14_1707
; %bb.1706:                             ;   in Loop: Header=BB14_17 Depth=1
	flat_load_u16 v14, v[16:17]
	s_wait_loadcnt_dscnt 0x0
	v_cvt_f32_u32_e32 v14, v14
.LBB14_1707:                            ;   in Loop: Header=BB14_17 Depth=1
	s_wait_xcnt 0x0
	s_or_b32 exec_lo, exec_lo, s91
                                        ; implicit-def: $vgpr16_vgpr17
.LBB14_1708:                            ;   in Loop: Header=BB14_17 Depth=1
	s_and_not1_saveexec_b32 s90, s90
	s_cbranch_execz .LBB14_1714
; %bb.1709:                             ;   in Loop: Header=BB14_17 Depth=1
	flat_load_u8 v16, v[16:17]
	s_mov_b32 s91, 0
	s_mov_b32 s92, exec_lo
	s_wait_loadcnt_dscnt 0x0
	v_cmpx_lt_i16_e32 0x7f, v16
	s_xor_b32 s92, exec_lo, s92
	s_cbranch_execnz .LBB14_3622
; %bb.1710:                             ;   in Loop: Header=BB14_17 Depth=1
	s_or_saveexec_b32 s92, s92
	v_mov_b32_e32 v14, 0x7f800001
	s_xor_b32 exec_lo, exec_lo, s92
	s_cbranch_execnz .LBB14_3625
.LBB14_1711:                            ;   in Loop: Header=BB14_17 Depth=1
	s_or_b32 exec_lo, exec_lo, s92
	s_and_saveexec_b32 s92, s91
	s_cbranch_execz .LBB14_1713
.LBB14_1712:                            ;   in Loop: Header=BB14_17 Depth=1
	v_and_b32_e32 v14, 0xffff, v16
	s_delay_alu instid0(VALU_DEP_1) | instskip(SKIP_1) | instid1(VALU_DEP_2)
	v_and_b32_e32 v17, 7, v14
	v_bfe_u32 v22, v14, 3, 4
	v_clz_i32_u32_e32 v20, v17
	s_delay_alu instid0(VALU_DEP_2) | instskip(NEXT) | instid1(VALU_DEP_2)
	v_cmp_eq_u32_e32 vcc_lo, 0, v22
	v_min_u32_e32 v20, 32, v20
	s_delay_alu instid0(VALU_DEP_1) | instskip(NEXT) | instid1(VALU_DEP_1)
	v_subrev_nc_u32_e32 v21, 28, v20
	v_dual_lshlrev_b32 v14, v21, v14 :: v_dual_sub_nc_u32 v20, 29, v20
	s_delay_alu instid0(VALU_DEP_1) | instskip(NEXT) | instid1(VALU_DEP_1)
	v_dual_lshlrev_b32 v16, 24, v16 :: v_dual_bitop2_b32 v14, 7, v14 bitop3:0x40
	v_dual_cndmask_b32 v14, v17, v14, vcc_lo :: v_dual_cndmask_b32 v20, v22, v20, vcc_lo
	s_delay_alu instid0(VALU_DEP_2) | instskip(NEXT) | instid1(VALU_DEP_2)
	v_and_b32_e32 v16, 0x80000000, v16
	v_lshlrev_b32_e32 v14, 20, v14
	s_delay_alu instid0(VALU_DEP_3) | instskip(NEXT) | instid1(VALU_DEP_1)
	v_lshl_add_u32 v17, v20, 23, 0x3b800000
	v_or3_b32 v14, v16, v17, v14
.LBB14_1713:                            ;   in Loop: Header=BB14_17 Depth=1
	s_or_b32 exec_lo, exec_lo, s92
.LBB14_1714:                            ;   in Loop: Header=BB14_17 Depth=1
	s_delay_alu instid0(SALU_CYCLE_1) | instskip(NEXT) | instid1(SALU_CYCLE_1)
	s_or_b32 exec_lo, exec_lo, s90
	s_or_b32 s88, s88, exec_lo
.LBB14_1715:                            ;   in Loop: Header=BB14_17 Depth=1
	s_or_b32 exec_lo, exec_lo, s89
	s_delay_alu instid0(SALU_CYCLE_1)
	s_and_b32 s88, s88, exec_lo
                                        ; implicit-def: $vgpr16_vgpr17
.LBB14_1716:                            ;   in Loop: Header=BB14_17 Depth=1
	s_and_not1_saveexec_b32 s79, s79
	s_cbranch_execz .LBB14_1742
; %bb.1717:                             ;   in Loop: Header=BB14_17 Depth=1
	s_mov_b32 s90, s88
	s_mov_b32 s89, exec_lo
                                        ; implicit-def: $vgpr14
	v_cmpx_lt_i16_e32 22, v7
	s_xor_b32 s89, exec_lo, s89
	s_cbranch_execz .LBB14_1731
; %bb.1718:                             ;   in Loop: Header=BB14_17 Depth=1
	s_mov_b32 s90, exec_lo
                                        ; implicit-def: $vgpr14
	v_cmpx_lt_i16_e32 23, v7
	s_xor_b32 s90, exec_lo, s90
	s_cbranch_execz .LBB14_1728
; %bb.1719:                             ;   in Loop: Header=BB14_17 Depth=1
	;; [unrolled: 6-line block ×3, first 2 shown]
	flat_load_u8 v16, v[16:17]
	s_mov_b32 s92, 0
	s_mov_b32 s93, exec_lo
	s_wait_loadcnt_dscnt 0x0
	v_cmpx_lt_i16_e32 0x7f, v16
	s_xor_b32 s93, exec_lo, s93
	s_cbranch_execnz .LBB14_3634
; %bb.1721:                             ;   in Loop: Header=BB14_17 Depth=1
	s_or_saveexec_b32 s93, s93
	v_mov_b32_e32 v14, 0x7f800001
	s_xor_b32 exec_lo, exec_lo, s93
	s_cbranch_execnz .LBB14_3637
.LBB14_1722:                            ;   in Loop: Header=BB14_17 Depth=1
	s_or_b32 exec_lo, exec_lo, s93
	s_and_saveexec_b32 s93, s92
	s_cbranch_execz .LBB14_1724
.LBB14_1723:                            ;   in Loop: Header=BB14_17 Depth=1
	v_and_b32_e32 v14, 0xffff, v16
	s_delay_alu instid0(VALU_DEP_1) | instskip(SKIP_1) | instid1(VALU_DEP_2)
	v_and_b32_e32 v17, 3, v14
	v_bfe_u32 v22, v14, 2, 5
	v_clz_i32_u32_e32 v20, v17
	s_delay_alu instid0(VALU_DEP_2) | instskip(NEXT) | instid1(VALU_DEP_2)
	v_cmp_eq_u32_e32 vcc_lo, 0, v22
	v_min_u32_e32 v20, 32, v20
	s_delay_alu instid0(VALU_DEP_1) | instskip(NEXT) | instid1(VALU_DEP_1)
	v_subrev_nc_u32_e32 v21, 29, v20
	v_dual_lshlrev_b32 v14, v21, v14 :: v_dual_sub_nc_u32 v20, 30, v20
	s_delay_alu instid0(VALU_DEP_1) | instskip(NEXT) | instid1(VALU_DEP_1)
	v_dual_lshlrev_b32 v16, 24, v16 :: v_dual_bitop2_b32 v14, 3, v14 bitop3:0x40
	v_dual_cndmask_b32 v14, v17, v14, vcc_lo :: v_dual_cndmask_b32 v20, v22, v20, vcc_lo
	s_delay_alu instid0(VALU_DEP_2) | instskip(NEXT) | instid1(VALU_DEP_2)
	v_and_b32_e32 v16, 0x80000000, v16
	v_lshlrev_b32_e32 v14, 21, v14
	s_delay_alu instid0(VALU_DEP_3) | instskip(NEXT) | instid1(VALU_DEP_1)
	v_lshl_add_u32 v17, v20, 23, 0x37800000
	v_or3_b32 v14, v16, v17, v14
.LBB14_1724:                            ;   in Loop: Header=BB14_17 Depth=1
	s_or_b32 exec_lo, exec_lo, s93
                                        ; implicit-def: $vgpr16_vgpr17
.LBB14_1725:                            ;   in Loop: Header=BB14_17 Depth=1
	s_and_not1_saveexec_b32 s91, s91
	s_cbranch_execz .LBB14_1727
; %bb.1726:                             ;   in Loop: Header=BB14_17 Depth=1
	flat_load_u8 v14, v[16:17]
	s_wait_loadcnt_dscnt 0x0
	v_lshlrev_b32_e32 v14, 24, v14
	s_wait_xcnt 0x0
	s_delay_alu instid0(VALU_DEP_1) | instskip(NEXT) | instid1(VALU_DEP_1)
	v_and_b32_e32 v16, 0x7f000000, v14
	v_clz_i32_u32_e32 v17, v16
	v_cmp_ne_u32_e32 vcc_lo, 0, v16
	v_add_nc_u32_e32 v21, 0x1000000, v16
	s_delay_alu instid0(VALU_DEP_3) | instskip(NEXT) | instid1(VALU_DEP_1)
	v_min_u32_e32 v17, 32, v17
	v_sub_nc_u32_e64 v17, v17, 4 clamp
	s_delay_alu instid0(VALU_DEP_1) | instskip(NEXT) | instid1(VALU_DEP_1)
	v_dual_lshlrev_b32 v20, v17, v16 :: v_dual_lshlrev_b32 v17, 23, v17
	v_lshrrev_b32_e32 v20, 4, v20
	s_delay_alu instid0(VALU_DEP_1) | instskip(SKIP_1) | instid1(VALU_DEP_2)
	v_sub_nc_u32_e32 v17, v20, v17
	v_ashrrev_i32_e32 v20, 8, v21
	v_add_nc_u32_e32 v17, 0x3c000000, v17
	s_delay_alu instid0(VALU_DEP_1) | instskip(NEXT) | instid1(VALU_DEP_1)
	v_and_or_b32 v17, 0x7f800000, v20, v17
	v_cndmask_b32_e32 v16, 0, v17, vcc_lo
	s_delay_alu instid0(VALU_DEP_1)
	v_and_or_b32 v14, 0x80000000, v14, v16
.LBB14_1727:                            ;   in Loop: Header=BB14_17 Depth=1
	s_or_b32 exec_lo, exec_lo, s91
                                        ; implicit-def: $vgpr16_vgpr17
.LBB14_1728:                            ;   in Loop: Header=BB14_17 Depth=1
	s_and_not1_saveexec_b32 s90, s90
	s_cbranch_execz .LBB14_1730
; %bb.1729:                             ;   in Loop: Header=BB14_17 Depth=1
	flat_load_u8 v14, v[16:17]
	s_wait_loadcnt_dscnt 0x0
	v_lshlrev_b32_e32 v16, 25, v14
	v_lshlrev_b16 v14, 8, v14
	s_delay_alu instid0(VALU_DEP_1) | instskip(SKIP_1) | instid1(VALU_DEP_2)
	v_and_or_b32 v20, 0x7f00, v14, 0.5
	v_bfe_i32 v14, v14, 0, 16
	v_add_f32_e32 v20, -0.5, v20
	v_lshrrev_b32_e32 v17, 4, v16
	v_cmp_gt_u32_e32 vcc_lo, 0x8000000, v16
	s_delay_alu instid0(VALU_DEP_2) | instskip(NEXT) | instid1(VALU_DEP_1)
	v_or_b32_e32 v17, 0x70000000, v17
	v_mul_f32_e32 v17, 0x7800000, v17
	s_delay_alu instid0(VALU_DEP_1) | instskip(NEXT) | instid1(VALU_DEP_1)
	v_cndmask_b32_e32 v16, v17, v20, vcc_lo
	v_and_or_b32 v14, 0x80000000, v14, v16
.LBB14_1730:                            ;   in Loop: Header=BB14_17 Depth=1
	s_or_b32 exec_lo, exec_lo, s90
	s_delay_alu instid0(SALU_CYCLE_1)
	s_or_b32 s90, s88, exec_lo
                                        ; implicit-def: $vgpr16_vgpr17
.LBB14_1731:                            ;   in Loop: Header=BB14_17 Depth=1
	s_and_not1_saveexec_b32 s89, s89
	s_cbranch_execz .LBB14_1741
; %bb.1732:                             ;   in Loop: Header=BB14_17 Depth=1
	s_mov_b32 s91, s90
	s_mov_b32 s92, exec_lo
                                        ; implicit-def: $vgpr14
	v_cmpx_lt_i16_e32 14, v7
	s_xor_b32 s92, exec_lo, s92
	s_cbranch_execz .LBB14_1736
; %bb.1733:                             ;   in Loop: Header=BB14_17 Depth=1
	s_mov_b32 s91, s90
	s_mov_b32 s93, exec_lo
                                        ; implicit-def: $vgpr14
	v_cmpx_eq_u16_e32 15, v7
	s_cbranch_execz .LBB14_1735
; %bb.1734:                             ;   in Loop: Header=BB14_17 Depth=1
	flat_load_u16 v14, v[16:17]
	s_or_b32 s91, s90, exec_lo
	s_wait_loadcnt_dscnt 0x0
	v_lshlrev_b32_e32 v14, 16, v14
.LBB14_1735:                            ;   in Loop: Header=BB14_17 Depth=1
	s_wait_xcnt 0x0
	s_or_b32 exec_lo, exec_lo, s93
	s_delay_alu instid0(SALU_CYCLE_1) | instskip(SKIP_1) | instid1(SALU_CYCLE_1)
	s_and_not1_b32 s93, s90, exec_lo
	s_and_b32 s91, s91, exec_lo
                                        ; implicit-def: $vgpr16_vgpr17
	s_or_b32 s91, s93, s91
.LBB14_1736:                            ;   in Loop: Header=BB14_17 Depth=1
	s_and_not1_saveexec_b32 s92, s92
	s_cbranch_execz .LBB14_1740
; %bb.1737:                             ;   in Loop: Header=BB14_17 Depth=1
	s_mov_b32 s93, s91
	s_mov_b32 s94, exec_lo
                                        ; implicit-def: $vgpr14
	v_cmpx_eq_u16_e32 11, v7
	s_cbranch_execz .LBB14_1739
; %bb.1738:                             ;   in Loop: Header=BB14_17 Depth=1
	flat_load_u8 v14, v[16:17]
	s_or_b32 s93, s91, exec_lo
	s_wait_loadcnt_dscnt 0x0
	v_cmp_ne_u16_e32 vcc_lo, 0, v14
	v_cndmask_b32_e64 v14, 0, 1.0, vcc_lo
.LBB14_1739:                            ;   in Loop: Header=BB14_17 Depth=1
	s_wait_xcnt 0x0
	s_or_b32 exec_lo, exec_lo, s94
	s_delay_alu instid0(SALU_CYCLE_1) | instskip(SKIP_1) | instid1(SALU_CYCLE_1)
	s_and_not1_b32 s91, s91, exec_lo
	s_and_b32 s93, s93, exec_lo
	s_or_b32 s91, s91, s93
.LBB14_1740:                            ;   in Loop: Header=BB14_17 Depth=1
	s_or_b32 exec_lo, exec_lo, s92
	s_delay_alu instid0(SALU_CYCLE_1) | instskip(SKIP_1) | instid1(SALU_CYCLE_1)
	s_and_not1_b32 s90, s90, exec_lo
	s_and_b32 s91, s91, exec_lo
	s_or_b32 s90, s90, s91
.LBB14_1741:                            ;   in Loop: Header=BB14_17 Depth=1
	s_or_b32 exec_lo, exec_lo, s89
	s_delay_alu instid0(SALU_CYCLE_1) | instskip(SKIP_1) | instid1(SALU_CYCLE_1)
	s_and_not1_b32 s88, s88, exec_lo
	s_and_b32 s89, s90, exec_lo
	s_or_b32 s88, s88, s89
.LBB14_1742:                            ;   in Loop: Header=BB14_17 Depth=1
	s_or_b32 exec_lo, exec_lo, s79
	s_delay_alu instid0(SALU_CYCLE_1)
	s_and_b32 s79, s88, exec_lo
                                        ; implicit-def: $vgpr16_vgpr17
.LBB14_1743:                            ;   in Loop: Header=BB14_17 Depth=1
	s_and_not1_saveexec_b32 s78, s78
	s_cbranch_execz .LBB14_1785
; %bb.1744:                             ;   in Loop: Header=BB14_17 Depth=1
	s_mov_b32 s88, exec_lo
                                        ; implicit-def: $vgpr14
	v_cmpx_lt_i16_e32 4, v7
	s_xor_b32 s88, exec_lo, s88
	s_cbranch_execz .LBB14_1766
; %bb.1745:                             ;   in Loop: Header=BB14_17 Depth=1
	s_mov_b32 s89, exec_lo
                                        ; implicit-def: $vgpr14
	v_cmpx_lt_i16_e32 7, v7
	s_xor_b32 s89, exec_lo, s89
	;; [unrolled: 6-line block ×4, first 2 shown]
	s_cbranch_execz .LBB14_1749
; %bb.1748:                             ;   in Loop: Header=BB14_17 Depth=1
	flat_load_b64 v[16:17], v[16:17]
	s_wait_loadcnt_dscnt 0x0
	v_cvt_f32_f64_e32 v14, v[16:17]
                                        ; implicit-def: $vgpr16_vgpr17
.LBB14_1749:                            ;   in Loop: Header=BB14_17 Depth=1
	s_wait_xcnt 0x0
	s_and_not1_saveexec_b32 s91, s91
	s_cbranch_execz .LBB14_1751
; %bb.1750:                             ;   in Loop: Header=BB14_17 Depth=1
	flat_load_b32 v14, v[16:17]
.LBB14_1751:                            ;   in Loop: Header=BB14_17 Depth=1
	s_wait_xcnt 0x0
	s_or_b32 exec_lo, exec_lo, s91
                                        ; implicit-def: $vgpr16_vgpr17
.LBB14_1752:                            ;   in Loop: Header=BB14_17 Depth=1
	s_and_not1_saveexec_b32 s90, s90
	s_cbranch_execz .LBB14_1754
; %bb.1753:                             ;   in Loop: Header=BB14_17 Depth=1
	s_wait_loadcnt_dscnt 0x0
	flat_load_b32 v14, v[16:17]
	s_wait_loadcnt_dscnt 0x0
	v_cvt_f32_f16_e32 v14, v14
.LBB14_1754:                            ;   in Loop: Header=BB14_17 Depth=1
	s_wait_xcnt 0x0
	s_or_b32 exec_lo, exec_lo, s90
                                        ; implicit-def: $vgpr16_vgpr17
.LBB14_1755:                            ;   in Loop: Header=BB14_17 Depth=1
	s_and_not1_saveexec_b32 s89, s89
	s_cbranch_execz .LBB14_1765
; %bb.1756:                             ;   in Loop: Header=BB14_17 Depth=1
	s_mov_b32 s90, exec_lo
                                        ; implicit-def: $vgpr14
	v_cmpx_lt_i16_e32 5, v7
	s_xor_b32 s90, exec_lo, s90
	s_cbranch_execz .LBB14_1762
; %bb.1757:                             ;   in Loop: Header=BB14_17 Depth=1
	s_mov_b32 s91, exec_lo
                                        ; implicit-def: $vgpr14
	v_cmpx_lt_i16_e32 6, v7
	s_xor_b32 s91, exec_lo, s91
	s_cbranch_execz .LBB14_1759
; %bb.1758:                             ;   in Loop: Header=BB14_17 Depth=1
	flat_load_b64 v[16:17], v[16:17]
	s_wait_loadcnt_dscnt 0x0
	v_cvt_f32_f64_e32 v14, v[16:17]
                                        ; implicit-def: $vgpr16_vgpr17
.LBB14_1759:                            ;   in Loop: Header=BB14_17 Depth=1
	s_wait_xcnt 0x0
	s_and_not1_saveexec_b32 s91, s91
	s_cbranch_execz .LBB14_1761
; %bb.1760:                             ;   in Loop: Header=BB14_17 Depth=1
	s_wait_loadcnt_dscnt 0x0
	flat_load_b32 v14, v[16:17]
.LBB14_1761:                            ;   in Loop: Header=BB14_17 Depth=1
	s_wait_xcnt 0x0
	s_or_b32 exec_lo, exec_lo, s91
                                        ; implicit-def: $vgpr16_vgpr17
.LBB14_1762:                            ;   in Loop: Header=BB14_17 Depth=1
	s_and_not1_saveexec_b32 s90, s90
	s_cbranch_execz .LBB14_1764
; %bb.1763:                             ;   in Loop: Header=BB14_17 Depth=1
	s_wait_loadcnt_dscnt 0x0
	flat_load_u16 v14, v[16:17]
	s_wait_loadcnt_dscnt 0x0
	v_cvt_f32_f16_e32 v14, v14
.LBB14_1764:                            ;   in Loop: Header=BB14_17 Depth=1
	s_wait_xcnt 0x0
	s_or_b32 exec_lo, exec_lo, s90
.LBB14_1765:                            ;   in Loop: Header=BB14_17 Depth=1
	s_delay_alu instid0(SALU_CYCLE_1)
	s_or_b32 exec_lo, exec_lo, s89
                                        ; implicit-def: $vgpr16_vgpr17
.LBB14_1766:                            ;   in Loop: Header=BB14_17 Depth=1
	s_and_not1_saveexec_b32 s88, s88
	s_cbranch_execz .LBB14_1784
; %bb.1767:                             ;   in Loop: Header=BB14_17 Depth=1
	s_mov_b32 s89, exec_lo
                                        ; implicit-def: $vgpr14
	v_cmpx_lt_i16_e32 1, v7
	s_xor_b32 s89, exec_lo, s89
	s_cbranch_execz .LBB14_1777
; %bb.1768:                             ;   in Loop: Header=BB14_17 Depth=1
	s_mov_b32 s90, exec_lo
                                        ; implicit-def: $vgpr14
	v_cmpx_lt_i16_e32 2, v7
	s_xor_b32 s90, exec_lo, s90
	;; [unrolled: 6-line block ×3, first 2 shown]
	s_cbranch_execz .LBB14_1771
; %bb.1770:                             ;   in Loop: Header=BB14_17 Depth=1
	flat_load_b64 v[16:17], v[16:17]
	s_wait_loadcnt_dscnt 0x0
	v_xor_b32_e32 v14, v16, v17
	v_cls_i32_e32 v20, v17
	s_delay_alu instid0(VALU_DEP_2) | instskip(NEXT) | instid1(VALU_DEP_1)
	v_ashrrev_i32_e32 v14, 31, v14
	v_add_nc_u32_e32 v14, 32, v14
	s_delay_alu instid0(VALU_DEP_1) | instskip(SKIP_1) | instid1(VALU_DEP_1)
	v_add_min_u32_e64 v14, v20, -1, v14
	s_wait_xcnt 0x0
	v_lshlrev_b64_e32 v[16:17], v14, v[16:17]
	v_sub_nc_u32_e32 v14, 32, v14
	s_delay_alu instid0(VALU_DEP_2) | instskip(NEXT) | instid1(VALU_DEP_1)
	v_min_u32_e32 v16, 1, v16
	v_or_b32_e32 v16, v17, v16
	s_delay_alu instid0(VALU_DEP_1) | instskip(NEXT) | instid1(VALU_DEP_1)
	v_cvt_f32_i32_e32 v16, v16
	v_ldexp_f32 v14, v16, v14
                                        ; implicit-def: $vgpr16_vgpr17
.LBB14_1771:                            ;   in Loop: Header=BB14_17 Depth=1
	s_and_not1_saveexec_b32 s91, s91
	s_cbranch_execz .LBB14_1773
; %bb.1772:                             ;   in Loop: Header=BB14_17 Depth=1
	s_wait_loadcnt_dscnt 0x0
	flat_load_b32 v14, v[16:17]
	s_wait_loadcnt_dscnt 0x0
	v_cvt_f32_i32_e32 v14, v14
.LBB14_1773:                            ;   in Loop: Header=BB14_17 Depth=1
	s_wait_xcnt 0x0
	s_or_b32 exec_lo, exec_lo, s91
                                        ; implicit-def: $vgpr16_vgpr17
.LBB14_1774:                            ;   in Loop: Header=BB14_17 Depth=1
	s_and_not1_saveexec_b32 s90, s90
	s_cbranch_execz .LBB14_1776
; %bb.1775:                             ;   in Loop: Header=BB14_17 Depth=1
	s_wait_loadcnt_dscnt 0x0
	flat_load_i16 v14, v[16:17]
	s_wait_loadcnt_dscnt 0x0
	v_cvt_f32_i32_e32 v14, v14
.LBB14_1776:                            ;   in Loop: Header=BB14_17 Depth=1
	s_wait_xcnt 0x0
	s_or_b32 exec_lo, exec_lo, s90
                                        ; implicit-def: $vgpr16_vgpr17
.LBB14_1777:                            ;   in Loop: Header=BB14_17 Depth=1
	s_and_not1_saveexec_b32 s89, s89
	s_cbranch_execz .LBB14_1783
; %bb.1778:                             ;   in Loop: Header=BB14_17 Depth=1
	s_mov_b32 s90, exec_lo
                                        ; implicit-def: $vgpr14
	v_cmpx_lt_i16_e32 0, v7
	s_xor_b32 s90, exec_lo, s90
	s_cbranch_execz .LBB14_1780
; %bb.1779:                             ;   in Loop: Header=BB14_17 Depth=1
	s_wait_loadcnt_dscnt 0x0
	flat_load_i8 v14, v[16:17]
                                        ; implicit-def: $vgpr16_vgpr17
	s_wait_loadcnt_dscnt 0x0
	v_cvt_f32_i32_e32 v14, v14
.LBB14_1780:                            ;   in Loop: Header=BB14_17 Depth=1
	s_wait_xcnt 0x0
	s_and_not1_saveexec_b32 s90, s90
	s_cbranch_execz .LBB14_1782
; %bb.1781:                             ;   in Loop: Header=BB14_17 Depth=1
	s_wait_loadcnt_dscnt 0x0
	flat_load_u8 v14, v[16:17]
	s_wait_loadcnt_dscnt 0x0
	v_cvt_f32_ubyte0_e32 v14, v14
.LBB14_1782:                            ;   in Loop: Header=BB14_17 Depth=1
	s_wait_xcnt 0x0
	s_or_b32 exec_lo, exec_lo, s90
.LBB14_1783:                            ;   in Loop: Header=BB14_17 Depth=1
	s_delay_alu instid0(SALU_CYCLE_1)
	s_or_b32 exec_lo, exec_lo, s89
.LBB14_1784:                            ;   in Loop: Header=BB14_17 Depth=1
	s_delay_alu instid0(SALU_CYCLE_1) | instskip(NEXT) | instid1(SALU_CYCLE_1)
	s_or_b32 exec_lo, exec_lo, s88
	s_or_b32 s79, s79, exec_lo
.LBB14_1785:                            ;   in Loop: Header=BB14_17 Depth=1
	s_or_b32 exec_lo, exec_lo, s78
	s_mov_b32 s88, -1
	s_mov_b32 s90, 0
	s_mov_b32 s89, 0
	s_and_saveexec_b32 s78, s79
	s_cbranch_execz .LBB14_1791
; %bb.1786:                             ;   in Loop: Header=BB14_17 Depth=1
	s_add_co_i32 s79, s32, s1
	s_mov_b32 s88, exec_lo
	s_wait_loadcnt_dscnt 0x0
	scratch_store_b32 off, v14, s79 offset:124
	s_wait_xcnt 0x0
	v_mul_lo_u32 v14, v19, v10
	v_and_b32_e32 v19, 0xff, v8
	s_delay_alu instid0(VALU_DEP_2) | instskip(NEXT) | instid1(VALU_DEP_2)
	v_add_nc_u64_e32 v[16:17], v[4:5], v[14:15]
                                        ; implicit-def: $vgpr14
	v_cmpx_lt_i16_e32 10, v19
	s_xor_b32 s88, exec_lo, s88
	s_cbranch_execnz .LBB14_3478
; %bb.1787:                             ;   in Loop: Header=BB14_17 Depth=1
	s_and_not1_saveexec_b32 s88, s88
	s_cbranch_execnz .LBB14_3537
.LBB14_1788:                            ;   in Loop: Header=BB14_17 Depth=1
	s_or_b32 exec_lo, exec_lo, s88
	s_mov_b32 s90, 0
	s_and_saveexec_b32 s88, s89
	s_cbranch_execz .LBB14_1790
.LBB14_1789:                            ;   in Loop: Header=BB14_17 Depth=1
	v_add_nc_u32_e32 v18, 0x200, v18
	s_mov_b32 s90, exec_lo
	s_wait_loadcnt_dscnt 0x0
	scratch_store_b32 off, v14, s79 offset:120
.LBB14_1790:                            ;   in Loop: Header=BB14_17 Depth=1
	s_wait_xcnt 0x0
	s_or_b32 exec_lo, exec_lo, s88
	s_delay_alu instid0(SALU_CYCLE_1)
	s_mov_b32 s89, exec_lo
	s_xor_b32 s88, exec_lo, -1
	s_and_b32 s90, s90, exec_lo
.LBB14_1791:                            ;   in Loop: Header=BB14_17 Depth=1
	s_or_b32 exec_lo, exec_lo, s78
	s_delay_alu instid0(SALU_CYCLE_1)
	s_or_not1_b32 s78, s90, exec_lo
.LBB14_1792:                            ;   in Loop: Header=BB14_17 Depth=1
	s_or_b32 exec_lo, exec_lo, s77
	s_and_saveexec_b32 s77, s78
	s_cbranch_execz .LBB14_1
; %bb.1793:                             ;   in Loop: Header=BB14_17 Depth=1
	s_addk_co_i32 s1, 0x80
	s_delay_alu instid0(SALU_CYCLE_1)
	s_cmp_eq_u32 s1, 0x100
	s_cselect_b32 s76, -1, 0
	s_and_not1_b32 s89, s89, exec_lo
	s_and_not1_b32 s88, s88, exec_lo
	s_or_not1_b32 s76, s76, exec_lo
	s_branch .LBB14_1
.LBB14_1794:                            ;   in Loop: Header=BB14_17 Depth=1
	s_mov_b32 s11, exec_lo
                                        ; implicit-def: $vgpr14
	v_cmpx_lt_i16_e32 25, v19
	s_xor_b32 s11, exec_lo, s11
	s_cbranch_execz .LBB14_1826
; %bb.1795:                             ;   in Loop: Header=BB14_17 Depth=1
	s_mov_b32 s13, exec_lo
                                        ; implicit-def: $vgpr14
	v_cmpx_lt_i16_e32 28, v19
	s_xor_b32 s13, exec_lo, s13
	s_cbranch_execz .LBB14_1811
; %bb.1796:                             ;   in Loop: Header=BB14_17 Depth=1
	s_mov_b32 s14, 0
	s_mov_b32 s12, exec_lo
                                        ; implicit-def: $vgpr14
	v_cmpx_lt_i16_e32 43, v19
	s_xor_b32 s12, exec_lo, s12
	s_cbranch_execz .LBB14_1806
; %bb.1797:                             ;   in Loop: Header=BB14_17 Depth=1
	s_mov_b32 s15, exec_lo
                                        ; implicit-def: $vgpr14
	v_cmpx_lt_i16_e32 45, v19
	s_xor_b32 s15, exec_lo, s15
	s_cbranch_execz .LBB14_1801
; %bb.1798:                             ;   in Loop: Header=BB14_17 Depth=1
	s_mov_b32 s16, exec_lo
                                        ; implicit-def: $vgpr14
	v_cmpx_eq_u16_e32 46, v19
	s_cbranch_execz .LBB14_1800
; %bb.1799:                             ;   in Loop: Header=BB14_17 Depth=1
	flat_load_b32 v14, v[16:17]
	s_mov_b32 s14, exec_lo
	s_wait_loadcnt_dscnt 0x0
	v_lshlrev_b32_e32 v14, 16, v14
.LBB14_1800:                            ;   in Loop: Header=BB14_17 Depth=1
	s_wait_xcnt 0x0
	s_or_b32 exec_lo, exec_lo, s16
	s_delay_alu instid0(SALU_CYCLE_1)
	s_and_b32 s14, s14, exec_lo
                                        ; implicit-def: $vgpr19
                                        ; implicit-def: $vgpr16_vgpr17
.LBB14_1801:                            ;   in Loop: Header=BB14_17 Depth=1
	s_and_not1_saveexec_b32 s15, s15
	s_cbranch_execz .LBB14_1805
; %bb.1802:                             ;   in Loop: Header=BB14_17 Depth=1
	s_mov_b32 s17, s14
	s_mov_b32 s16, exec_lo
                                        ; implicit-def: $vgpr14
	v_cmpx_eq_u16_e32 44, v19
	s_cbranch_execz .LBB14_1804
; %bb.1803:                             ;   in Loop: Header=BB14_17 Depth=1
	flat_load_u8 v14, v[16:17]
	s_or_b32 s17, s14, exec_lo
	s_wait_loadcnt_dscnt 0x0
	v_lshlrev_b32_e32 v16, 23, v14
	v_cmp_ne_u32_e32 vcc_lo, 0xff, v14
	s_delay_alu instid0(VALU_DEP_2) | instskip(SKIP_1) | instid1(VALU_DEP_2)
	v_cndmask_b32_e32 v16, 0x7f800001, v16, vcc_lo
	v_cmp_ne_u32_e32 vcc_lo, 0, v14
	v_cndmask_b32_e32 v14, 0x400000, v16, vcc_lo
.LBB14_1804:                            ;   in Loop: Header=BB14_17 Depth=1
	s_or_b32 exec_lo, exec_lo, s16
	s_delay_alu instid0(SALU_CYCLE_1) | instskip(SKIP_1) | instid1(SALU_CYCLE_1)
	s_and_not1_b32 s14, s14, exec_lo
	s_and_b32 s16, s17, exec_lo
	s_or_b32 s14, s14, s16
.LBB14_1805:                            ;   in Loop: Header=BB14_17 Depth=1
	s_or_b32 exec_lo, exec_lo, s15
	s_delay_alu instid0(SALU_CYCLE_1)
	s_and_b32 s14, s14, exec_lo
                                        ; implicit-def: $vgpr19
                                        ; implicit-def: $vgpr16_vgpr17
.LBB14_1806:                            ;   in Loop: Header=BB14_17 Depth=1
	s_and_not1_saveexec_b32 s12, s12
	s_cbranch_execz .LBB14_1810
; %bb.1807:                             ;   in Loop: Header=BB14_17 Depth=1
	s_mov_b32 s16, s14
	s_mov_b32 s15, exec_lo
                                        ; implicit-def: $vgpr14
	v_cmpx_eq_u16_e32 29, v19
	s_cbranch_execz .LBB14_1809
; %bb.1808:                             ;   in Loop: Header=BB14_17 Depth=1
	flat_load_b64 v[16:17], v[16:17]
	s_or_b32 s16, s14, exec_lo
	s_wait_loadcnt_dscnt 0x0
	v_clz_i32_u32_e32 v14, v17
	s_delay_alu instid0(VALU_DEP_1) | instskip(SKIP_1) | instid1(VALU_DEP_1)
	v_min_u32_e32 v14, 32, v14
	s_wait_xcnt 0x0
	v_lshlrev_b64_e32 v[16:17], v14, v[16:17]
	v_sub_nc_u32_e32 v14, 32, v14
	s_delay_alu instid0(VALU_DEP_2) | instskip(NEXT) | instid1(VALU_DEP_1)
	v_min_u32_e32 v16, 1, v16
	v_or_b32_e32 v16, v17, v16
	s_delay_alu instid0(VALU_DEP_1) | instskip(NEXT) | instid1(VALU_DEP_1)
	v_cvt_f32_u32_e32 v16, v16
	v_ldexp_f32 v14, v16, v14
.LBB14_1809:                            ;   in Loop: Header=BB14_17 Depth=1
	s_or_b32 exec_lo, exec_lo, s15
	s_delay_alu instid0(SALU_CYCLE_1) | instskip(SKIP_1) | instid1(SALU_CYCLE_1)
	s_and_not1_b32 s14, s14, exec_lo
	s_and_b32 s15, s16, exec_lo
	s_or_b32 s14, s14, s15
.LBB14_1810:                            ;   in Loop: Header=BB14_17 Depth=1
	s_or_b32 exec_lo, exec_lo, s12
	s_delay_alu instid0(SALU_CYCLE_1)
	s_and_b32 s12, s14, exec_lo
                                        ; implicit-def: $vgpr19
                                        ; implicit-def: $vgpr16_vgpr17
.LBB14_1811:                            ;   in Loop: Header=BB14_17 Depth=1
	s_and_not1_saveexec_b32 s13, s13
	s_cbranch_execz .LBB14_1825
; %bb.1812:                             ;   in Loop: Header=BB14_17 Depth=1
	s_mov_b32 s14, exec_lo
                                        ; implicit-def: $vgpr14
	v_cmpx_lt_i16_e32 26, v19
	s_xor_b32 s14, exec_lo, s14
	s_cbranch_execz .LBB14_1818
; %bb.1813:                             ;   in Loop: Header=BB14_17 Depth=1
	s_mov_b32 s15, exec_lo
                                        ; implicit-def: $vgpr14
	v_cmpx_lt_i16_e32 27, v19
	s_xor_b32 s15, exec_lo, s15
	s_cbranch_execz .LBB14_1815
; %bb.1814:                             ;   in Loop: Header=BB14_17 Depth=1
	flat_load_b32 v14, v[16:17]
                                        ; implicit-def: $vgpr16_vgpr17
	s_wait_loadcnt_dscnt 0x0
	v_cvt_f32_u32_e32 v14, v14
.LBB14_1815:                            ;   in Loop: Header=BB14_17 Depth=1
	s_wait_xcnt 0x0
	s_and_not1_saveexec_b32 s15, s15
	s_cbranch_execz .LBB14_1817
; %bb.1816:                             ;   in Loop: Header=BB14_17 Depth=1
	flat_load_u16 v14, v[16:17]
	s_wait_loadcnt_dscnt 0x0
	v_cvt_f32_u32_e32 v14, v14
.LBB14_1817:                            ;   in Loop: Header=BB14_17 Depth=1
	s_wait_xcnt 0x0
	s_or_b32 exec_lo, exec_lo, s15
                                        ; implicit-def: $vgpr16_vgpr17
.LBB14_1818:                            ;   in Loop: Header=BB14_17 Depth=1
	s_and_not1_saveexec_b32 s14, s14
	s_cbranch_execz .LBB14_1824
; %bb.1819:                             ;   in Loop: Header=BB14_17 Depth=1
	flat_load_u8 v16, v[16:17]
	s_mov_b32 s15, 0
	s_mov_b32 s16, exec_lo
	s_wait_loadcnt_dscnt 0x0
	v_cmpx_lt_i16_e32 0x7f, v16
	s_xor_b32 s16, exec_lo, s16
	s_cbranch_execnz .LBB14_2306
; %bb.1820:                             ;   in Loop: Header=BB14_17 Depth=1
	s_or_saveexec_b32 s16, s16
	v_mov_b32_e32 v14, 0x7f800001
	s_xor_b32 exec_lo, exec_lo, s16
	s_cbranch_execnz .LBB14_2309
.LBB14_1821:                            ;   in Loop: Header=BB14_17 Depth=1
	s_or_b32 exec_lo, exec_lo, s16
	s_and_saveexec_b32 s16, s15
	s_cbranch_execz .LBB14_1823
.LBB14_1822:                            ;   in Loop: Header=BB14_17 Depth=1
	v_and_b32_e32 v14, 0xffff, v16
	s_delay_alu instid0(VALU_DEP_1) | instskip(SKIP_1) | instid1(VALU_DEP_2)
	v_and_b32_e32 v17, 7, v14
	v_bfe_u32 v21, v14, 3, 4
	v_clz_i32_u32_e32 v19, v17
	s_delay_alu instid0(VALU_DEP_2) | instskip(NEXT) | instid1(VALU_DEP_2)
	v_cmp_eq_u32_e32 vcc_lo, 0, v21
	v_min_u32_e32 v19, 32, v19
	s_delay_alu instid0(VALU_DEP_1) | instskip(NEXT) | instid1(VALU_DEP_1)
	v_subrev_nc_u32_e32 v20, 28, v19
	v_dual_lshlrev_b32 v14, v20, v14 :: v_dual_sub_nc_u32 v19, 29, v19
	s_delay_alu instid0(VALU_DEP_1) | instskip(NEXT) | instid1(VALU_DEP_2)
	v_dual_lshlrev_b32 v16, 24, v16 :: v_dual_bitop2_b32 v14, 7, v14 bitop3:0x40
	v_cndmask_b32_e32 v19, v21, v19, vcc_lo
	s_delay_alu instid0(VALU_DEP_2) | instskip(NEXT) | instid1(VALU_DEP_3)
	v_cndmask_b32_e32 v14, v17, v14, vcc_lo
	v_and_b32_e32 v16, 0x80000000, v16
	s_delay_alu instid0(VALU_DEP_3) | instskip(NEXT) | instid1(VALU_DEP_3)
	v_lshl_add_u32 v17, v19, 23, 0x3b800000
	v_lshlrev_b32_e32 v14, 20, v14
	s_delay_alu instid0(VALU_DEP_1)
	v_or3_b32 v14, v16, v17, v14
.LBB14_1823:                            ;   in Loop: Header=BB14_17 Depth=1
	s_or_b32 exec_lo, exec_lo, s16
.LBB14_1824:                            ;   in Loop: Header=BB14_17 Depth=1
	s_delay_alu instid0(SALU_CYCLE_1) | instskip(NEXT) | instid1(SALU_CYCLE_1)
	s_or_b32 exec_lo, exec_lo, s14
	s_or_b32 s12, s12, exec_lo
.LBB14_1825:                            ;   in Loop: Header=BB14_17 Depth=1
	s_or_b32 exec_lo, exec_lo, s13
	s_delay_alu instid0(SALU_CYCLE_1)
	s_and_b32 s12, s12, exec_lo
                                        ; implicit-def: $vgpr19
                                        ; implicit-def: $vgpr16_vgpr17
.LBB14_1826:                            ;   in Loop: Header=BB14_17 Depth=1
	s_and_not1_saveexec_b32 s11, s11
	s_cbranch_execz .LBB14_1852
; %bb.1827:                             ;   in Loop: Header=BB14_17 Depth=1
	s_mov_b32 s14, s12
	s_mov_b32 s13, exec_lo
                                        ; implicit-def: $vgpr14
	v_cmpx_lt_i16_e32 22, v19
	s_xor_b32 s13, exec_lo, s13
	s_cbranch_execz .LBB14_1841
; %bb.1828:                             ;   in Loop: Header=BB14_17 Depth=1
	s_mov_b32 s14, exec_lo
                                        ; implicit-def: $vgpr14
	v_cmpx_lt_i16_e32 23, v19
	s_xor_b32 s14, exec_lo, s14
	s_cbranch_execz .LBB14_1838
; %bb.1829:                             ;   in Loop: Header=BB14_17 Depth=1
	;; [unrolled: 6-line block ×3, first 2 shown]
	flat_load_u8 v16, v[16:17]
	s_mov_b32 s16, 0
	s_mov_b32 s17, exec_lo
	s_wait_loadcnt_dscnt 0x0
	v_cmpx_lt_i16_e32 0x7f, v16
	s_xor_b32 s17, exec_lo, s17
	s_cbranch_execnz .LBB14_2418
; %bb.1831:                             ;   in Loop: Header=BB14_17 Depth=1
	s_or_saveexec_b32 s17, s17
	v_mov_b32_e32 v14, 0x7f800001
	s_xor_b32 exec_lo, exec_lo, s17
	s_cbranch_execnz .LBB14_2421
.LBB14_1832:                            ;   in Loop: Header=BB14_17 Depth=1
	s_or_b32 exec_lo, exec_lo, s17
	s_and_saveexec_b32 s17, s16
	s_cbranch_execz .LBB14_1834
.LBB14_1833:                            ;   in Loop: Header=BB14_17 Depth=1
	v_and_b32_e32 v14, 0xffff, v16
	s_delay_alu instid0(VALU_DEP_1) | instskip(SKIP_1) | instid1(VALU_DEP_2)
	v_and_b32_e32 v17, 3, v14
	v_bfe_u32 v21, v14, 2, 5
	v_clz_i32_u32_e32 v19, v17
	s_delay_alu instid0(VALU_DEP_2) | instskip(NEXT) | instid1(VALU_DEP_2)
	v_cmp_eq_u32_e32 vcc_lo, 0, v21
	v_min_u32_e32 v19, 32, v19
	s_delay_alu instid0(VALU_DEP_1) | instskip(NEXT) | instid1(VALU_DEP_1)
	v_subrev_nc_u32_e32 v20, 29, v19
	v_dual_lshlrev_b32 v14, v20, v14 :: v_dual_sub_nc_u32 v19, 30, v19
	s_delay_alu instid0(VALU_DEP_1) | instskip(NEXT) | instid1(VALU_DEP_2)
	v_dual_lshlrev_b32 v16, 24, v16 :: v_dual_bitop2_b32 v14, 3, v14 bitop3:0x40
	v_cndmask_b32_e32 v19, v21, v19, vcc_lo
	s_delay_alu instid0(VALU_DEP_2) | instskip(NEXT) | instid1(VALU_DEP_3)
	v_cndmask_b32_e32 v14, v17, v14, vcc_lo
	v_and_b32_e32 v16, 0x80000000, v16
	s_delay_alu instid0(VALU_DEP_3) | instskip(NEXT) | instid1(VALU_DEP_3)
	v_lshl_add_u32 v17, v19, 23, 0x37800000
	v_lshlrev_b32_e32 v14, 21, v14
	s_delay_alu instid0(VALU_DEP_1)
	v_or3_b32 v14, v16, v17, v14
.LBB14_1834:                            ;   in Loop: Header=BB14_17 Depth=1
	s_or_b32 exec_lo, exec_lo, s17
                                        ; implicit-def: $vgpr16_vgpr17
.LBB14_1835:                            ;   in Loop: Header=BB14_17 Depth=1
	s_and_not1_saveexec_b32 s15, s15
	s_cbranch_execz .LBB14_1837
; %bb.1836:                             ;   in Loop: Header=BB14_17 Depth=1
	flat_load_u8 v14, v[16:17]
	s_wait_loadcnt_dscnt 0x0
	v_lshlrev_b32_e32 v14, 24, v14
	s_wait_xcnt 0x0
	s_delay_alu instid0(VALU_DEP_1) | instskip(NEXT) | instid1(VALU_DEP_1)
	v_and_b32_e32 v16, 0x7f000000, v14
	v_clz_i32_u32_e32 v17, v16
	v_add_nc_u32_e32 v20, 0x1000000, v16
	v_cmp_ne_u32_e32 vcc_lo, 0, v16
	s_delay_alu instid0(VALU_DEP_3) | instskip(NEXT) | instid1(VALU_DEP_1)
	v_min_u32_e32 v17, 32, v17
	v_sub_nc_u32_e64 v17, v17, 4 clamp
	s_delay_alu instid0(VALU_DEP_1) | instskip(NEXT) | instid1(VALU_DEP_1)
	v_dual_lshlrev_b32 v19, v17, v16 :: v_dual_lshlrev_b32 v17, 23, v17
	v_lshrrev_b32_e32 v19, 4, v19
	s_delay_alu instid0(VALU_DEP_1) | instskip(NEXT) | instid1(VALU_DEP_1)
	v_dual_sub_nc_u32 v17, v19, v17 :: v_dual_ashrrev_i32 v19, 8, v20
	v_add_nc_u32_e32 v17, 0x3c000000, v17
	s_delay_alu instid0(VALU_DEP_1) | instskip(NEXT) | instid1(VALU_DEP_1)
	v_and_or_b32 v17, 0x7f800000, v19, v17
	v_cndmask_b32_e32 v16, 0, v17, vcc_lo
	s_delay_alu instid0(VALU_DEP_1)
	v_and_or_b32 v14, 0x80000000, v14, v16
.LBB14_1837:                            ;   in Loop: Header=BB14_17 Depth=1
	s_or_b32 exec_lo, exec_lo, s15
                                        ; implicit-def: $vgpr16_vgpr17
.LBB14_1838:                            ;   in Loop: Header=BB14_17 Depth=1
	s_and_not1_saveexec_b32 s14, s14
	s_cbranch_execz .LBB14_1840
; %bb.1839:                             ;   in Loop: Header=BB14_17 Depth=1
	flat_load_u8 v14, v[16:17]
	s_wait_loadcnt_dscnt 0x0
	v_lshlrev_b32_e32 v16, 25, v14
	v_lshlrev_b16 v14, 8, v14
	s_delay_alu instid0(VALU_DEP_1) | instskip(SKIP_1) | instid1(VALU_DEP_2)
	v_and_or_b32 v19, 0x7f00, v14, 0.5
	v_bfe_i32 v14, v14, 0, 16
	v_dual_add_f32 v19, -0.5, v19 :: v_dual_lshrrev_b32 v17, 4, v16
	v_cmp_gt_u32_e32 vcc_lo, 0x8000000, v16
	s_delay_alu instid0(VALU_DEP_2) | instskip(NEXT) | instid1(VALU_DEP_1)
	v_or_b32_e32 v17, 0x70000000, v17
	v_mul_f32_e32 v17, 0x7800000, v17
	s_delay_alu instid0(VALU_DEP_1) | instskip(NEXT) | instid1(VALU_DEP_1)
	v_cndmask_b32_e32 v16, v17, v19, vcc_lo
	v_and_or_b32 v14, 0x80000000, v14, v16
.LBB14_1840:                            ;   in Loop: Header=BB14_17 Depth=1
	s_or_b32 exec_lo, exec_lo, s14
	s_delay_alu instid0(SALU_CYCLE_1)
	s_or_b32 s14, s12, exec_lo
                                        ; implicit-def: $vgpr19
                                        ; implicit-def: $vgpr16_vgpr17
.LBB14_1841:                            ;   in Loop: Header=BB14_17 Depth=1
	s_and_not1_saveexec_b32 s13, s13
	s_cbranch_execz .LBB14_1851
; %bb.1842:                             ;   in Loop: Header=BB14_17 Depth=1
	s_mov_b32 s15, s14
	s_mov_b32 s16, exec_lo
                                        ; implicit-def: $vgpr14
	v_cmpx_lt_i16_e32 14, v19
	s_xor_b32 s16, exec_lo, s16
	s_cbranch_execz .LBB14_1846
; %bb.1843:                             ;   in Loop: Header=BB14_17 Depth=1
	s_mov_b32 s15, s14
	s_mov_b32 s17, exec_lo
                                        ; implicit-def: $vgpr14
	v_cmpx_eq_u16_e32 15, v19
	s_cbranch_execz .LBB14_1845
; %bb.1844:                             ;   in Loop: Header=BB14_17 Depth=1
	flat_load_u16 v14, v[16:17]
	s_or_b32 s15, s14, exec_lo
	s_wait_loadcnt_dscnt 0x0
	v_lshlrev_b32_e32 v14, 16, v14
.LBB14_1845:                            ;   in Loop: Header=BB14_17 Depth=1
	s_wait_xcnt 0x0
	s_or_b32 exec_lo, exec_lo, s17
	s_delay_alu instid0(SALU_CYCLE_1) | instskip(SKIP_1) | instid1(SALU_CYCLE_1)
	s_and_not1_b32 s17, s14, exec_lo
	s_and_b32 s15, s15, exec_lo
                                        ; implicit-def: $vgpr19
                                        ; implicit-def: $vgpr16_vgpr17
	s_or_b32 s15, s17, s15
.LBB14_1846:                            ;   in Loop: Header=BB14_17 Depth=1
	s_and_not1_saveexec_b32 s16, s16
	s_cbranch_execz .LBB14_1850
; %bb.1847:                             ;   in Loop: Header=BB14_17 Depth=1
	s_mov_b32 s17, s15
	s_mov_b32 s18, exec_lo
                                        ; implicit-def: $vgpr14
	v_cmpx_eq_u16_e32 11, v19
	s_cbranch_execz .LBB14_1849
; %bb.1848:                             ;   in Loop: Header=BB14_17 Depth=1
	flat_load_u8 v14, v[16:17]
	s_or_b32 s17, s15, exec_lo
	s_wait_loadcnt_dscnt 0x0
	v_cmp_ne_u16_e32 vcc_lo, 0, v14
	v_cndmask_b32_e64 v14, 0, 1.0, vcc_lo
.LBB14_1849:                            ;   in Loop: Header=BB14_17 Depth=1
	s_wait_xcnt 0x0
	s_or_b32 exec_lo, exec_lo, s18
	s_delay_alu instid0(SALU_CYCLE_1) | instskip(SKIP_1) | instid1(SALU_CYCLE_1)
	s_and_not1_b32 s15, s15, exec_lo
	s_and_b32 s17, s17, exec_lo
	s_or_b32 s15, s15, s17
.LBB14_1850:                            ;   in Loop: Header=BB14_17 Depth=1
	s_or_b32 exec_lo, exec_lo, s16
	s_delay_alu instid0(SALU_CYCLE_1) | instskip(SKIP_1) | instid1(SALU_CYCLE_1)
	s_and_not1_b32 s14, s14, exec_lo
	s_and_b32 s15, s15, exec_lo
	s_or_b32 s14, s14, s15
.LBB14_1851:                            ;   in Loop: Header=BB14_17 Depth=1
	s_or_b32 exec_lo, exec_lo, s13
	s_delay_alu instid0(SALU_CYCLE_1) | instskip(SKIP_1) | instid1(SALU_CYCLE_1)
	s_and_not1_b32 s12, s12, exec_lo
	s_and_b32 s13, s14, exec_lo
	s_or_b32 s12, s12, s13
.LBB14_1852:                            ;   in Loop: Header=BB14_17 Depth=1
	s_or_b32 exec_lo, exec_lo, s11
	s_delay_alu instid0(SALU_CYCLE_1)
	s_and_b32 s11, s12, exec_lo
                                        ; implicit-def: $vgpr19
                                        ; implicit-def: $vgpr16_vgpr17
	s_and_not1_saveexec_b32 s10, s10
	s_cbranch_execz .LBB14_123
.LBB14_1853:                            ;   in Loop: Header=BB14_17 Depth=1
	s_mov_b32 s12, exec_lo
                                        ; implicit-def: $vgpr14
	v_cmpx_lt_i16_e32 4, v19
	s_xor_b32 s12, exec_lo, s12
	s_cbranch_execz .LBB14_1875
; %bb.1854:                             ;   in Loop: Header=BB14_17 Depth=1
	s_mov_b32 s13, exec_lo
                                        ; implicit-def: $vgpr14
	v_cmpx_lt_i16_e32 7, v19
	s_xor_b32 s13, exec_lo, s13
	s_cbranch_execz .LBB14_1864
; %bb.1855:                             ;   in Loop: Header=BB14_17 Depth=1
	;; [unrolled: 6-line block ×4, first 2 shown]
	flat_load_b64 v[16:17], v[16:17]
	s_wait_loadcnt_dscnt 0x0
	v_cvt_f32_f64_e32 v14, v[16:17]
                                        ; implicit-def: $vgpr16_vgpr17
.LBB14_1858:                            ;   in Loop: Header=BB14_17 Depth=1
	s_wait_xcnt 0x0
	s_and_not1_saveexec_b32 s15, s15
	s_cbranch_execz .LBB14_1860
; %bb.1859:                             ;   in Loop: Header=BB14_17 Depth=1
	flat_load_b32 v14, v[16:17]
.LBB14_1860:                            ;   in Loop: Header=BB14_17 Depth=1
	s_wait_xcnt 0x0
	s_or_b32 exec_lo, exec_lo, s15
                                        ; implicit-def: $vgpr16_vgpr17
.LBB14_1861:                            ;   in Loop: Header=BB14_17 Depth=1
	s_and_not1_saveexec_b32 s14, s14
	s_cbranch_execz .LBB14_1863
; %bb.1862:                             ;   in Loop: Header=BB14_17 Depth=1
	s_wait_loadcnt_dscnt 0x0
	flat_load_b32 v14, v[16:17]
	s_wait_loadcnt_dscnt 0x0
	v_cvt_f32_f16_e32 v14, v14
.LBB14_1863:                            ;   in Loop: Header=BB14_17 Depth=1
	s_wait_xcnt 0x0
	s_or_b32 exec_lo, exec_lo, s14
                                        ; implicit-def: $vgpr16_vgpr17
                                        ; implicit-def: $vgpr19
.LBB14_1864:                            ;   in Loop: Header=BB14_17 Depth=1
	s_and_not1_saveexec_b32 s13, s13
	s_cbranch_execz .LBB14_1874
; %bb.1865:                             ;   in Loop: Header=BB14_17 Depth=1
	s_mov_b32 s14, exec_lo
                                        ; implicit-def: $vgpr14
	v_cmpx_lt_i16_e32 5, v19
	s_xor_b32 s14, exec_lo, s14
	s_cbranch_execz .LBB14_1871
; %bb.1866:                             ;   in Loop: Header=BB14_17 Depth=1
	s_mov_b32 s15, exec_lo
                                        ; implicit-def: $vgpr14
	v_cmpx_lt_i16_e32 6, v19
	s_xor_b32 s15, exec_lo, s15
	s_cbranch_execz .LBB14_1868
; %bb.1867:                             ;   in Loop: Header=BB14_17 Depth=1
	flat_load_b64 v[16:17], v[16:17]
	s_wait_loadcnt_dscnt 0x0
	v_cvt_f32_f64_e32 v14, v[16:17]
                                        ; implicit-def: $vgpr16_vgpr17
.LBB14_1868:                            ;   in Loop: Header=BB14_17 Depth=1
	s_wait_xcnt 0x0
	s_and_not1_saveexec_b32 s15, s15
	s_cbranch_execz .LBB14_1870
; %bb.1869:                             ;   in Loop: Header=BB14_17 Depth=1
	s_wait_loadcnt_dscnt 0x0
	flat_load_b32 v14, v[16:17]
.LBB14_1870:                            ;   in Loop: Header=BB14_17 Depth=1
	s_wait_xcnt 0x0
	s_or_b32 exec_lo, exec_lo, s15
                                        ; implicit-def: $vgpr16_vgpr17
.LBB14_1871:                            ;   in Loop: Header=BB14_17 Depth=1
	s_and_not1_saveexec_b32 s14, s14
	s_cbranch_execz .LBB14_1873
; %bb.1872:                             ;   in Loop: Header=BB14_17 Depth=1
	s_wait_loadcnt_dscnt 0x0
	flat_load_u16 v14, v[16:17]
	s_wait_loadcnt_dscnt 0x0
	v_cvt_f32_f16_e32 v14, v14
.LBB14_1873:                            ;   in Loop: Header=BB14_17 Depth=1
	s_wait_xcnt 0x0
	s_or_b32 exec_lo, exec_lo, s14
.LBB14_1874:                            ;   in Loop: Header=BB14_17 Depth=1
	s_delay_alu instid0(SALU_CYCLE_1)
	s_or_b32 exec_lo, exec_lo, s13
                                        ; implicit-def: $vgpr19
                                        ; implicit-def: $vgpr16_vgpr17
.LBB14_1875:                            ;   in Loop: Header=BB14_17 Depth=1
	s_and_not1_saveexec_b32 s12, s12
	s_cbranch_execz .LBB14_1893
; %bb.1876:                             ;   in Loop: Header=BB14_17 Depth=1
	s_mov_b32 s13, exec_lo
                                        ; implicit-def: $vgpr14
	v_cmpx_lt_i16_e32 1, v19
	s_xor_b32 s13, exec_lo, s13
	s_cbranch_execz .LBB14_1886
; %bb.1877:                             ;   in Loop: Header=BB14_17 Depth=1
	s_mov_b32 s14, exec_lo
                                        ; implicit-def: $vgpr14
	v_cmpx_lt_i16_e32 2, v19
	s_xor_b32 s14, exec_lo, s14
	;; [unrolled: 6-line block ×3, first 2 shown]
	s_cbranch_execz .LBB14_1880
; %bb.1879:                             ;   in Loop: Header=BB14_17 Depth=1
	flat_load_b64 v[16:17], v[16:17]
	s_wait_loadcnt_dscnt 0x0
	v_xor_b32_e32 v14, v16, v17
	v_cls_i32_e32 v19, v17
	s_delay_alu instid0(VALU_DEP_2) | instskip(NEXT) | instid1(VALU_DEP_1)
	v_ashrrev_i32_e32 v14, 31, v14
	v_add_nc_u32_e32 v14, 32, v14
	s_delay_alu instid0(VALU_DEP_1) | instskip(SKIP_1) | instid1(VALU_DEP_1)
	v_add_min_u32_e64 v14, v19, -1, v14
	s_wait_xcnt 0x0
	v_lshlrev_b64_e32 v[16:17], v14, v[16:17]
	v_sub_nc_u32_e32 v14, 32, v14
	s_delay_alu instid0(VALU_DEP_2) | instskip(NEXT) | instid1(VALU_DEP_1)
	v_min_u32_e32 v16, 1, v16
	v_or_b32_e32 v16, v17, v16
	s_delay_alu instid0(VALU_DEP_1) | instskip(NEXT) | instid1(VALU_DEP_1)
	v_cvt_f32_i32_e32 v16, v16
	v_ldexp_f32 v14, v16, v14
                                        ; implicit-def: $vgpr16_vgpr17
.LBB14_1880:                            ;   in Loop: Header=BB14_17 Depth=1
	s_and_not1_saveexec_b32 s15, s15
	s_cbranch_execz .LBB14_1882
; %bb.1881:                             ;   in Loop: Header=BB14_17 Depth=1
	s_wait_loadcnt_dscnt 0x0
	flat_load_b32 v14, v[16:17]
	s_wait_loadcnt_dscnt 0x0
	v_cvt_f32_i32_e32 v14, v14
.LBB14_1882:                            ;   in Loop: Header=BB14_17 Depth=1
	s_wait_xcnt 0x0
	s_or_b32 exec_lo, exec_lo, s15
                                        ; implicit-def: $vgpr16_vgpr17
.LBB14_1883:                            ;   in Loop: Header=BB14_17 Depth=1
	s_and_not1_saveexec_b32 s14, s14
	s_cbranch_execz .LBB14_1885
; %bb.1884:                             ;   in Loop: Header=BB14_17 Depth=1
	s_wait_loadcnt_dscnt 0x0
	flat_load_i16 v14, v[16:17]
	s_wait_loadcnt_dscnt 0x0
	v_cvt_f32_i32_e32 v14, v14
.LBB14_1885:                            ;   in Loop: Header=BB14_17 Depth=1
	s_wait_xcnt 0x0
	s_or_b32 exec_lo, exec_lo, s14
                                        ; implicit-def: $vgpr16_vgpr17
                                        ; implicit-def: $vgpr19
.LBB14_1886:                            ;   in Loop: Header=BB14_17 Depth=1
	s_and_not1_saveexec_b32 s13, s13
	s_cbranch_execz .LBB14_1892
; %bb.1887:                             ;   in Loop: Header=BB14_17 Depth=1
	s_mov_b32 s14, exec_lo
                                        ; implicit-def: $vgpr14
	v_cmpx_lt_i16_e32 0, v19
	s_xor_b32 s14, exec_lo, s14
	s_cbranch_execz .LBB14_1889
; %bb.1888:                             ;   in Loop: Header=BB14_17 Depth=1
	s_wait_loadcnt_dscnt 0x0
	flat_load_i8 v14, v[16:17]
                                        ; implicit-def: $vgpr16_vgpr17
	s_wait_loadcnt_dscnt 0x0
	v_cvt_f32_i32_e32 v14, v14
.LBB14_1889:                            ;   in Loop: Header=BB14_17 Depth=1
	s_wait_xcnt 0x0
	s_and_not1_saveexec_b32 s14, s14
	s_cbranch_execz .LBB14_1891
; %bb.1890:                             ;   in Loop: Header=BB14_17 Depth=1
	s_wait_loadcnt_dscnt 0x0
	flat_load_u8 v14, v[16:17]
	s_wait_loadcnt_dscnt 0x0
	v_cvt_f32_ubyte0_e32 v14, v14
.LBB14_1891:                            ;   in Loop: Header=BB14_17 Depth=1
	s_wait_xcnt 0x0
	s_or_b32 exec_lo, exec_lo, s14
.LBB14_1892:                            ;   in Loop: Header=BB14_17 Depth=1
	s_delay_alu instid0(SALU_CYCLE_1)
	s_or_b32 exec_lo, exec_lo, s13
.LBB14_1893:                            ;   in Loop: Header=BB14_17 Depth=1
	s_delay_alu instid0(SALU_CYCLE_1) | instskip(NEXT) | instid1(SALU_CYCLE_1)
	s_or_b32 exec_lo, exec_lo, s12
	s_or_b32 s11, s11, exec_lo
	s_or_b32 exec_lo, exec_lo, s10
	s_mov_b32 s12, 0
	s_and_saveexec_b32 s10, s11
	s_cbranch_execnz .LBB14_124
	s_branch .LBB14_125
.LBB14_1894:                            ;   in Loop: Header=BB14_17 Depth=1
	s_mov_b32 s13, exec_lo
                                        ; implicit-def: $vgpr14
	v_cmpx_lt_i16_e32 25, v19
	s_xor_b32 s13, exec_lo, s13
	s_cbranch_execz .LBB14_1926
; %bb.1895:                             ;   in Loop: Header=BB14_17 Depth=1
	s_mov_b32 s15, exec_lo
                                        ; implicit-def: $vgpr14
	v_cmpx_lt_i16_e32 28, v19
	s_xor_b32 s15, exec_lo, s15
	s_cbranch_execz .LBB14_1911
; %bb.1896:                             ;   in Loop: Header=BB14_17 Depth=1
	s_mov_b32 s16, 0
	s_mov_b32 s14, exec_lo
                                        ; implicit-def: $vgpr14
	v_cmpx_lt_i16_e32 43, v19
	s_xor_b32 s14, exec_lo, s14
	s_cbranch_execz .LBB14_1906
; %bb.1897:                             ;   in Loop: Header=BB14_17 Depth=1
	s_mov_b32 s17, exec_lo
                                        ; implicit-def: $vgpr14
	v_cmpx_lt_i16_e32 45, v19
	s_xor_b32 s17, exec_lo, s17
	s_cbranch_execz .LBB14_1901
; %bb.1898:                             ;   in Loop: Header=BB14_17 Depth=1
	s_mov_b32 s18, exec_lo
                                        ; implicit-def: $vgpr14
	v_cmpx_eq_u16_e32 46, v19
	s_cbranch_execz .LBB14_1900
; %bb.1899:                             ;   in Loop: Header=BB14_17 Depth=1
	flat_load_b32 v14, v[16:17]
	s_mov_b32 s16, exec_lo
	s_wait_loadcnt_dscnt 0x0
	v_lshlrev_b32_e32 v14, 16, v14
.LBB14_1900:                            ;   in Loop: Header=BB14_17 Depth=1
	s_wait_xcnt 0x0
	s_or_b32 exec_lo, exec_lo, s18
	s_delay_alu instid0(SALU_CYCLE_1)
	s_and_b32 s16, s16, exec_lo
                                        ; implicit-def: $vgpr19
                                        ; implicit-def: $vgpr16_vgpr17
.LBB14_1901:                            ;   in Loop: Header=BB14_17 Depth=1
	s_and_not1_saveexec_b32 s17, s17
	s_cbranch_execz .LBB14_1905
; %bb.1902:                             ;   in Loop: Header=BB14_17 Depth=1
	s_mov_b32 s19, s16
	s_mov_b32 s18, exec_lo
                                        ; implicit-def: $vgpr14
	v_cmpx_eq_u16_e32 44, v19
	s_cbranch_execz .LBB14_1904
; %bb.1903:                             ;   in Loop: Header=BB14_17 Depth=1
	flat_load_u8 v14, v[16:17]
	s_or_b32 s19, s16, exec_lo
	s_wait_loadcnt_dscnt 0x0
	v_lshlrev_b32_e32 v16, 23, v14
	v_cmp_ne_u32_e32 vcc_lo, 0xff, v14
	s_delay_alu instid0(VALU_DEP_2) | instskip(SKIP_1) | instid1(VALU_DEP_2)
	v_cndmask_b32_e32 v16, 0x7f800001, v16, vcc_lo
	v_cmp_ne_u32_e32 vcc_lo, 0, v14
	v_cndmask_b32_e32 v14, 0x400000, v16, vcc_lo
.LBB14_1904:                            ;   in Loop: Header=BB14_17 Depth=1
	s_or_b32 exec_lo, exec_lo, s18
	s_delay_alu instid0(SALU_CYCLE_1) | instskip(SKIP_1) | instid1(SALU_CYCLE_1)
	s_and_not1_b32 s16, s16, exec_lo
	s_and_b32 s18, s19, exec_lo
	s_or_b32 s16, s16, s18
.LBB14_1905:                            ;   in Loop: Header=BB14_17 Depth=1
	s_or_b32 exec_lo, exec_lo, s17
	s_delay_alu instid0(SALU_CYCLE_1)
	s_and_b32 s16, s16, exec_lo
                                        ; implicit-def: $vgpr19
                                        ; implicit-def: $vgpr16_vgpr17
.LBB14_1906:                            ;   in Loop: Header=BB14_17 Depth=1
	s_and_not1_saveexec_b32 s14, s14
	s_cbranch_execz .LBB14_1910
; %bb.1907:                             ;   in Loop: Header=BB14_17 Depth=1
	s_mov_b32 s18, s16
	s_mov_b32 s17, exec_lo
                                        ; implicit-def: $vgpr14
	v_cmpx_eq_u16_e32 29, v19
	s_cbranch_execz .LBB14_1909
; %bb.1908:                             ;   in Loop: Header=BB14_17 Depth=1
	flat_load_b64 v[16:17], v[16:17]
	s_or_b32 s18, s16, exec_lo
	s_wait_loadcnt_dscnt 0x0
	v_clz_i32_u32_e32 v14, v17
	s_delay_alu instid0(VALU_DEP_1) | instskip(SKIP_1) | instid1(VALU_DEP_1)
	v_min_u32_e32 v14, 32, v14
	s_wait_xcnt 0x0
	v_lshlrev_b64_e32 v[16:17], v14, v[16:17]
	v_sub_nc_u32_e32 v14, 32, v14
	s_delay_alu instid0(VALU_DEP_2) | instskip(NEXT) | instid1(VALU_DEP_1)
	v_min_u32_e32 v16, 1, v16
	v_or_b32_e32 v16, v17, v16
	s_delay_alu instid0(VALU_DEP_1) | instskip(NEXT) | instid1(VALU_DEP_1)
	v_cvt_f32_u32_e32 v16, v16
	v_ldexp_f32 v14, v16, v14
.LBB14_1909:                            ;   in Loop: Header=BB14_17 Depth=1
	s_or_b32 exec_lo, exec_lo, s17
	s_delay_alu instid0(SALU_CYCLE_1) | instskip(SKIP_1) | instid1(SALU_CYCLE_1)
	s_and_not1_b32 s16, s16, exec_lo
	s_and_b32 s17, s18, exec_lo
	s_or_b32 s16, s16, s17
.LBB14_1910:                            ;   in Loop: Header=BB14_17 Depth=1
	s_or_b32 exec_lo, exec_lo, s14
	s_delay_alu instid0(SALU_CYCLE_1)
	s_and_b32 s14, s16, exec_lo
                                        ; implicit-def: $vgpr19
                                        ; implicit-def: $vgpr16_vgpr17
.LBB14_1911:                            ;   in Loop: Header=BB14_17 Depth=1
	s_and_not1_saveexec_b32 s15, s15
	s_cbranch_execz .LBB14_1925
; %bb.1912:                             ;   in Loop: Header=BB14_17 Depth=1
	s_mov_b32 s16, exec_lo
                                        ; implicit-def: $vgpr14
	v_cmpx_lt_i16_e32 26, v19
	s_xor_b32 s16, exec_lo, s16
	s_cbranch_execz .LBB14_1918
; %bb.1913:                             ;   in Loop: Header=BB14_17 Depth=1
	s_mov_b32 s17, exec_lo
                                        ; implicit-def: $vgpr14
	v_cmpx_lt_i16_e32 27, v19
	s_xor_b32 s17, exec_lo, s17
	s_cbranch_execz .LBB14_1915
; %bb.1914:                             ;   in Loop: Header=BB14_17 Depth=1
	flat_load_b32 v14, v[16:17]
                                        ; implicit-def: $vgpr16_vgpr17
	s_wait_loadcnt_dscnt 0x0
	v_cvt_f32_u32_e32 v14, v14
.LBB14_1915:                            ;   in Loop: Header=BB14_17 Depth=1
	s_wait_xcnt 0x0
	s_and_not1_saveexec_b32 s17, s17
	s_cbranch_execz .LBB14_1917
; %bb.1916:                             ;   in Loop: Header=BB14_17 Depth=1
	flat_load_u16 v14, v[16:17]
	s_wait_loadcnt_dscnt 0x0
	v_cvt_f32_u32_e32 v14, v14
.LBB14_1917:                            ;   in Loop: Header=BB14_17 Depth=1
	s_wait_xcnt 0x0
	s_or_b32 exec_lo, exec_lo, s17
                                        ; implicit-def: $vgpr16_vgpr17
.LBB14_1918:                            ;   in Loop: Header=BB14_17 Depth=1
	s_and_not1_saveexec_b32 s16, s16
	s_cbranch_execz .LBB14_1924
; %bb.1919:                             ;   in Loop: Header=BB14_17 Depth=1
	flat_load_u8 v16, v[16:17]
	s_mov_b32 s17, 0
	s_mov_b32 s18, exec_lo
	s_wait_loadcnt_dscnt 0x0
	v_cmpx_lt_i16_e32 0x7f, v16
	s_xor_b32 s18, exec_lo, s18
	s_cbranch_execnz .LBB14_2422
; %bb.1920:                             ;   in Loop: Header=BB14_17 Depth=1
	s_or_saveexec_b32 s18, s18
	v_mov_b32_e32 v14, 0x7f800001
	s_xor_b32 exec_lo, exec_lo, s18
	s_cbranch_execnz .LBB14_2425
.LBB14_1921:                            ;   in Loop: Header=BB14_17 Depth=1
	s_or_b32 exec_lo, exec_lo, s18
	s_and_saveexec_b32 s18, s17
	s_cbranch_execz .LBB14_1923
.LBB14_1922:                            ;   in Loop: Header=BB14_17 Depth=1
	v_and_b32_e32 v14, 0xffff, v16
	s_delay_alu instid0(VALU_DEP_1) | instskip(SKIP_1) | instid1(VALU_DEP_2)
	v_and_b32_e32 v17, 7, v14
	v_bfe_u32 v21, v14, 3, 4
	v_clz_i32_u32_e32 v19, v17
	s_delay_alu instid0(VALU_DEP_2) | instskip(NEXT) | instid1(VALU_DEP_2)
	v_cmp_eq_u32_e32 vcc_lo, 0, v21
	v_min_u32_e32 v19, 32, v19
	s_delay_alu instid0(VALU_DEP_1) | instskip(NEXT) | instid1(VALU_DEP_1)
	v_subrev_nc_u32_e32 v20, 28, v19
	v_dual_lshlrev_b32 v14, v20, v14 :: v_dual_sub_nc_u32 v19, 29, v19
	s_delay_alu instid0(VALU_DEP_1) | instskip(NEXT) | instid1(VALU_DEP_2)
	v_dual_lshlrev_b32 v16, 24, v16 :: v_dual_bitop2_b32 v14, 7, v14 bitop3:0x40
	v_cndmask_b32_e32 v19, v21, v19, vcc_lo
	s_delay_alu instid0(VALU_DEP_2) | instskip(NEXT) | instid1(VALU_DEP_3)
	v_cndmask_b32_e32 v14, v17, v14, vcc_lo
	v_and_b32_e32 v16, 0x80000000, v16
	s_delay_alu instid0(VALU_DEP_3) | instskip(NEXT) | instid1(VALU_DEP_3)
	v_lshl_add_u32 v17, v19, 23, 0x3b800000
	v_lshlrev_b32_e32 v14, 20, v14
	s_delay_alu instid0(VALU_DEP_1)
	v_or3_b32 v14, v16, v17, v14
.LBB14_1923:                            ;   in Loop: Header=BB14_17 Depth=1
	s_or_b32 exec_lo, exec_lo, s18
.LBB14_1924:                            ;   in Loop: Header=BB14_17 Depth=1
	s_delay_alu instid0(SALU_CYCLE_1) | instskip(NEXT) | instid1(SALU_CYCLE_1)
	s_or_b32 exec_lo, exec_lo, s16
	s_or_b32 s14, s14, exec_lo
.LBB14_1925:                            ;   in Loop: Header=BB14_17 Depth=1
	s_or_b32 exec_lo, exec_lo, s15
	s_delay_alu instid0(SALU_CYCLE_1)
	s_and_b32 s14, s14, exec_lo
                                        ; implicit-def: $vgpr19
                                        ; implicit-def: $vgpr16_vgpr17
.LBB14_1926:                            ;   in Loop: Header=BB14_17 Depth=1
	s_and_not1_saveexec_b32 s13, s13
	s_cbranch_execz .LBB14_1952
; %bb.1927:                             ;   in Loop: Header=BB14_17 Depth=1
	s_mov_b32 s16, s14
	s_mov_b32 s15, exec_lo
                                        ; implicit-def: $vgpr14
	v_cmpx_lt_i16_e32 22, v19
	s_xor_b32 s15, exec_lo, s15
	s_cbranch_execz .LBB14_1941
; %bb.1928:                             ;   in Loop: Header=BB14_17 Depth=1
	s_mov_b32 s16, exec_lo
                                        ; implicit-def: $vgpr14
	v_cmpx_lt_i16_e32 23, v19
	s_xor_b32 s16, exec_lo, s16
	s_cbranch_execz .LBB14_1938
; %bb.1929:                             ;   in Loop: Header=BB14_17 Depth=1
	;; [unrolled: 6-line block ×3, first 2 shown]
	flat_load_u8 v16, v[16:17]
	s_mov_b32 s18, 0
	s_mov_b32 s19, exec_lo
	s_wait_loadcnt_dscnt 0x0
	v_cmpx_lt_i16_e32 0x7f, v16
	s_xor_b32 s19, exec_lo, s19
	s_cbranch_execnz .LBB14_2534
; %bb.1931:                             ;   in Loop: Header=BB14_17 Depth=1
	s_or_saveexec_b32 s19, s19
	v_mov_b32_e32 v14, 0x7f800001
	s_xor_b32 exec_lo, exec_lo, s19
	s_cbranch_execnz .LBB14_2537
.LBB14_1932:                            ;   in Loop: Header=BB14_17 Depth=1
	s_or_b32 exec_lo, exec_lo, s19
	s_and_saveexec_b32 s19, s18
	s_cbranch_execz .LBB14_1934
.LBB14_1933:                            ;   in Loop: Header=BB14_17 Depth=1
	v_and_b32_e32 v14, 0xffff, v16
	s_delay_alu instid0(VALU_DEP_1) | instskip(SKIP_1) | instid1(VALU_DEP_2)
	v_and_b32_e32 v17, 3, v14
	v_bfe_u32 v21, v14, 2, 5
	v_clz_i32_u32_e32 v19, v17
	s_delay_alu instid0(VALU_DEP_2) | instskip(NEXT) | instid1(VALU_DEP_2)
	v_cmp_eq_u32_e32 vcc_lo, 0, v21
	v_min_u32_e32 v19, 32, v19
	s_delay_alu instid0(VALU_DEP_1) | instskip(NEXT) | instid1(VALU_DEP_1)
	v_subrev_nc_u32_e32 v20, 29, v19
	v_dual_lshlrev_b32 v14, v20, v14 :: v_dual_sub_nc_u32 v19, 30, v19
	s_delay_alu instid0(VALU_DEP_1) | instskip(NEXT) | instid1(VALU_DEP_2)
	v_dual_lshlrev_b32 v16, 24, v16 :: v_dual_bitop2_b32 v14, 3, v14 bitop3:0x40
	v_cndmask_b32_e32 v19, v21, v19, vcc_lo
	s_delay_alu instid0(VALU_DEP_2) | instskip(NEXT) | instid1(VALU_DEP_3)
	v_cndmask_b32_e32 v14, v17, v14, vcc_lo
	v_and_b32_e32 v16, 0x80000000, v16
	s_delay_alu instid0(VALU_DEP_3) | instskip(NEXT) | instid1(VALU_DEP_3)
	v_lshl_add_u32 v17, v19, 23, 0x37800000
	v_lshlrev_b32_e32 v14, 21, v14
	s_delay_alu instid0(VALU_DEP_1)
	v_or3_b32 v14, v16, v17, v14
.LBB14_1934:                            ;   in Loop: Header=BB14_17 Depth=1
	s_or_b32 exec_lo, exec_lo, s19
                                        ; implicit-def: $vgpr16_vgpr17
.LBB14_1935:                            ;   in Loop: Header=BB14_17 Depth=1
	s_and_not1_saveexec_b32 s17, s17
	s_cbranch_execz .LBB14_1937
; %bb.1936:                             ;   in Loop: Header=BB14_17 Depth=1
	flat_load_u8 v14, v[16:17]
	s_wait_loadcnt_dscnt 0x0
	v_lshlrev_b32_e32 v14, 24, v14
	s_wait_xcnt 0x0
	s_delay_alu instid0(VALU_DEP_1) | instskip(NEXT) | instid1(VALU_DEP_1)
	v_and_b32_e32 v16, 0x7f000000, v14
	v_clz_i32_u32_e32 v17, v16
	v_add_nc_u32_e32 v20, 0x1000000, v16
	v_cmp_ne_u32_e32 vcc_lo, 0, v16
	s_delay_alu instid0(VALU_DEP_3) | instskip(NEXT) | instid1(VALU_DEP_1)
	v_min_u32_e32 v17, 32, v17
	v_sub_nc_u32_e64 v17, v17, 4 clamp
	s_delay_alu instid0(VALU_DEP_1) | instskip(NEXT) | instid1(VALU_DEP_1)
	v_dual_lshlrev_b32 v19, v17, v16 :: v_dual_lshlrev_b32 v17, 23, v17
	v_lshrrev_b32_e32 v19, 4, v19
	s_delay_alu instid0(VALU_DEP_1) | instskip(NEXT) | instid1(VALU_DEP_1)
	v_dual_sub_nc_u32 v17, v19, v17 :: v_dual_ashrrev_i32 v19, 8, v20
	v_add_nc_u32_e32 v17, 0x3c000000, v17
	s_delay_alu instid0(VALU_DEP_1) | instskip(NEXT) | instid1(VALU_DEP_1)
	v_and_or_b32 v17, 0x7f800000, v19, v17
	v_cndmask_b32_e32 v16, 0, v17, vcc_lo
	s_delay_alu instid0(VALU_DEP_1)
	v_and_or_b32 v14, 0x80000000, v14, v16
.LBB14_1937:                            ;   in Loop: Header=BB14_17 Depth=1
	s_or_b32 exec_lo, exec_lo, s17
                                        ; implicit-def: $vgpr16_vgpr17
.LBB14_1938:                            ;   in Loop: Header=BB14_17 Depth=1
	s_and_not1_saveexec_b32 s16, s16
	s_cbranch_execz .LBB14_1940
; %bb.1939:                             ;   in Loop: Header=BB14_17 Depth=1
	flat_load_u8 v14, v[16:17]
	s_wait_loadcnt_dscnt 0x0
	v_lshlrev_b32_e32 v16, 25, v14
	v_lshlrev_b16 v14, 8, v14
	s_delay_alu instid0(VALU_DEP_1) | instskip(SKIP_1) | instid1(VALU_DEP_2)
	v_and_or_b32 v19, 0x7f00, v14, 0.5
	v_bfe_i32 v14, v14, 0, 16
	v_dual_add_f32 v19, -0.5, v19 :: v_dual_lshrrev_b32 v17, 4, v16
	v_cmp_gt_u32_e32 vcc_lo, 0x8000000, v16
	s_delay_alu instid0(VALU_DEP_2) | instskip(NEXT) | instid1(VALU_DEP_1)
	v_or_b32_e32 v17, 0x70000000, v17
	v_mul_f32_e32 v17, 0x7800000, v17
	s_delay_alu instid0(VALU_DEP_1) | instskip(NEXT) | instid1(VALU_DEP_1)
	v_cndmask_b32_e32 v16, v17, v19, vcc_lo
	v_and_or_b32 v14, 0x80000000, v14, v16
.LBB14_1940:                            ;   in Loop: Header=BB14_17 Depth=1
	s_or_b32 exec_lo, exec_lo, s16
	s_delay_alu instid0(SALU_CYCLE_1)
	s_or_b32 s16, s14, exec_lo
                                        ; implicit-def: $vgpr19
                                        ; implicit-def: $vgpr16_vgpr17
.LBB14_1941:                            ;   in Loop: Header=BB14_17 Depth=1
	s_and_not1_saveexec_b32 s15, s15
	s_cbranch_execz .LBB14_1951
; %bb.1942:                             ;   in Loop: Header=BB14_17 Depth=1
	s_mov_b32 s17, s16
	s_mov_b32 s18, exec_lo
                                        ; implicit-def: $vgpr14
	v_cmpx_lt_i16_e32 14, v19
	s_xor_b32 s18, exec_lo, s18
	s_cbranch_execz .LBB14_1946
; %bb.1943:                             ;   in Loop: Header=BB14_17 Depth=1
	s_mov_b32 s17, s16
	s_mov_b32 s19, exec_lo
                                        ; implicit-def: $vgpr14
	v_cmpx_eq_u16_e32 15, v19
	s_cbranch_execz .LBB14_1945
; %bb.1944:                             ;   in Loop: Header=BB14_17 Depth=1
	flat_load_u16 v14, v[16:17]
	s_or_b32 s17, s16, exec_lo
	s_wait_loadcnt_dscnt 0x0
	v_lshlrev_b32_e32 v14, 16, v14
.LBB14_1945:                            ;   in Loop: Header=BB14_17 Depth=1
	s_wait_xcnt 0x0
	s_or_b32 exec_lo, exec_lo, s19
	s_delay_alu instid0(SALU_CYCLE_1) | instskip(SKIP_1) | instid1(SALU_CYCLE_1)
	s_and_not1_b32 s19, s16, exec_lo
	s_and_b32 s17, s17, exec_lo
                                        ; implicit-def: $vgpr19
                                        ; implicit-def: $vgpr16_vgpr17
	s_or_b32 s17, s19, s17
.LBB14_1946:                            ;   in Loop: Header=BB14_17 Depth=1
	s_and_not1_saveexec_b32 s18, s18
	s_cbranch_execz .LBB14_1950
; %bb.1947:                             ;   in Loop: Header=BB14_17 Depth=1
	s_mov_b32 s19, s17
	s_mov_b32 s20, exec_lo
                                        ; implicit-def: $vgpr14
	v_cmpx_eq_u16_e32 11, v19
	s_cbranch_execz .LBB14_1949
; %bb.1948:                             ;   in Loop: Header=BB14_17 Depth=1
	flat_load_u8 v14, v[16:17]
	s_or_b32 s19, s17, exec_lo
	s_wait_loadcnt_dscnt 0x0
	v_cmp_ne_u16_e32 vcc_lo, 0, v14
	v_cndmask_b32_e64 v14, 0, 1.0, vcc_lo
.LBB14_1949:                            ;   in Loop: Header=BB14_17 Depth=1
	s_wait_xcnt 0x0
	s_or_b32 exec_lo, exec_lo, s20
	s_delay_alu instid0(SALU_CYCLE_1) | instskip(SKIP_1) | instid1(SALU_CYCLE_1)
	s_and_not1_b32 s17, s17, exec_lo
	s_and_b32 s19, s19, exec_lo
	s_or_b32 s17, s17, s19
.LBB14_1950:                            ;   in Loop: Header=BB14_17 Depth=1
	s_or_b32 exec_lo, exec_lo, s18
	s_delay_alu instid0(SALU_CYCLE_1) | instskip(SKIP_1) | instid1(SALU_CYCLE_1)
	s_and_not1_b32 s16, s16, exec_lo
	s_and_b32 s17, s17, exec_lo
	s_or_b32 s16, s16, s17
.LBB14_1951:                            ;   in Loop: Header=BB14_17 Depth=1
	s_or_b32 exec_lo, exec_lo, s15
	s_delay_alu instid0(SALU_CYCLE_1) | instskip(SKIP_1) | instid1(SALU_CYCLE_1)
	s_and_not1_b32 s14, s14, exec_lo
	s_and_b32 s15, s16, exec_lo
	s_or_b32 s14, s14, s15
.LBB14_1952:                            ;   in Loop: Header=BB14_17 Depth=1
	s_or_b32 exec_lo, exec_lo, s13
	s_delay_alu instid0(SALU_CYCLE_1)
	s_and_b32 s13, s14, exec_lo
                                        ; implicit-def: $vgpr19
                                        ; implicit-def: $vgpr16_vgpr17
	s_and_not1_saveexec_b32 s9, s9
	s_cbranch_execz .LBB14_234
.LBB14_1953:                            ;   in Loop: Header=BB14_17 Depth=1
	s_mov_b32 s14, exec_lo
                                        ; implicit-def: $vgpr14
	v_cmpx_lt_i16_e32 4, v19
	s_xor_b32 s14, exec_lo, s14
	s_cbranch_execz .LBB14_1975
; %bb.1954:                             ;   in Loop: Header=BB14_17 Depth=1
	s_mov_b32 s15, exec_lo
                                        ; implicit-def: $vgpr14
	v_cmpx_lt_i16_e32 7, v19
	s_xor_b32 s15, exec_lo, s15
	s_cbranch_execz .LBB14_1964
; %bb.1955:                             ;   in Loop: Header=BB14_17 Depth=1
	;; [unrolled: 6-line block ×4, first 2 shown]
	flat_load_b64 v[16:17], v[16:17]
	s_wait_loadcnt_dscnt 0x0
	v_cvt_f32_f64_e32 v14, v[16:17]
                                        ; implicit-def: $vgpr16_vgpr17
.LBB14_1958:                            ;   in Loop: Header=BB14_17 Depth=1
	s_wait_xcnt 0x0
	s_and_not1_saveexec_b32 s17, s17
	s_cbranch_execz .LBB14_1960
; %bb.1959:                             ;   in Loop: Header=BB14_17 Depth=1
	flat_load_b32 v14, v[16:17]
.LBB14_1960:                            ;   in Loop: Header=BB14_17 Depth=1
	s_wait_xcnt 0x0
	s_or_b32 exec_lo, exec_lo, s17
                                        ; implicit-def: $vgpr16_vgpr17
.LBB14_1961:                            ;   in Loop: Header=BB14_17 Depth=1
	s_and_not1_saveexec_b32 s16, s16
	s_cbranch_execz .LBB14_1963
; %bb.1962:                             ;   in Loop: Header=BB14_17 Depth=1
	s_wait_loadcnt_dscnt 0x0
	flat_load_b32 v14, v[16:17]
	s_wait_loadcnt_dscnt 0x0
	v_cvt_f32_f16_e32 v14, v14
.LBB14_1963:                            ;   in Loop: Header=BB14_17 Depth=1
	s_wait_xcnt 0x0
	s_or_b32 exec_lo, exec_lo, s16
                                        ; implicit-def: $vgpr16_vgpr17
                                        ; implicit-def: $vgpr19
.LBB14_1964:                            ;   in Loop: Header=BB14_17 Depth=1
	s_and_not1_saveexec_b32 s15, s15
	s_cbranch_execz .LBB14_1974
; %bb.1965:                             ;   in Loop: Header=BB14_17 Depth=1
	s_mov_b32 s16, exec_lo
                                        ; implicit-def: $vgpr14
	v_cmpx_lt_i16_e32 5, v19
	s_xor_b32 s16, exec_lo, s16
	s_cbranch_execz .LBB14_1971
; %bb.1966:                             ;   in Loop: Header=BB14_17 Depth=1
	s_mov_b32 s17, exec_lo
                                        ; implicit-def: $vgpr14
	v_cmpx_lt_i16_e32 6, v19
	s_xor_b32 s17, exec_lo, s17
	s_cbranch_execz .LBB14_1968
; %bb.1967:                             ;   in Loop: Header=BB14_17 Depth=1
	flat_load_b64 v[16:17], v[16:17]
	s_wait_loadcnt_dscnt 0x0
	v_cvt_f32_f64_e32 v14, v[16:17]
                                        ; implicit-def: $vgpr16_vgpr17
.LBB14_1968:                            ;   in Loop: Header=BB14_17 Depth=1
	s_wait_xcnt 0x0
	s_and_not1_saveexec_b32 s17, s17
	s_cbranch_execz .LBB14_1970
; %bb.1969:                             ;   in Loop: Header=BB14_17 Depth=1
	s_wait_loadcnt_dscnt 0x0
	flat_load_b32 v14, v[16:17]
.LBB14_1970:                            ;   in Loop: Header=BB14_17 Depth=1
	s_wait_xcnt 0x0
	s_or_b32 exec_lo, exec_lo, s17
                                        ; implicit-def: $vgpr16_vgpr17
.LBB14_1971:                            ;   in Loop: Header=BB14_17 Depth=1
	s_and_not1_saveexec_b32 s16, s16
	s_cbranch_execz .LBB14_1973
; %bb.1972:                             ;   in Loop: Header=BB14_17 Depth=1
	s_wait_loadcnt_dscnt 0x0
	flat_load_u16 v14, v[16:17]
	s_wait_loadcnt_dscnt 0x0
	v_cvt_f32_f16_e32 v14, v14
.LBB14_1973:                            ;   in Loop: Header=BB14_17 Depth=1
	s_wait_xcnt 0x0
	s_or_b32 exec_lo, exec_lo, s16
.LBB14_1974:                            ;   in Loop: Header=BB14_17 Depth=1
	s_delay_alu instid0(SALU_CYCLE_1)
	s_or_b32 exec_lo, exec_lo, s15
                                        ; implicit-def: $vgpr19
                                        ; implicit-def: $vgpr16_vgpr17
.LBB14_1975:                            ;   in Loop: Header=BB14_17 Depth=1
	s_and_not1_saveexec_b32 s14, s14
	s_cbranch_execz .LBB14_1993
; %bb.1976:                             ;   in Loop: Header=BB14_17 Depth=1
	s_mov_b32 s15, exec_lo
                                        ; implicit-def: $vgpr14
	v_cmpx_lt_i16_e32 1, v19
	s_xor_b32 s15, exec_lo, s15
	s_cbranch_execz .LBB14_1986
; %bb.1977:                             ;   in Loop: Header=BB14_17 Depth=1
	s_mov_b32 s16, exec_lo
                                        ; implicit-def: $vgpr14
	v_cmpx_lt_i16_e32 2, v19
	s_xor_b32 s16, exec_lo, s16
	;; [unrolled: 6-line block ×3, first 2 shown]
	s_cbranch_execz .LBB14_1980
; %bb.1979:                             ;   in Loop: Header=BB14_17 Depth=1
	flat_load_b64 v[16:17], v[16:17]
	s_wait_loadcnt_dscnt 0x0
	v_xor_b32_e32 v14, v16, v17
	v_cls_i32_e32 v19, v17
	s_delay_alu instid0(VALU_DEP_2) | instskip(NEXT) | instid1(VALU_DEP_1)
	v_ashrrev_i32_e32 v14, 31, v14
	v_add_nc_u32_e32 v14, 32, v14
	s_delay_alu instid0(VALU_DEP_1) | instskip(SKIP_1) | instid1(VALU_DEP_1)
	v_add_min_u32_e64 v14, v19, -1, v14
	s_wait_xcnt 0x0
	v_lshlrev_b64_e32 v[16:17], v14, v[16:17]
	v_sub_nc_u32_e32 v14, 32, v14
	s_delay_alu instid0(VALU_DEP_2) | instskip(NEXT) | instid1(VALU_DEP_1)
	v_min_u32_e32 v16, 1, v16
	v_or_b32_e32 v16, v17, v16
	s_delay_alu instid0(VALU_DEP_1) | instskip(NEXT) | instid1(VALU_DEP_1)
	v_cvt_f32_i32_e32 v16, v16
	v_ldexp_f32 v14, v16, v14
                                        ; implicit-def: $vgpr16_vgpr17
.LBB14_1980:                            ;   in Loop: Header=BB14_17 Depth=1
	s_and_not1_saveexec_b32 s17, s17
	s_cbranch_execz .LBB14_1982
; %bb.1981:                             ;   in Loop: Header=BB14_17 Depth=1
	s_wait_loadcnt_dscnt 0x0
	flat_load_b32 v14, v[16:17]
	s_wait_loadcnt_dscnt 0x0
	v_cvt_f32_i32_e32 v14, v14
.LBB14_1982:                            ;   in Loop: Header=BB14_17 Depth=1
	s_wait_xcnt 0x0
	s_or_b32 exec_lo, exec_lo, s17
                                        ; implicit-def: $vgpr16_vgpr17
.LBB14_1983:                            ;   in Loop: Header=BB14_17 Depth=1
	s_and_not1_saveexec_b32 s16, s16
	s_cbranch_execz .LBB14_1985
; %bb.1984:                             ;   in Loop: Header=BB14_17 Depth=1
	s_wait_loadcnt_dscnt 0x0
	flat_load_i16 v14, v[16:17]
	s_wait_loadcnt_dscnt 0x0
	v_cvt_f32_i32_e32 v14, v14
.LBB14_1985:                            ;   in Loop: Header=BB14_17 Depth=1
	s_wait_xcnt 0x0
	s_or_b32 exec_lo, exec_lo, s16
                                        ; implicit-def: $vgpr16_vgpr17
                                        ; implicit-def: $vgpr19
.LBB14_1986:                            ;   in Loop: Header=BB14_17 Depth=1
	s_and_not1_saveexec_b32 s15, s15
	s_cbranch_execz .LBB14_1992
; %bb.1987:                             ;   in Loop: Header=BB14_17 Depth=1
	s_mov_b32 s16, exec_lo
                                        ; implicit-def: $vgpr14
	v_cmpx_lt_i16_e32 0, v19
	s_xor_b32 s16, exec_lo, s16
	s_cbranch_execz .LBB14_1989
; %bb.1988:                             ;   in Loop: Header=BB14_17 Depth=1
	s_wait_loadcnt_dscnt 0x0
	flat_load_i8 v14, v[16:17]
                                        ; implicit-def: $vgpr16_vgpr17
	s_wait_loadcnt_dscnt 0x0
	v_cvt_f32_i32_e32 v14, v14
.LBB14_1989:                            ;   in Loop: Header=BB14_17 Depth=1
	s_wait_xcnt 0x0
	s_and_not1_saveexec_b32 s16, s16
	s_cbranch_execz .LBB14_1991
; %bb.1990:                             ;   in Loop: Header=BB14_17 Depth=1
	s_wait_loadcnt_dscnt 0x0
	flat_load_u8 v14, v[16:17]
	s_wait_loadcnt_dscnt 0x0
	v_cvt_f32_ubyte0_e32 v14, v14
.LBB14_1991:                            ;   in Loop: Header=BB14_17 Depth=1
	s_wait_xcnt 0x0
	s_or_b32 exec_lo, exec_lo, s16
.LBB14_1992:                            ;   in Loop: Header=BB14_17 Depth=1
	s_delay_alu instid0(SALU_CYCLE_1)
	s_or_b32 exec_lo, exec_lo, s15
.LBB14_1993:                            ;   in Loop: Header=BB14_17 Depth=1
	s_delay_alu instid0(SALU_CYCLE_1) | instskip(NEXT) | instid1(SALU_CYCLE_1)
	s_or_b32 exec_lo, exec_lo, s14
	s_or_b32 s13, s13, exec_lo
	s_or_b32 exec_lo, exec_lo, s9
	s_mov_b32 s14, 0
	s_and_saveexec_b32 s9, s13
	s_cbranch_execnz .LBB14_235
	s_branch .LBB14_236
.LBB14_1994:                            ;   in Loop: Header=BB14_17 Depth=1
	s_mov_b32 s16, exec_lo
                                        ; implicit-def: $vgpr14
	v_cmpx_lt_i16_e32 25, v19
	s_xor_b32 s16, exec_lo, s16
	s_cbranch_execz .LBB14_2026
; %bb.1995:                             ;   in Loop: Header=BB14_17 Depth=1
	s_mov_b32 s18, exec_lo
                                        ; implicit-def: $vgpr14
	v_cmpx_lt_i16_e32 28, v19
	s_xor_b32 s18, exec_lo, s18
	s_cbranch_execz .LBB14_2011
; %bb.1996:                             ;   in Loop: Header=BB14_17 Depth=1
	s_mov_b32 s19, 0
	s_mov_b32 s17, exec_lo
                                        ; implicit-def: $vgpr14
	v_cmpx_lt_i16_e32 43, v19
	s_xor_b32 s17, exec_lo, s17
	s_cbranch_execz .LBB14_2006
; %bb.1997:                             ;   in Loop: Header=BB14_17 Depth=1
	s_mov_b32 s20, exec_lo
                                        ; implicit-def: $vgpr14
	v_cmpx_lt_i16_e32 45, v19
	s_xor_b32 s20, exec_lo, s20
	s_cbranch_execz .LBB14_2001
; %bb.1998:                             ;   in Loop: Header=BB14_17 Depth=1
	s_mov_b32 s21, exec_lo
                                        ; implicit-def: $vgpr14
	v_cmpx_eq_u16_e32 46, v19
	s_cbranch_execz .LBB14_2000
; %bb.1999:                             ;   in Loop: Header=BB14_17 Depth=1
	flat_load_b32 v14, v[16:17]
	s_mov_b32 s19, exec_lo
	s_wait_loadcnt_dscnt 0x0
	v_lshlrev_b32_e32 v14, 16, v14
.LBB14_2000:                            ;   in Loop: Header=BB14_17 Depth=1
	s_wait_xcnt 0x0
	s_or_b32 exec_lo, exec_lo, s21
	s_delay_alu instid0(SALU_CYCLE_1)
	s_and_b32 s19, s19, exec_lo
                                        ; implicit-def: $vgpr19
                                        ; implicit-def: $vgpr16_vgpr17
.LBB14_2001:                            ;   in Loop: Header=BB14_17 Depth=1
	s_and_not1_saveexec_b32 s20, s20
	s_cbranch_execz .LBB14_2005
; %bb.2002:                             ;   in Loop: Header=BB14_17 Depth=1
	s_mov_b32 s22, s19
	s_mov_b32 s21, exec_lo
                                        ; implicit-def: $vgpr14
	v_cmpx_eq_u16_e32 44, v19
	s_cbranch_execz .LBB14_2004
; %bb.2003:                             ;   in Loop: Header=BB14_17 Depth=1
	flat_load_u8 v14, v[16:17]
	s_or_b32 s22, s19, exec_lo
	s_wait_loadcnt_dscnt 0x0
	v_lshlrev_b32_e32 v16, 23, v14
	v_cmp_ne_u32_e32 vcc_lo, 0xff, v14
	s_delay_alu instid0(VALU_DEP_2) | instskip(SKIP_1) | instid1(VALU_DEP_2)
	v_cndmask_b32_e32 v16, 0x7f800001, v16, vcc_lo
	v_cmp_ne_u32_e32 vcc_lo, 0, v14
	v_cndmask_b32_e32 v14, 0x400000, v16, vcc_lo
.LBB14_2004:                            ;   in Loop: Header=BB14_17 Depth=1
	s_or_b32 exec_lo, exec_lo, s21
	s_delay_alu instid0(SALU_CYCLE_1) | instskip(SKIP_1) | instid1(SALU_CYCLE_1)
	s_and_not1_b32 s19, s19, exec_lo
	s_and_b32 s21, s22, exec_lo
	s_or_b32 s19, s19, s21
.LBB14_2005:                            ;   in Loop: Header=BB14_17 Depth=1
	s_or_b32 exec_lo, exec_lo, s20
	s_delay_alu instid0(SALU_CYCLE_1)
	s_and_b32 s19, s19, exec_lo
                                        ; implicit-def: $vgpr19
                                        ; implicit-def: $vgpr16_vgpr17
.LBB14_2006:                            ;   in Loop: Header=BB14_17 Depth=1
	s_and_not1_saveexec_b32 s17, s17
	s_cbranch_execz .LBB14_2010
; %bb.2007:                             ;   in Loop: Header=BB14_17 Depth=1
	s_mov_b32 s21, s19
	s_mov_b32 s20, exec_lo
                                        ; implicit-def: $vgpr14
	v_cmpx_eq_u16_e32 29, v19
	s_cbranch_execz .LBB14_2009
; %bb.2008:                             ;   in Loop: Header=BB14_17 Depth=1
	flat_load_b64 v[16:17], v[16:17]
	s_or_b32 s21, s19, exec_lo
	s_wait_loadcnt_dscnt 0x0
	v_clz_i32_u32_e32 v14, v17
	s_delay_alu instid0(VALU_DEP_1) | instskip(SKIP_1) | instid1(VALU_DEP_1)
	v_min_u32_e32 v14, 32, v14
	s_wait_xcnt 0x0
	v_lshlrev_b64_e32 v[16:17], v14, v[16:17]
	v_sub_nc_u32_e32 v14, 32, v14
	s_delay_alu instid0(VALU_DEP_2) | instskip(NEXT) | instid1(VALU_DEP_1)
	v_min_u32_e32 v16, 1, v16
	v_or_b32_e32 v16, v17, v16
	s_delay_alu instid0(VALU_DEP_1) | instskip(NEXT) | instid1(VALU_DEP_1)
	v_cvt_f32_u32_e32 v16, v16
	v_ldexp_f32 v14, v16, v14
.LBB14_2009:                            ;   in Loop: Header=BB14_17 Depth=1
	s_or_b32 exec_lo, exec_lo, s20
	s_delay_alu instid0(SALU_CYCLE_1) | instskip(SKIP_1) | instid1(SALU_CYCLE_1)
	s_and_not1_b32 s19, s19, exec_lo
	s_and_b32 s20, s21, exec_lo
	s_or_b32 s19, s19, s20
.LBB14_2010:                            ;   in Loop: Header=BB14_17 Depth=1
	s_or_b32 exec_lo, exec_lo, s17
	s_delay_alu instid0(SALU_CYCLE_1)
	s_and_b32 s17, s19, exec_lo
                                        ; implicit-def: $vgpr19
                                        ; implicit-def: $vgpr16_vgpr17
.LBB14_2011:                            ;   in Loop: Header=BB14_17 Depth=1
	s_and_not1_saveexec_b32 s18, s18
	s_cbranch_execz .LBB14_2025
; %bb.2012:                             ;   in Loop: Header=BB14_17 Depth=1
	s_mov_b32 s19, exec_lo
                                        ; implicit-def: $vgpr14
	v_cmpx_lt_i16_e32 26, v19
	s_xor_b32 s19, exec_lo, s19
	s_cbranch_execz .LBB14_2018
; %bb.2013:                             ;   in Loop: Header=BB14_17 Depth=1
	s_mov_b32 s20, exec_lo
                                        ; implicit-def: $vgpr14
	v_cmpx_lt_i16_e32 27, v19
	s_xor_b32 s20, exec_lo, s20
	s_cbranch_execz .LBB14_2015
; %bb.2014:                             ;   in Loop: Header=BB14_17 Depth=1
	flat_load_b32 v14, v[16:17]
                                        ; implicit-def: $vgpr16_vgpr17
	s_wait_loadcnt_dscnt 0x0
	v_cvt_f32_u32_e32 v14, v14
.LBB14_2015:                            ;   in Loop: Header=BB14_17 Depth=1
	s_wait_xcnt 0x0
	s_and_not1_saveexec_b32 s20, s20
	s_cbranch_execz .LBB14_2017
; %bb.2016:                             ;   in Loop: Header=BB14_17 Depth=1
	flat_load_u16 v14, v[16:17]
	s_wait_loadcnt_dscnt 0x0
	v_cvt_f32_u32_e32 v14, v14
.LBB14_2017:                            ;   in Loop: Header=BB14_17 Depth=1
	s_wait_xcnt 0x0
	s_or_b32 exec_lo, exec_lo, s20
                                        ; implicit-def: $vgpr16_vgpr17
.LBB14_2018:                            ;   in Loop: Header=BB14_17 Depth=1
	s_and_not1_saveexec_b32 s19, s19
	s_cbranch_execz .LBB14_2024
; %bb.2019:                             ;   in Loop: Header=BB14_17 Depth=1
	flat_load_u8 v16, v[16:17]
	s_mov_b32 s20, 0
	s_mov_b32 s21, exec_lo
	s_wait_loadcnt_dscnt 0x0
	v_cmpx_lt_i16_e32 0x7f, v16
	s_xor_b32 s21, exec_lo, s21
	s_cbranch_execnz .LBB14_2538
; %bb.2020:                             ;   in Loop: Header=BB14_17 Depth=1
	s_or_saveexec_b32 s21, s21
	v_mov_b32_e32 v14, 0x7f800001
	s_xor_b32 exec_lo, exec_lo, s21
	s_cbranch_execnz .LBB14_2541
.LBB14_2021:                            ;   in Loop: Header=BB14_17 Depth=1
	s_or_b32 exec_lo, exec_lo, s21
	s_and_saveexec_b32 s21, s20
	s_cbranch_execz .LBB14_2023
.LBB14_2022:                            ;   in Loop: Header=BB14_17 Depth=1
	v_and_b32_e32 v14, 0xffff, v16
	s_delay_alu instid0(VALU_DEP_1) | instskip(SKIP_1) | instid1(VALU_DEP_2)
	v_and_b32_e32 v17, 7, v14
	v_bfe_u32 v21, v14, 3, 4
	v_clz_i32_u32_e32 v19, v17
	s_delay_alu instid0(VALU_DEP_2) | instskip(NEXT) | instid1(VALU_DEP_2)
	v_cmp_eq_u32_e32 vcc_lo, 0, v21
	v_min_u32_e32 v19, 32, v19
	s_delay_alu instid0(VALU_DEP_1) | instskip(NEXT) | instid1(VALU_DEP_1)
	v_subrev_nc_u32_e32 v20, 28, v19
	v_dual_lshlrev_b32 v14, v20, v14 :: v_dual_sub_nc_u32 v19, 29, v19
	s_delay_alu instid0(VALU_DEP_1) | instskip(NEXT) | instid1(VALU_DEP_2)
	v_dual_lshlrev_b32 v16, 24, v16 :: v_dual_bitop2_b32 v14, 7, v14 bitop3:0x40
	v_cndmask_b32_e32 v19, v21, v19, vcc_lo
	s_delay_alu instid0(VALU_DEP_2) | instskip(NEXT) | instid1(VALU_DEP_3)
	v_cndmask_b32_e32 v14, v17, v14, vcc_lo
	v_and_b32_e32 v16, 0x80000000, v16
	s_delay_alu instid0(VALU_DEP_3) | instskip(NEXT) | instid1(VALU_DEP_3)
	v_lshl_add_u32 v17, v19, 23, 0x3b800000
	v_lshlrev_b32_e32 v14, 20, v14
	s_delay_alu instid0(VALU_DEP_1)
	v_or3_b32 v14, v16, v17, v14
.LBB14_2023:                            ;   in Loop: Header=BB14_17 Depth=1
	s_or_b32 exec_lo, exec_lo, s21
.LBB14_2024:                            ;   in Loop: Header=BB14_17 Depth=1
	s_delay_alu instid0(SALU_CYCLE_1) | instskip(NEXT) | instid1(SALU_CYCLE_1)
	s_or_b32 exec_lo, exec_lo, s19
	s_or_b32 s17, s17, exec_lo
.LBB14_2025:                            ;   in Loop: Header=BB14_17 Depth=1
	s_or_b32 exec_lo, exec_lo, s18
	s_delay_alu instid0(SALU_CYCLE_1)
	s_and_b32 s17, s17, exec_lo
                                        ; implicit-def: $vgpr19
                                        ; implicit-def: $vgpr16_vgpr17
.LBB14_2026:                            ;   in Loop: Header=BB14_17 Depth=1
	s_and_not1_saveexec_b32 s16, s16
	s_cbranch_execz .LBB14_2052
; %bb.2027:                             ;   in Loop: Header=BB14_17 Depth=1
	s_mov_b32 s19, s17
	s_mov_b32 s18, exec_lo
                                        ; implicit-def: $vgpr14
	v_cmpx_lt_i16_e32 22, v19
	s_xor_b32 s18, exec_lo, s18
	s_cbranch_execz .LBB14_2041
; %bb.2028:                             ;   in Loop: Header=BB14_17 Depth=1
	s_mov_b32 s19, exec_lo
                                        ; implicit-def: $vgpr14
	v_cmpx_lt_i16_e32 23, v19
	s_xor_b32 s19, exec_lo, s19
	s_cbranch_execz .LBB14_2038
; %bb.2029:                             ;   in Loop: Header=BB14_17 Depth=1
	;; [unrolled: 6-line block ×3, first 2 shown]
	flat_load_u8 v16, v[16:17]
	s_mov_b32 s21, 0
	s_mov_b32 s22, exec_lo
	s_wait_loadcnt_dscnt 0x0
	v_cmpx_lt_i16_e32 0x7f, v16
	s_xor_b32 s22, exec_lo, s22
	s_cbranch_execnz .LBB14_2650
; %bb.2031:                             ;   in Loop: Header=BB14_17 Depth=1
	s_or_saveexec_b32 s22, s22
	v_mov_b32_e32 v14, 0x7f800001
	s_xor_b32 exec_lo, exec_lo, s22
	s_cbranch_execnz .LBB14_2653
.LBB14_2032:                            ;   in Loop: Header=BB14_17 Depth=1
	s_or_b32 exec_lo, exec_lo, s22
	s_and_saveexec_b32 s22, s21
	s_cbranch_execz .LBB14_2034
.LBB14_2033:                            ;   in Loop: Header=BB14_17 Depth=1
	v_and_b32_e32 v14, 0xffff, v16
	s_delay_alu instid0(VALU_DEP_1) | instskip(SKIP_1) | instid1(VALU_DEP_2)
	v_and_b32_e32 v17, 3, v14
	v_bfe_u32 v21, v14, 2, 5
	v_clz_i32_u32_e32 v19, v17
	s_delay_alu instid0(VALU_DEP_2) | instskip(NEXT) | instid1(VALU_DEP_2)
	v_cmp_eq_u32_e32 vcc_lo, 0, v21
	v_min_u32_e32 v19, 32, v19
	s_delay_alu instid0(VALU_DEP_1) | instskip(NEXT) | instid1(VALU_DEP_1)
	v_subrev_nc_u32_e32 v20, 29, v19
	v_dual_lshlrev_b32 v14, v20, v14 :: v_dual_sub_nc_u32 v19, 30, v19
	s_delay_alu instid0(VALU_DEP_1) | instskip(NEXT) | instid1(VALU_DEP_2)
	v_dual_lshlrev_b32 v16, 24, v16 :: v_dual_bitop2_b32 v14, 3, v14 bitop3:0x40
	v_cndmask_b32_e32 v19, v21, v19, vcc_lo
	s_delay_alu instid0(VALU_DEP_2) | instskip(NEXT) | instid1(VALU_DEP_3)
	v_cndmask_b32_e32 v14, v17, v14, vcc_lo
	v_and_b32_e32 v16, 0x80000000, v16
	s_delay_alu instid0(VALU_DEP_3) | instskip(NEXT) | instid1(VALU_DEP_3)
	v_lshl_add_u32 v17, v19, 23, 0x37800000
	v_lshlrev_b32_e32 v14, 21, v14
	s_delay_alu instid0(VALU_DEP_1)
	v_or3_b32 v14, v16, v17, v14
.LBB14_2034:                            ;   in Loop: Header=BB14_17 Depth=1
	s_or_b32 exec_lo, exec_lo, s22
                                        ; implicit-def: $vgpr16_vgpr17
.LBB14_2035:                            ;   in Loop: Header=BB14_17 Depth=1
	s_and_not1_saveexec_b32 s20, s20
	s_cbranch_execz .LBB14_2037
; %bb.2036:                             ;   in Loop: Header=BB14_17 Depth=1
	flat_load_u8 v14, v[16:17]
	s_wait_loadcnt_dscnt 0x0
	v_lshlrev_b32_e32 v14, 24, v14
	s_wait_xcnt 0x0
	s_delay_alu instid0(VALU_DEP_1) | instskip(NEXT) | instid1(VALU_DEP_1)
	v_and_b32_e32 v16, 0x7f000000, v14
	v_clz_i32_u32_e32 v17, v16
	v_add_nc_u32_e32 v20, 0x1000000, v16
	v_cmp_ne_u32_e32 vcc_lo, 0, v16
	s_delay_alu instid0(VALU_DEP_3) | instskip(NEXT) | instid1(VALU_DEP_1)
	v_min_u32_e32 v17, 32, v17
	v_sub_nc_u32_e64 v17, v17, 4 clamp
	s_delay_alu instid0(VALU_DEP_1) | instskip(NEXT) | instid1(VALU_DEP_1)
	v_dual_lshlrev_b32 v19, v17, v16 :: v_dual_lshlrev_b32 v17, 23, v17
	v_lshrrev_b32_e32 v19, 4, v19
	s_delay_alu instid0(VALU_DEP_1) | instskip(NEXT) | instid1(VALU_DEP_1)
	v_dual_sub_nc_u32 v17, v19, v17 :: v_dual_ashrrev_i32 v19, 8, v20
	v_add_nc_u32_e32 v17, 0x3c000000, v17
	s_delay_alu instid0(VALU_DEP_1) | instskip(NEXT) | instid1(VALU_DEP_1)
	v_and_or_b32 v17, 0x7f800000, v19, v17
	v_cndmask_b32_e32 v16, 0, v17, vcc_lo
	s_delay_alu instid0(VALU_DEP_1)
	v_and_or_b32 v14, 0x80000000, v14, v16
.LBB14_2037:                            ;   in Loop: Header=BB14_17 Depth=1
	s_or_b32 exec_lo, exec_lo, s20
                                        ; implicit-def: $vgpr16_vgpr17
.LBB14_2038:                            ;   in Loop: Header=BB14_17 Depth=1
	s_and_not1_saveexec_b32 s19, s19
	s_cbranch_execz .LBB14_2040
; %bb.2039:                             ;   in Loop: Header=BB14_17 Depth=1
	flat_load_u8 v14, v[16:17]
	s_wait_loadcnt_dscnt 0x0
	v_lshlrev_b32_e32 v16, 25, v14
	v_lshlrev_b16 v14, 8, v14
	s_delay_alu instid0(VALU_DEP_1) | instskip(SKIP_1) | instid1(VALU_DEP_2)
	v_and_or_b32 v19, 0x7f00, v14, 0.5
	v_bfe_i32 v14, v14, 0, 16
	v_dual_add_f32 v19, -0.5, v19 :: v_dual_lshrrev_b32 v17, 4, v16
	v_cmp_gt_u32_e32 vcc_lo, 0x8000000, v16
	s_delay_alu instid0(VALU_DEP_2) | instskip(NEXT) | instid1(VALU_DEP_1)
	v_or_b32_e32 v17, 0x70000000, v17
	v_mul_f32_e32 v17, 0x7800000, v17
	s_delay_alu instid0(VALU_DEP_1) | instskip(NEXT) | instid1(VALU_DEP_1)
	v_cndmask_b32_e32 v16, v17, v19, vcc_lo
	v_and_or_b32 v14, 0x80000000, v14, v16
.LBB14_2040:                            ;   in Loop: Header=BB14_17 Depth=1
	s_or_b32 exec_lo, exec_lo, s19
	s_delay_alu instid0(SALU_CYCLE_1)
	s_or_b32 s19, s17, exec_lo
                                        ; implicit-def: $vgpr19
                                        ; implicit-def: $vgpr16_vgpr17
.LBB14_2041:                            ;   in Loop: Header=BB14_17 Depth=1
	s_and_not1_saveexec_b32 s18, s18
	s_cbranch_execz .LBB14_2051
; %bb.2042:                             ;   in Loop: Header=BB14_17 Depth=1
	s_mov_b32 s20, s19
	s_mov_b32 s21, exec_lo
                                        ; implicit-def: $vgpr14
	v_cmpx_lt_i16_e32 14, v19
	s_xor_b32 s21, exec_lo, s21
	s_cbranch_execz .LBB14_2046
; %bb.2043:                             ;   in Loop: Header=BB14_17 Depth=1
	s_mov_b32 s20, s19
	s_mov_b32 s22, exec_lo
                                        ; implicit-def: $vgpr14
	v_cmpx_eq_u16_e32 15, v19
	s_cbranch_execz .LBB14_2045
; %bb.2044:                             ;   in Loop: Header=BB14_17 Depth=1
	flat_load_u16 v14, v[16:17]
	s_or_b32 s20, s19, exec_lo
	s_wait_loadcnt_dscnt 0x0
	v_lshlrev_b32_e32 v14, 16, v14
.LBB14_2045:                            ;   in Loop: Header=BB14_17 Depth=1
	s_wait_xcnt 0x0
	s_or_b32 exec_lo, exec_lo, s22
	s_delay_alu instid0(SALU_CYCLE_1) | instskip(SKIP_1) | instid1(SALU_CYCLE_1)
	s_and_not1_b32 s22, s19, exec_lo
	s_and_b32 s20, s20, exec_lo
                                        ; implicit-def: $vgpr19
                                        ; implicit-def: $vgpr16_vgpr17
	s_or_b32 s20, s22, s20
.LBB14_2046:                            ;   in Loop: Header=BB14_17 Depth=1
	s_and_not1_saveexec_b32 s21, s21
	s_cbranch_execz .LBB14_2050
; %bb.2047:                             ;   in Loop: Header=BB14_17 Depth=1
	s_mov_b32 s22, s20
	s_mov_b32 s23, exec_lo
                                        ; implicit-def: $vgpr14
	v_cmpx_eq_u16_e32 11, v19
	s_cbranch_execz .LBB14_2049
; %bb.2048:                             ;   in Loop: Header=BB14_17 Depth=1
	flat_load_u8 v14, v[16:17]
	s_or_b32 s22, s20, exec_lo
	s_wait_loadcnt_dscnt 0x0
	v_cmp_ne_u16_e32 vcc_lo, 0, v14
	v_cndmask_b32_e64 v14, 0, 1.0, vcc_lo
.LBB14_2049:                            ;   in Loop: Header=BB14_17 Depth=1
	s_wait_xcnt 0x0
	s_or_b32 exec_lo, exec_lo, s23
	s_delay_alu instid0(SALU_CYCLE_1) | instskip(SKIP_1) | instid1(SALU_CYCLE_1)
	s_and_not1_b32 s20, s20, exec_lo
	s_and_b32 s22, s22, exec_lo
	s_or_b32 s20, s20, s22
.LBB14_2050:                            ;   in Loop: Header=BB14_17 Depth=1
	s_or_b32 exec_lo, exec_lo, s21
	s_delay_alu instid0(SALU_CYCLE_1) | instskip(SKIP_1) | instid1(SALU_CYCLE_1)
	s_and_not1_b32 s19, s19, exec_lo
	s_and_b32 s20, s20, exec_lo
	s_or_b32 s19, s19, s20
.LBB14_2051:                            ;   in Loop: Header=BB14_17 Depth=1
	s_or_b32 exec_lo, exec_lo, s18
	s_delay_alu instid0(SALU_CYCLE_1) | instskip(SKIP_1) | instid1(SALU_CYCLE_1)
	s_and_not1_b32 s17, s17, exec_lo
	s_and_b32 s18, s19, exec_lo
	s_or_b32 s17, s17, s18
.LBB14_2052:                            ;   in Loop: Header=BB14_17 Depth=1
	s_or_b32 exec_lo, exec_lo, s16
	s_delay_alu instid0(SALU_CYCLE_1)
	s_and_b32 s16, s17, exec_lo
                                        ; implicit-def: $vgpr19
                                        ; implicit-def: $vgpr16_vgpr17
	s_and_not1_saveexec_b32 s12, s12
	s_cbranch_execz .LBB14_345
.LBB14_2053:                            ;   in Loop: Header=BB14_17 Depth=1
	s_mov_b32 s17, exec_lo
                                        ; implicit-def: $vgpr14
	v_cmpx_lt_i16_e32 4, v19
	s_xor_b32 s17, exec_lo, s17
	s_cbranch_execz .LBB14_2075
; %bb.2054:                             ;   in Loop: Header=BB14_17 Depth=1
	s_mov_b32 s18, exec_lo
                                        ; implicit-def: $vgpr14
	v_cmpx_lt_i16_e32 7, v19
	s_xor_b32 s18, exec_lo, s18
	s_cbranch_execz .LBB14_2064
; %bb.2055:                             ;   in Loop: Header=BB14_17 Depth=1
	;; [unrolled: 6-line block ×4, first 2 shown]
	flat_load_b64 v[16:17], v[16:17]
	s_wait_loadcnt_dscnt 0x0
	v_cvt_f32_f64_e32 v14, v[16:17]
                                        ; implicit-def: $vgpr16_vgpr17
.LBB14_2058:                            ;   in Loop: Header=BB14_17 Depth=1
	s_wait_xcnt 0x0
	s_and_not1_saveexec_b32 s20, s20
	s_cbranch_execz .LBB14_2060
; %bb.2059:                             ;   in Loop: Header=BB14_17 Depth=1
	flat_load_b32 v14, v[16:17]
.LBB14_2060:                            ;   in Loop: Header=BB14_17 Depth=1
	s_wait_xcnt 0x0
	s_or_b32 exec_lo, exec_lo, s20
                                        ; implicit-def: $vgpr16_vgpr17
.LBB14_2061:                            ;   in Loop: Header=BB14_17 Depth=1
	s_and_not1_saveexec_b32 s19, s19
	s_cbranch_execz .LBB14_2063
; %bb.2062:                             ;   in Loop: Header=BB14_17 Depth=1
	s_wait_loadcnt_dscnt 0x0
	flat_load_b32 v14, v[16:17]
	s_wait_loadcnt_dscnt 0x0
	v_cvt_f32_f16_e32 v14, v14
.LBB14_2063:                            ;   in Loop: Header=BB14_17 Depth=1
	s_wait_xcnt 0x0
	s_or_b32 exec_lo, exec_lo, s19
                                        ; implicit-def: $vgpr16_vgpr17
                                        ; implicit-def: $vgpr19
.LBB14_2064:                            ;   in Loop: Header=BB14_17 Depth=1
	s_and_not1_saveexec_b32 s18, s18
	s_cbranch_execz .LBB14_2074
; %bb.2065:                             ;   in Loop: Header=BB14_17 Depth=1
	s_mov_b32 s19, exec_lo
                                        ; implicit-def: $vgpr14
	v_cmpx_lt_i16_e32 5, v19
	s_xor_b32 s19, exec_lo, s19
	s_cbranch_execz .LBB14_2071
; %bb.2066:                             ;   in Loop: Header=BB14_17 Depth=1
	s_mov_b32 s20, exec_lo
                                        ; implicit-def: $vgpr14
	v_cmpx_lt_i16_e32 6, v19
	s_xor_b32 s20, exec_lo, s20
	s_cbranch_execz .LBB14_2068
; %bb.2067:                             ;   in Loop: Header=BB14_17 Depth=1
	flat_load_b64 v[16:17], v[16:17]
	s_wait_loadcnt_dscnt 0x0
	v_cvt_f32_f64_e32 v14, v[16:17]
                                        ; implicit-def: $vgpr16_vgpr17
.LBB14_2068:                            ;   in Loop: Header=BB14_17 Depth=1
	s_wait_xcnt 0x0
	s_and_not1_saveexec_b32 s20, s20
	s_cbranch_execz .LBB14_2070
; %bb.2069:                             ;   in Loop: Header=BB14_17 Depth=1
	s_wait_loadcnt_dscnt 0x0
	flat_load_b32 v14, v[16:17]
.LBB14_2070:                            ;   in Loop: Header=BB14_17 Depth=1
	s_wait_xcnt 0x0
	s_or_b32 exec_lo, exec_lo, s20
                                        ; implicit-def: $vgpr16_vgpr17
.LBB14_2071:                            ;   in Loop: Header=BB14_17 Depth=1
	s_and_not1_saveexec_b32 s19, s19
	s_cbranch_execz .LBB14_2073
; %bb.2072:                             ;   in Loop: Header=BB14_17 Depth=1
	s_wait_loadcnt_dscnt 0x0
	flat_load_u16 v14, v[16:17]
	s_wait_loadcnt_dscnt 0x0
	v_cvt_f32_f16_e32 v14, v14
.LBB14_2073:                            ;   in Loop: Header=BB14_17 Depth=1
	s_wait_xcnt 0x0
	s_or_b32 exec_lo, exec_lo, s19
.LBB14_2074:                            ;   in Loop: Header=BB14_17 Depth=1
	s_delay_alu instid0(SALU_CYCLE_1)
	s_or_b32 exec_lo, exec_lo, s18
                                        ; implicit-def: $vgpr19
                                        ; implicit-def: $vgpr16_vgpr17
.LBB14_2075:                            ;   in Loop: Header=BB14_17 Depth=1
	s_and_not1_saveexec_b32 s17, s17
	s_cbranch_execz .LBB14_2093
; %bb.2076:                             ;   in Loop: Header=BB14_17 Depth=1
	s_mov_b32 s18, exec_lo
                                        ; implicit-def: $vgpr14
	v_cmpx_lt_i16_e32 1, v19
	s_xor_b32 s18, exec_lo, s18
	s_cbranch_execz .LBB14_2086
; %bb.2077:                             ;   in Loop: Header=BB14_17 Depth=1
	s_mov_b32 s19, exec_lo
                                        ; implicit-def: $vgpr14
	v_cmpx_lt_i16_e32 2, v19
	s_xor_b32 s19, exec_lo, s19
	;; [unrolled: 6-line block ×3, first 2 shown]
	s_cbranch_execz .LBB14_2080
; %bb.2079:                             ;   in Loop: Header=BB14_17 Depth=1
	flat_load_b64 v[16:17], v[16:17]
	s_wait_loadcnt_dscnt 0x0
	v_xor_b32_e32 v14, v16, v17
	v_cls_i32_e32 v19, v17
	s_delay_alu instid0(VALU_DEP_2) | instskip(NEXT) | instid1(VALU_DEP_1)
	v_ashrrev_i32_e32 v14, 31, v14
	v_add_nc_u32_e32 v14, 32, v14
	s_delay_alu instid0(VALU_DEP_1) | instskip(SKIP_1) | instid1(VALU_DEP_1)
	v_add_min_u32_e64 v14, v19, -1, v14
	s_wait_xcnt 0x0
	v_lshlrev_b64_e32 v[16:17], v14, v[16:17]
	v_sub_nc_u32_e32 v14, 32, v14
	s_delay_alu instid0(VALU_DEP_2) | instskip(NEXT) | instid1(VALU_DEP_1)
	v_min_u32_e32 v16, 1, v16
	v_or_b32_e32 v16, v17, v16
	s_delay_alu instid0(VALU_DEP_1) | instskip(NEXT) | instid1(VALU_DEP_1)
	v_cvt_f32_i32_e32 v16, v16
	v_ldexp_f32 v14, v16, v14
                                        ; implicit-def: $vgpr16_vgpr17
.LBB14_2080:                            ;   in Loop: Header=BB14_17 Depth=1
	s_and_not1_saveexec_b32 s20, s20
	s_cbranch_execz .LBB14_2082
; %bb.2081:                             ;   in Loop: Header=BB14_17 Depth=1
	s_wait_loadcnt_dscnt 0x0
	flat_load_b32 v14, v[16:17]
	s_wait_loadcnt_dscnt 0x0
	v_cvt_f32_i32_e32 v14, v14
.LBB14_2082:                            ;   in Loop: Header=BB14_17 Depth=1
	s_wait_xcnt 0x0
	s_or_b32 exec_lo, exec_lo, s20
                                        ; implicit-def: $vgpr16_vgpr17
.LBB14_2083:                            ;   in Loop: Header=BB14_17 Depth=1
	s_and_not1_saveexec_b32 s19, s19
	s_cbranch_execz .LBB14_2085
; %bb.2084:                             ;   in Loop: Header=BB14_17 Depth=1
	s_wait_loadcnt_dscnt 0x0
	flat_load_i16 v14, v[16:17]
	s_wait_loadcnt_dscnt 0x0
	v_cvt_f32_i32_e32 v14, v14
.LBB14_2085:                            ;   in Loop: Header=BB14_17 Depth=1
	s_wait_xcnt 0x0
	s_or_b32 exec_lo, exec_lo, s19
                                        ; implicit-def: $vgpr16_vgpr17
                                        ; implicit-def: $vgpr19
.LBB14_2086:                            ;   in Loop: Header=BB14_17 Depth=1
	s_and_not1_saveexec_b32 s18, s18
	s_cbranch_execz .LBB14_2092
; %bb.2087:                             ;   in Loop: Header=BB14_17 Depth=1
	s_mov_b32 s19, exec_lo
                                        ; implicit-def: $vgpr14
	v_cmpx_lt_i16_e32 0, v19
	s_xor_b32 s19, exec_lo, s19
	s_cbranch_execz .LBB14_2089
; %bb.2088:                             ;   in Loop: Header=BB14_17 Depth=1
	s_wait_loadcnt_dscnt 0x0
	flat_load_i8 v14, v[16:17]
                                        ; implicit-def: $vgpr16_vgpr17
	s_wait_loadcnt_dscnt 0x0
	v_cvt_f32_i32_e32 v14, v14
.LBB14_2089:                            ;   in Loop: Header=BB14_17 Depth=1
	s_wait_xcnt 0x0
	s_and_not1_saveexec_b32 s19, s19
	s_cbranch_execz .LBB14_2091
; %bb.2090:                             ;   in Loop: Header=BB14_17 Depth=1
	s_wait_loadcnt_dscnt 0x0
	flat_load_u8 v14, v[16:17]
	s_wait_loadcnt_dscnt 0x0
	v_cvt_f32_ubyte0_e32 v14, v14
.LBB14_2091:                            ;   in Loop: Header=BB14_17 Depth=1
	s_wait_xcnt 0x0
	s_or_b32 exec_lo, exec_lo, s19
.LBB14_2092:                            ;   in Loop: Header=BB14_17 Depth=1
	s_delay_alu instid0(SALU_CYCLE_1)
	s_or_b32 exec_lo, exec_lo, s18
.LBB14_2093:                            ;   in Loop: Header=BB14_17 Depth=1
	s_delay_alu instid0(SALU_CYCLE_1) | instskip(NEXT) | instid1(SALU_CYCLE_1)
	s_or_b32 exec_lo, exec_lo, s17
	s_or_b32 s16, s16, exec_lo
	s_or_b32 exec_lo, exec_lo, s12
	s_mov_b32 s17, 0
	s_and_saveexec_b32 s12, s16
	s_cbranch_execnz .LBB14_346
	s_branch .LBB14_347
.LBB14_2094:                            ;   in Loop: Header=BB14_17 Depth=1
	s_mov_b32 s13, -1
	s_mov_b32 s15, exec_lo
	v_cmpx_eq_u16_e32 0x80, v16
; %bb.2095:                             ;   in Loop: Header=BB14_17 Depth=1
	s_xor_b32 s13, exec_lo, -1
; %bb.2096:                             ;   in Loop: Header=BB14_17 Depth=1
	s_or_b32 exec_lo, exec_lo, s15
	s_delay_alu instid0(SALU_CYCLE_1)
	s_and_b32 s13, s13, exec_lo
	s_or_saveexec_b32 s14, s14
	v_mov_b32_e32 v14, 0x7f800001
	s_xor_b32 exec_lo, exec_lo, s14
	s_cbranch_execz .LBB14_46
.LBB14_2097:                            ;   in Loop: Header=BB14_17 Depth=1
	v_cmp_ne_u16_e32 vcc_lo, 0, v16
	v_mov_b32_e32 v14, 0
	s_and_not1_b32 s13, s13, exec_lo
	s_and_b32 s15, vcc_lo, exec_lo
	s_delay_alu instid0(SALU_CYCLE_1)
	s_or_b32 s13, s13, s15
	s_or_b32 exec_lo, exec_lo, s14
	s_and_saveexec_b32 s14, s13
	s_cbranch_execnz .LBB14_47
	s_branch .LBB14_48
.LBB14_2098:                            ;   in Loop: Header=BB14_17 Depth=1
	s_mov_b32 s19, exec_lo
                                        ; implicit-def: $vgpr14
	v_cmpx_lt_i16_e32 25, v19
	s_xor_b32 s19, exec_lo, s19
	s_cbranch_execz .LBB14_2130
; %bb.2099:                             ;   in Loop: Header=BB14_17 Depth=1
	s_mov_b32 s21, exec_lo
                                        ; implicit-def: $vgpr14
	v_cmpx_lt_i16_e32 28, v19
	s_xor_b32 s21, exec_lo, s21
	s_cbranch_execz .LBB14_2115
; %bb.2100:                             ;   in Loop: Header=BB14_17 Depth=1
	s_mov_b32 s22, 0
	s_mov_b32 s20, exec_lo
                                        ; implicit-def: $vgpr14
	v_cmpx_lt_i16_e32 43, v19
	s_xor_b32 s20, exec_lo, s20
	s_cbranch_execz .LBB14_2110
; %bb.2101:                             ;   in Loop: Header=BB14_17 Depth=1
	s_mov_b32 s23, exec_lo
                                        ; implicit-def: $vgpr14
	v_cmpx_lt_i16_e32 45, v19
	s_xor_b32 s23, exec_lo, s23
	s_cbranch_execz .LBB14_2105
; %bb.2102:                             ;   in Loop: Header=BB14_17 Depth=1
	s_mov_b32 s24, exec_lo
                                        ; implicit-def: $vgpr14
	v_cmpx_eq_u16_e32 46, v19
	s_cbranch_execz .LBB14_2104
; %bb.2103:                             ;   in Loop: Header=BB14_17 Depth=1
	flat_load_b32 v14, v[16:17]
	s_mov_b32 s22, exec_lo
	s_wait_loadcnt_dscnt 0x0
	v_lshlrev_b32_e32 v14, 16, v14
.LBB14_2104:                            ;   in Loop: Header=BB14_17 Depth=1
	s_wait_xcnt 0x0
	s_or_b32 exec_lo, exec_lo, s24
	s_delay_alu instid0(SALU_CYCLE_1)
	s_and_b32 s22, s22, exec_lo
                                        ; implicit-def: $vgpr19
                                        ; implicit-def: $vgpr16_vgpr17
.LBB14_2105:                            ;   in Loop: Header=BB14_17 Depth=1
	s_and_not1_saveexec_b32 s23, s23
	s_cbranch_execz .LBB14_2109
; %bb.2106:                             ;   in Loop: Header=BB14_17 Depth=1
	s_mov_b32 s25, s22
	s_mov_b32 s24, exec_lo
                                        ; implicit-def: $vgpr14
	v_cmpx_eq_u16_e32 44, v19
	s_cbranch_execz .LBB14_2108
; %bb.2107:                             ;   in Loop: Header=BB14_17 Depth=1
	flat_load_u8 v14, v[16:17]
	s_or_b32 s25, s22, exec_lo
	s_wait_loadcnt_dscnt 0x0
	v_lshlrev_b32_e32 v16, 23, v14
	v_cmp_ne_u32_e32 vcc_lo, 0xff, v14
	s_delay_alu instid0(VALU_DEP_2) | instskip(SKIP_1) | instid1(VALU_DEP_2)
	v_cndmask_b32_e32 v16, 0x7f800001, v16, vcc_lo
	v_cmp_ne_u32_e32 vcc_lo, 0, v14
	v_cndmask_b32_e32 v14, 0x400000, v16, vcc_lo
.LBB14_2108:                            ;   in Loop: Header=BB14_17 Depth=1
	s_or_b32 exec_lo, exec_lo, s24
	s_delay_alu instid0(SALU_CYCLE_1) | instskip(SKIP_1) | instid1(SALU_CYCLE_1)
	s_and_not1_b32 s22, s22, exec_lo
	s_and_b32 s24, s25, exec_lo
	s_or_b32 s22, s22, s24
.LBB14_2109:                            ;   in Loop: Header=BB14_17 Depth=1
	s_or_b32 exec_lo, exec_lo, s23
	s_delay_alu instid0(SALU_CYCLE_1)
	s_and_b32 s22, s22, exec_lo
                                        ; implicit-def: $vgpr19
                                        ; implicit-def: $vgpr16_vgpr17
.LBB14_2110:                            ;   in Loop: Header=BB14_17 Depth=1
	s_and_not1_saveexec_b32 s20, s20
	s_cbranch_execz .LBB14_2114
; %bb.2111:                             ;   in Loop: Header=BB14_17 Depth=1
	s_mov_b32 s24, s22
	s_mov_b32 s23, exec_lo
                                        ; implicit-def: $vgpr14
	v_cmpx_eq_u16_e32 29, v19
	s_cbranch_execz .LBB14_2113
; %bb.2112:                             ;   in Loop: Header=BB14_17 Depth=1
	flat_load_b64 v[16:17], v[16:17]
	s_or_b32 s24, s22, exec_lo
	s_wait_loadcnt_dscnt 0x0
	v_clz_i32_u32_e32 v14, v17
	s_delay_alu instid0(VALU_DEP_1) | instskip(SKIP_1) | instid1(VALU_DEP_1)
	v_min_u32_e32 v14, 32, v14
	s_wait_xcnt 0x0
	v_lshlrev_b64_e32 v[16:17], v14, v[16:17]
	v_sub_nc_u32_e32 v14, 32, v14
	s_delay_alu instid0(VALU_DEP_2) | instskip(NEXT) | instid1(VALU_DEP_1)
	v_min_u32_e32 v16, 1, v16
	v_or_b32_e32 v16, v17, v16
	s_delay_alu instid0(VALU_DEP_1) | instskip(NEXT) | instid1(VALU_DEP_1)
	v_cvt_f32_u32_e32 v16, v16
	v_ldexp_f32 v14, v16, v14
.LBB14_2113:                            ;   in Loop: Header=BB14_17 Depth=1
	s_or_b32 exec_lo, exec_lo, s23
	s_delay_alu instid0(SALU_CYCLE_1) | instskip(SKIP_1) | instid1(SALU_CYCLE_1)
	s_and_not1_b32 s22, s22, exec_lo
	s_and_b32 s23, s24, exec_lo
	s_or_b32 s22, s22, s23
.LBB14_2114:                            ;   in Loop: Header=BB14_17 Depth=1
	s_or_b32 exec_lo, exec_lo, s20
	s_delay_alu instid0(SALU_CYCLE_1)
	s_and_b32 s20, s22, exec_lo
                                        ; implicit-def: $vgpr19
                                        ; implicit-def: $vgpr16_vgpr17
.LBB14_2115:                            ;   in Loop: Header=BB14_17 Depth=1
	s_and_not1_saveexec_b32 s21, s21
	s_cbranch_execz .LBB14_2129
; %bb.2116:                             ;   in Loop: Header=BB14_17 Depth=1
	s_mov_b32 s22, exec_lo
                                        ; implicit-def: $vgpr14
	v_cmpx_lt_i16_e32 26, v19
	s_xor_b32 s22, exec_lo, s22
	s_cbranch_execz .LBB14_2122
; %bb.2117:                             ;   in Loop: Header=BB14_17 Depth=1
	s_mov_b32 s23, exec_lo
                                        ; implicit-def: $vgpr14
	v_cmpx_lt_i16_e32 27, v19
	s_xor_b32 s23, exec_lo, s23
	s_cbranch_execz .LBB14_2119
; %bb.2118:                             ;   in Loop: Header=BB14_17 Depth=1
	flat_load_b32 v14, v[16:17]
                                        ; implicit-def: $vgpr16_vgpr17
	s_wait_loadcnt_dscnt 0x0
	v_cvt_f32_u32_e32 v14, v14
.LBB14_2119:                            ;   in Loop: Header=BB14_17 Depth=1
	s_wait_xcnt 0x0
	s_and_not1_saveexec_b32 s23, s23
	s_cbranch_execz .LBB14_2121
; %bb.2120:                             ;   in Loop: Header=BB14_17 Depth=1
	flat_load_u16 v14, v[16:17]
	s_wait_loadcnt_dscnt 0x0
	v_cvt_f32_u32_e32 v14, v14
.LBB14_2121:                            ;   in Loop: Header=BB14_17 Depth=1
	s_wait_xcnt 0x0
	s_or_b32 exec_lo, exec_lo, s23
                                        ; implicit-def: $vgpr16_vgpr17
.LBB14_2122:                            ;   in Loop: Header=BB14_17 Depth=1
	s_and_not1_saveexec_b32 s22, s22
	s_cbranch_execz .LBB14_2128
; %bb.2123:                             ;   in Loop: Header=BB14_17 Depth=1
	flat_load_u8 v16, v[16:17]
	s_mov_b32 s23, 0
	s_mov_b32 s24, exec_lo
	s_wait_loadcnt_dscnt 0x0
	v_cmpx_lt_i16_e32 0x7f, v16
	s_xor_b32 s24, exec_lo, s24
	s_cbranch_execnz .LBB14_2654
; %bb.2124:                             ;   in Loop: Header=BB14_17 Depth=1
	s_or_saveexec_b32 s24, s24
	v_mov_b32_e32 v14, 0x7f800001
	s_xor_b32 exec_lo, exec_lo, s24
	s_cbranch_execnz .LBB14_2657
.LBB14_2125:                            ;   in Loop: Header=BB14_17 Depth=1
	s_or_b32 exec_lo, exec_lo, s24
	s_and_saveexec_b32 s24, s23
	s_cbranch_execz .LBB14_2127
.LBB14_2126:                            ;   in Loop: Header=BB14_17 Depth=1
	v_and_b32_e32 v14, 0xffff, v16
	s_delay_alu instid0(VALU_DEP_1) | instskip(SKIP_1) | instid1(VALU_DEP_2)
	v_and_b32_e32 v17, 7, v14
	v_bfe_u32 v21, v14, 3, 4
	v_clz_i32_u32_e32 v19, v17
	s_delay_alu instid0(VALU_DEP_2) | instskip(NEXT) | instid1(VALU_DEP_2)
	v_cmp_eq_u32_e32 vcc_lo, 0, v21
	v_min_u32_e32 v19, 32, v19
	s_delay_alu instid0(VALU_DEP_1) | instskip(NEXT) | instid1(VALU_DEP_1)
	v_subrev_nc_u32_e32 v20, 28, v19
	v_dual_lshlrev_b32 v14, v20, v14 :: v_dual_sub_nc_u32 v19, 29, v19
	s_delay_alu instid0(VALU_DEP_1) | instskip(NEXT) | instid1(VALU_DEP_2)
	v_dual_lshlrev_b32 v16, 24, v16 :: v_dual_bitop2_b32 v14, 7, v14 bitop3:0x40
	v_cndmask_b32_e32 v19, v21, v19, vcc_lo
	s_delay_alu instid0(VALU_DEP_2) | instskip(NEXT) | instid1(VALU_DEP_3)
	v_cndmask_b32_e32 v14, v17, v14, vcc_lo
	v_and_b32_e32 v16, 0x80000000, v16
	s_delay_alu instid0(VALU_DEP_3) | instskip(NEXT) | instid1(VALU_DEP_3)
	v_lshl_add_u32 v17, v19, 23, 0x3b800000
	v_lshlrev_b32_e32 v14, 20, v14
	s_delay_alu instid0(VALU_DEP_1)
	v_or3_b32 v14, v16, v17, v14
.LBB14_2127:                            ;   in Loop: Header=BB14_17 Depth=1
	s_or_b32 exec_lo, exec_lo, s24
.LBB14_2128:                            ;   in Loop: Header=BB14_17 Depth=1
	s_delay_alu instid0(SALU_CYCLE_1) | instskip(NEXT) | instid1(SALU_CYCLE_1)
	s_or_b32 exec_lo, exec_lo, s22
	s_or_b32 s20, s20, exec_lo
.LBB14_2129:                            ;   in Loop: Header=BB14_17 Depth=1
	s_or_b32 exec_lo, exec_lo, s21
	s_delay_alu instid0(SALU_CYCLE_1)
	s_and_b32 s20, s20, exec_lo
                                        ; implicit-def: $vgpr19
                                        ; implicit-def: $vgpr16_vgpr17
.LBB14_2130:                            ;   in Loop: Header=BB14_17 Depth=1
	s_and_not1_saveexec_b32 s19, s19
	s_cbranch_execz .LBB14_2156
; %bb.2131:                             ;   in Loop: Header=BB14_17 Depth=1
	s_mov_b32 s22, s20
	s_mov_b32 s21, exec_lo
                                        ; implicit-def: $vgpr14
	v_cmpx_lt_i16_e32 22, v19
	s_xor_b32 s21, exec_lo, s21
	s_cbranch_execz .LBB14_2145
; %bb.2132:                             ;   in Loop: Header=BB14_17 Depth=1
	s_mov_b32 s22, exec_lo
                                        ; implicit-def: $vgpr14
	v_cmpx_lt_i16_e32 23, v19
	s_xor_b32 s22, exec_lo, s22
	s_cbranch_execz .LBB14_2142
; %bb.2133:                             ;   in Loop: Header=BB14_17 Depth=1
	;; [unrolled: 6-line block ×3, first 2 shown]
	flat_load_u8 v16, v[16:17]
	s_mov_b32 s24, 0
	s_mov_b32 s25, exec_lo
	s_wait_loadcnt_dscnt 0x0
	v_cmpx_lt_i16_e32 0x7f, v16
	s_xor_b32 s25, exec_lo, s25
	s_cbranch_execnz .LBB14_2766
; %bb.2135:                             ;   in Loop: Header=BB14_17 Depth=1
	s_or_saveexec_b32 s25, s25
	v_mov_b32_e32 v14, 0x7f800001
	s_xor_b32 exec_lo, exec_lo, s25
	s_cbranch_execnz .LBB14_2769
.LBB14_2136:                            ;   in Loop: Header=BB14_17 Depth=1
	s_or_b32 exec_lo, exec_lo, s25
	s_and_saveexec_b32 s25, s24
	s_cbranch_execz .LBB14_2138
.LBB14_2137:                            ;   in Loop: Header=BB14_17 Depth=1
	v_and_b32_e32 v14, 0xffff, v16
	s_delay_alu instid0(VALU_DEP_1) | instskip(SKIP_1) | instid1(VALU_DEP_2)
	v_and_b32_e32 v17, 3, v14
	v_bfe_u32 v21, v14, 2, 5
	v_clz_i32_u32_e32 v19, v17
	s_delay_alu instid0(VALU_DEP_2) | instskip(NEXT) | instid1(VALU_DEP_2)
	v_cmp_eq_u32_e32 vcc_lo, 0, v21
	v_min_u32_e32 v19, 32, v19
	s_delay_alu instid0(VALU_DEP_1) | instskip(NEXT) | instid1(VALU_DEP_1)
	v_subrev_nc_u32_e32 v20, 29, v19
	v_dual_lshlrev_b32 v14, v20, v14 :: v_dual_sub_nc_u32 v19, 30, v19
	s_delay_alu instid0(VALU_DEP_1) | instskip(NEXT) | instid1(VALU_DEP_2)
	v_dual_lshlrev_b32 v16, 24, v16 :: v_dual_bitop2_b32 v14, 3, v14 bitop3:0x40
	v_cndmask_b32_e32 v19, v21, v19, vcc_lo
	s_delay_alu instid0(VALU_DEP_2) | instskip(NEXT) | instid1(VALU_DEP_3)
	v_cndmask_b32_e32 v14, v17, v14, vcc_lo
	v_and_b32_e32 v16, 0x80000000, v16
	s_delay_alu instid0(VALU_DEP_3) | instskip(NEXT) | instid1(VALU_DEP_3)
	v_lshl_add_u32 v17, v19, 23, 0x37800000
	v_lshlrev_b32_e32 v14, 21, v14
	s_delay_alu instid0(VALU_DEP_1)
	v_or3_b32 v14, v16, v17, v14
.LBB14_2138:                            ;   in Loop: Header=BB14_17 Depth=1
	s_or_b32 exec_lo, exec_lo, s25
                                        ; implicit-def: $vgpr16_vgpr17
.LBB14_2139:                            ;   in Loop: Header=BB14_17 Depth=1
	s_and_not1_saveexec_b32 s23, s23
	s_cbranch_execz .LBB14_2141
; %bb.2140:                             ;   in Loop: Header=BB14_17 Depth=1
	flat_load_u8 v14, v[16:17]
	s_wait_loadcnt_dscnt 0x0
	v_lshlrev_b32_e32 v14, 24, v14
	s_wait_xcnt 0x0
	s_delay_alu instid0(VALU_DEP_1) | instskip(NEXT) | instid1(VALU_DEP_1)
	v_and_b32_e32 v16, 0x7f000000, v14
	v_clz_i32_u32_e32 v17, v16
	v_add_nc_u32_e32 v20, 0x1000000, v16
	v_cmp_ne_u32_e32 vcc_lo, 0, v16
	s_delay_alu instid0(VALU_DEP_3) | instskip(NEXT) | instid1(VALU_DEP_1)
	v_min_u32_e32 v17, 32, v17
	v_sub_nc_u32_e64 v17, v17, 4 clamp
	s_delay_alu instid0(VALU_DEP_1) | instskip(NEXT) | instid1(VALU_DEP_1)
	v_dual_lshlrev_b32 v19, v17, v16 :: v_dual_lshlrev_b32 v17, 23, v17
	v_lshrrev_b32_e32 v19, 4, v19
	s_delay_alu instid0(VALU_DEP_1) | instskip(NEXT) | instid1(VALU_DEP_1)
	v_dual_sub_nc_u32 v17, v19, v17 :: v_dual_ashrrev_i32 v19, 8, v20
	v_add_nc_u32_e32 v17, 0x3c000000, v17
	s_delay_alu instid0(VALU_DEP_1) | instskip(NEXT) | instid1(VALU_DEP_1)
	v_and_or_b32 v17, 0x7f800000, v19, v17
	v_cndmask_b32_e32 v16, 0, v17, vcc_lo
	s_delay_alu instid0(VALU_DEP_1)
	v_and_or_b32 v14, 0x80000000, v14, v16
.LBB14_2141:                            ;   in Loop: Header=BB14_17 Depth=1
	s_or_b32 exec_lo, exec_lo, s23
                                        ; implicit-def: $vgpr16_vgpr17
.LBB14_2142:                            ;   in Loop: Header=BB14_17 Depth=1
	s_and_not1_saveexec_b32 s22, s22
	s_cbranch_execz .LBB14_2144
; %bb.2143:                             ;   in Loop: Header=BB14_17 Depth=1
	flat_load_u8 v14, v[16:17]
	s_wait_loadcnt_dscnt 0x0
	v_lshlrev_b32_e32 v16, 25, v14
	v_lshlrev_b16 v14, 8, v14
	s_delay_alu instid0(VALU_DEP_1) | instskip(SKIP_1) | instid1(VALU_DEP_2)
	v_and_or_b32 v19, 0x7f00, v14, 0.5
	v_bfe_i32 v14, v14, 0, 16
	v_dual_add_f32 v19, -0.5, v19 :: v_dual_lshrrev_b32 v17, 4, v16
	v_cmp_gt_u32_e32 vcc_lo, 0x8000000, v16
	s_delay_alu instid0(VALU_DEP_2) | instskip(NEXT) | instid1(VALU_DEP_1)
	v_or_b32_e32 v17, 0x70000000, v17
	v_mul_f32_e32 v17, 0x7800000, v17
	s_delay_alu instid0(VALU_DEP_1) | instskip(NEXT) | instid1(VALU_DEP_1)
	v_cndmask_b32_e32 v16, v17, v19, vcc_lo
	v_and_or_b32 v14, 0x80000000, v14, v16
.LBB14_2144:                            ;   in Loop: Header=BB14_17 Depth=1
	s_or_b32 exec_lo, exec_lo, s22
	s_delay_alu instid0(SALU_CYCLE_1)
	s_or_b32 s22, s20, exec_lo
                                        ; implicit-def: $vgpr19
                                        ; implicit-def: $vgpr16_vgpr17
.LBB14_2145:                            ;   in Loop: Header=BB14_17 Depth=1
	s_and_not1_saveexec_b32 s21, s21
	s_cbranch_execz .LBB14_2155
; %bb.2146:                             ;   in Loop: Header=BB14_17 Depth=1
	s_mov_b32 s23, s22
	s_mov_b32 s24, exec_lo
                                        ; implicit-def: $vgpr14
	v_cmpx_lt_i16_e32 14, v19
	s_xor_b32 s24, exec_lo, s24
	s_cbranch_execz .LBB14_2150
; %bb.2147:                             ;   in Loop: Header=BB14_17 Depth=1
	s_mov_b32 s23, s22
	s_mov_b32 s25, exec_lo
                                        ; implicit-def: $vgpr14
	v_cmpx_eq_u16_e32 15, v19
	s_cbranch_execz .LBB14_2149
; %bb.2148:                             ;   in Loop: Header=BB14_17 Depth=1
	flat_load_u16 v14, v[16:17]
	s_or_b32 s23, s22, exec_lo
	s_wait_loadcnt_dscnt 0x0
	v_lshlrev_b32_e32 v14, 16, v14
.LBB14_2149:                            ;   in Loop: Header=BB14_17 Depth=1
	s_wait_xcnt 0x0
	s_or_b32 exec_lo, exec_lo, s25
	s_delay_alu instid0(SALU_CYCLE_1) | instskip(SKIP_1) | instid1(SALU_CYCLE_1)
	s_and_not1_b32 s25, s22, exec_lo
	s_and_b32 s23, s23, exec_lo
                                        ; implicit-def: $vgpr19
                                        ; implicit-def: $vgpr16_vgpr17
	s_or_b32 s23, s25, s23
.LBB14_2150:                            ;   in Loop: Header=BB14_17 Depth=1
	s_and_not1_saveexec_b32 s24, s24
	s_cbranch_execz .LBB14_2154
; %bb.2151:                             ;   in Loop: Header=BB14_17 Depth=1
	s_mov_b32 s25, s23
	s_mov_b32 s26, exec_lo
                                        ; implicit-def: $vgpr14
	v_cmpx_eq_u16_e32 11, v19
	s_cbranch_execz .LBB14_2153
; %bb.2152:                             ;   in Loop: Header=BB14_17 Depth=1
	flat_load_u8 v14, v[16:17]
	s_or_b32 s25, s23, exec_lo
	s_wait_loadcnt_dscnt 0x0
	v_cmp_ne_u16_e32 vcc_lo, 0, v14
	v_cndmask_b32_e64 v14, 0, 1.0, vcc_lo
.LBB14_2153:                            ;   in Loop: Header=BB14_17 Depth=1
	s_wait_xcnt 0x0
	s_or_b32 exec_lo, exec_lo, s26
	s_delay_alu instid0(SALU_CYCLE_1) | instskip(SKIP_1) | instid1(SALU_CYCLE_1)
	s_and_not1_b32 s23, s23, exec_lo
	s_and_b32 s25, s25, exec_lo
	s_or_b32 s23, s23, s25
.LBB14_2154:                            ;   in Loop: Header=BB14_17 Depth=1
	s_or_b32 exec_lo, exec_lo, s24
	s_delay_alu instid0(SALU_CYCLE_1) | instskip(SKIP_1) | instid1(SALU_CYCLE_1)
	s_and_not1_b32 s22, s22, exec_lo
	s_and_b32 s23, s23, exec_lo
	s_or_b32 s22, s22, s23
.LBB14_2155:                            ;   in Loop: Header=BB14_17 Depth=1
	s_or_b32 exec_lo, exec_lo, s21
	s_delay_alu instid0(SALU_CYCLE_1) | instskip(SKIP_1) | instid1(SALU_CYCLE_1)
	s_and_not1_b32 s20, s20, exec_lo
	s_and_b32 s21, s22, exec_lo
	s_or_b32 s20, s20, s21
.LBB14_2156:                            ;   in Loop: Header=BB14_17 Depth=1
	s_or_b32 exec_lo, exec_lo, s19
	s_delay_alu instid0(SALU_CYCLE_1)
	s_and_b32 s19, s20, exec_lo
                                        ; implicit-def: $vgpr19
                                        ; implicit-def: $vgpr16_vgpr17
	s_and_not1_saveexec_b32 s15, s15
	s_cbranch_execz .LBB14_456
.LBB14_2157:                            ;   in Loop: Header=BB14_17 Depth=1
	s_mov_b32 s20, exec_lo
                                        ; implicit-def: $vgpr14
	v_cmpx_lt_i16_e32 4, v19
	s_xor_b32 s20, exec_lo, s20
	s_cbranch_execz .LBB14_2179
; %bb.2158:                             ;   in Loop: Header=BB14_17 Depth=1
	s_mov_b32 s21, exec_lo
                                        ; implicit-def: $vgpr14
	v_cmpx_lt_i16_e32 7, v19
	s_xor_b32 s21, exec_lo, s21
	s_cbranch_execz .LBB14_2168
; %bb.2159:                             ;   in Loop: Header=BB14_17 Depth=1
	;; [unrolled: 6-line block ×4, first 2 shown]
	flat_load_b64 v[16:17], v[16:17]
	s_wait_loadcnt_dscnt 0x0
	v_cvt_f32_f64_e32 v14, v[16:17]
                                        ; implicit-def: $vgpr16_vgpr17
.LBB14_2162:                            ;   in Loop: Header=BB14_17 Depth=1
	s_wait_xcnt 0x0
	s_and_not1_saveexec_b32 s23, s23
	s_cbranch_execz .LBB14_2164
; %bb.2163:                             ;   in Loop: Header=BB14_17 Depth=1
	flat_load_b32 v14, v[16:17]
.LBB14_2164:                            ;   in Loop: Header=BB14_17 Depth=1
	s_wait_xcnt 0x0
	s_or_b32 exec_lo, exec_lo, s23
                                        ; implicit-def: $vgpr16_vgpr17
.LBB14_2165:                            ;   in Loop: Header=BB14_17 Depth=1
	s_and_not1_saveexec_b32 s22, s22
	s_cbranch_execz .LBB14_2167
; %bb.2166:                             ;   in Loop: Header=BB14_17 Depth=1
	s_wait_loadcnt_dscnt 0x0
	flat_load_b32 v14, v[16:17]
	s_wait_loadcnt_dscnt 0x0
	v_cvt_f32_f16_e32 v14, v14
.LBB14_2167:                            ;   in Loop: Header=BB14_17 Depth=1
	s_wait_xcnt 0x0
	s_or_b32 exec_lo, exec_lo, s22
                                        ; implicit-def: $vgpr16_vgpr17
                                        ; implicit-def: $vgpr19
.LBB14_2168:                            ;   in Loop: Header=BB14_17 Depth=1
	s_and_not1_saveexec_b32 s21, s21
	s_cbranch_execz .LBB14_2178
; %bb.2169:                             ;   in Loop: Header=BB14_17 Depth=1
	s_mov_b32 s22, exec_lo
                                        ; implicit-def: $vgpr14
	v_cmpx_lt_i16_e32 5, v19
	s_xor_b32 s22, exec_lo, s22
	s_cbranch_execz .LBB14_2175
; %bb.2170:                             ;   in Loop: Header=BB14_17 Depth=1
	s_mov_b32 s23, exec_lo
                                        ; implicit-def: $vgpr14
	v_cmpx_lt_i16_e32 6, v19
	s_xor_b32 s23, exec_lo, s23
	s_cbranch_execz .LBB14_2172
; %bb.2171:                             ;   in Loop: Header=BB14_17 Depth=1
	flat_load_b64 v[16:17], v[16:17]
	s_wait_loadcnt_dscnt 0x0
	v_cvt_f32_f64_e32 v14, v[16:17]
                                        ; implicit-def: $vgpr16_vgpr17
.LBB14_2172:                            ;   in Loop: Header=BB14_17 Depth=1
	s_wait_xcnt 0x0
	s_and_not1_saveexec_b32 s23, s23
	s_cbranch_execz .LBB14_2174
; %bb.2173:                             ;   in Loop: Header=BB14_17 Depth=1
	s_wait_loadcnt_dscnt 0x0
	flat_load_b32 v14, v[16:17]
.LBB14_2174:                            ;   in Loop: Header=BB14_17 Depth=1
	s_wait_xcnt 0x0
	s_or_b32 exec_lo, exec_lo, s23
                                        ; implicit-def: $vgpr16_vgpr17
.LBB14_2175:                            ;   in Loop: Header=BB14_17 Depth=1
	s_and_not1_saveexec_b32 s22, s22
	s_cbranch_execz .LBB14_2177
; %bb.2176:                             ;   in Loop: Header=BB14_17 Depth=1
	s_wait_loadcnt_dscnt 0x0
	flat_load_u16 v14, v[16:17]
	s_wait_loadcnt_dscnt 0x0
	v_cvt_f32_f16_e32 v14, v14
.LBB14_2177:                            ;   in Loop: Header=BB14_17 Depth=1
	s_wait_xcnt 0x0
	s_or_b32 exec_lo, exec_lo, s22
.LBB14_2178:                            ;   in Loop: Header=BB14_17 Depth=1
	s_delay_alu instid0(SALU_CYCLE_1)
	s_or_b32 exec_lo, exec_lo, s21
                                        ; implicit-def: $vgpr19
                                        ; implicit-def: $vgpr16_vgpr17
.LBB14_2179:                            ;   in Loop: Header=BB14_17 Depth=1
	s_and_not1_saveexec_b32 s20, s20
	s_cbranch_execz .LBB14_2197
; %bb.2180:                             ;   in Loop: Header=BB14_17 Depth=1
	s_mov_b32 s21, exec_lo
                                        ; implicit-def: $vgpr14
	v_cmpx_lt_i16_e32 1, v19
	s_xor_b32 s21, exec_lo, s21
	s_cbranch_execz .LBB14_2190
; %bb.2181:                             ;   in Loop: Header=BB14_17 Depth=1
	s_mov_b32 s22, exec_lo
                                        ; implicit-def: $vgpr14
	v_cmpx_lt_i16_e32 2, v19
	s_xor_b32 s22, exec_lo, s22
	;; [unrolled: 6-line block ×3, first 2 shown]
	s_cbranch_execz .LBB14_2184
; %bb.2183:                             ;   in Loop: Header=BB14_17 Depth=1
	flat_load_b64 v[16:17], v[16:17]
	s_wait_loadcnt_dscnt 0x0
	v_xor_b32_e32 v14, v16, v17
	v_cls_i32_e32 v19, v17
	s_delay_alu instid0(VALU_DEP_2) | instskip(NEXT) | instid1(VALU_DEP_1)
	v_ashrrev_i32_e32 v14, 31, v14
	v_add_nc_u32_e32 v14, 32, v14
	s_delay_alu instid0(VALU_DEP_1) | instskip(SKIP_1) | instid1(VALU_DEP_1)
	v_add_min_u32_e64 v14, v19, -1, v14
	s_wait_xcnt 0x0
	v_lshlrev_b64_e32 v[16:17], v14, v[16:17]
	v_sub_nc_u32_e32 v14, 32, v14
	s_delay_alu instid0(VALU_DEP_2) | instskip(NEXT) | instid1(VALU_DEP_1)
	v_min_u32_e32 v16, 1, v16
	v_or_b32_e32 v16, v17, v16
	s_delay_alu instid0(VALU_DEP_1) | instskip(NEXT) | instid1(VALU_DEP_1)
	v_cvt_f32_i32_e32 v16, v16
	v_ldexp_f32 v14, v16, v14
                                        ; implicit-def: $vgpr16_vgpr17
.LBB14_2184:                            ;   in Loop: Header=BB14_17 Depth=1
	s_and_not1_saveexec_b32 s23, s23
	s_cbranch_execz .LBB14_2186
; %bb.2185:                             ;   in Loop: Header=BB14_17 Depth=1
	s_wait_loadcnt_dscnt 0x0
	flat_load_b32 v14, v[16:17]
	s_wait_loadcnt_dscnt 0x0
	v_cvt_f32_i32_e32 v14, v14
.LBB14_2186:                            ;   in Loop: Header=BB14_17 Depth=1
	s_wait_xcnt 0x0
	s_or_b32 exec_lo, exec_lo, s23
                                        ; implicit-def: $vgpr16_vgpr17
.LBB14_2187:                            ;   in Loop: Header=BB14_17 Depth=1
	s_and_not1_saveexec_b32 s22, s22
	s_cbranch_execz .LBB14_2189
; %bb.2188:                             ;   in Loop: Header=BB14_17 Depth=1
	s_wait_loadcnt_dscnt 0x0
	flat_load_i16 v14, v[16:17]
	s_wait_loadcnt_dscnt 0x0
	v_cvt_f32_i32_e32 v14, v14
.LBB14_2189:                            ;   in Loop: Header=BB14_17 Depth=1
	s_wait_xcnt 0x0
	s_or_b32 exec_lo, exec_lo, s22
                                        ; implicit-def: $vgpr16_vgpr17
                                        ; implicit-def: $vgpr19
.LBB14_2190:                            ;   in Loop: Header=BB14_17 Depth=1
	s_and_not1_saveexec_b32 s21, s21
	s_cbranch_execz .LBB14_2196
; %bb.2191:                             ;   in Loop: Header=BB14_17 Depth=1
	s_mov_b32 s22, exec_lo
                                        ; implicit-def: $vgpr14
	v_cmpx_lt_i16_e32 0, v19
	s_xor_b32 s22, exec_lo, s22
	s_cbranch_execz .LBB14_2193
; %bb.2192:                             ;   in Loop: Header=BB14_17 Depth=1
	s_wait_loadcnt_dscnt 0x0
	flat_load_i8 v14, v[16:17]
                                        ; implicit-def: $vgpr16_vgpr17
	s_wait_loadcnt_dscnt 0x0
	v_cvt_f32_i32_e32 v14, v14
.LBB14_2193:                            ;   in Loop: Header=BB14_17 Depth=1
	s_wait_xcnt 0x0
	s_and_not1_saveexec_b32 s22, s22
	s_cbranch_execz .LBB14_2195
; %bb.2194:                             ;   in Loop: Header=BB14_17 Depth=1
	s_wait_loadcnt_dscnt 0x0
	flat_load_u8 v14, v[16:17]
	s_wait_loadcnt_dscnt 0x0
	v_cvt_f32_ubyte0_e32 v14, v14
.LBB14_2195:                            ;   in Loop: Header=BB14_17 Depth=1
	s_wait_xcnt 0x0
	s_or_b32 exec_lo, exec_lo, s22
.LBB14_2196:                            ;   in Loop: Header=BB14_17 Depth=1
	s_delay_alu instid0(SALU_CYCLE_1)
	s_or_b32 exec_lo, exec_lo, s21
.LBB14_2197:                            ;   in Loop: Header=BB14_17 Depth=1
	s_delay_alu instid0(SALU_CYCLE_1) | instskip(NEXT) | instid1(SALU_CYCLE_1)
	s_or_b32 exec_lo, exec_lo, s20
	s_or_b32 s19, s19, exec_lo
	s_or_b32 exec_lo, exec_lo, s15
	s_mov_b32 s20, 0
	s_and_saveexec_b32 s15, s19
	s_cbranch_execnz .LBB14_457
	s_branch .LBB14_458
.LBB14_2198:                            ;   in Loop: Header=BB14_17 Depth=1
	s_mov_b32 s14, -1
	s_mov_b32 s16, exec_lo
	v_cmpx_eq_u16_e32 0x80, v16
; %bb.2199:                             ;   in Loop: Header=BB14_17 Depth=1
	s_xor_b32 s14, exec_lo, -1
; %bb.2200:                             ;   in Loop: Header=BB14_17 Depth=1
	s_or_b32 exec_lo, exec_lo, s16
	s_delay_alu instid0(SALU_CYCLE_1)
	s_and_b32 s14, s14, exec_lo
	s_or_saveexec_b32 s15, s15
	v_mov_b32_e32 v14, 0x7f800001
	s_xor_b32 exec_lo, exec_lo, s15
	s_cbranch_execz .LBB14_57
.LBB14_2201:                            ;   in Loop: Header=BB14_17 Depth=1
	v_cmp_ne_u16_e32 vcc_lo, 0, v16
	v_mov_b32_e32 v14, 0
	s_and_not1_b32 s14, s14, exec_lo
	s_and_b32 s16, vcc_lo, exec_lo
	s_delay_alu instid0(SALU_CYCLE_1)
	s_or_b32 s14, s14, s16
	s_or_b32 exec_lo, exec_lo, s15
	s_and_saveexec_b32 s15, s14
	s_cbranch_execnz .LBB14_58
	s_branch .LBB14_59
.LBB14_2202:                            ;   in Loop: Header=BB14_17 Depth=1
	s_mov_b32 s15, -1
	s_mov_b32 s17, exec_lo
	v_cmpx_eq_u16_e32 0x80, v16
; %bb.2203:                             ;   in Loop: Header=BB14_17 Depth=1
	s_xor_b32 s15, exec_lo, -1
; %bb.2204:                             ;   in Loop: Header=BB14_17 Depth=1
	s_or_b32 exec_lo, exec_lo, s17
	s_delay_alu instid0(SALU_CYCLE_1)
	s_and_b32 s15, s15, exec_lo
	s_or_saveexec_b32 s16, s16
	v_mov_b32_e32 v14, 0x7f800001
	s_xor_b32 exec_lo, exec_lo, s16
	s_cbranch_execz .LBB14_157
.LBB14_2205:                            ;   in Loop: Header=BB14_17 Depth=1
	v_cmp_ne_u16_e32 vcc_lo, 0, v16
	v_mov_b32_e32 v14, 0
	s_and_not1_b32 s15, s15, exec_lo
	s_and_b32 s17, vcc_lo, exec_lo
	s_delay_alu instid0(SALU_CYCLE_1)
	s_or_b32 s15, s15, s17
	s_or_b32 exec_lo, exec_lo, s16
	s_and_saveexec_b32 s16, s15
	s_cbranch_execnz .LBB14_158
	s_branch .LBB14_159
.LBB14_2206:                            ;   in Loop: Header=BB14_17 Depth=1
	s_mov_b32 s22, exec_lo
                                        ; implicit-def: $vgpr14
	v_cmpx_lt_i16_e32 25, v19
	s_xor_b32 s22, exec_lo, s22
	s_cbranch_execz .LBB14_2238
; %bb.2207:                             ;   in Loop: Header=BB14_17 Depth=1
	s_mov_b32 s24, exec_lo
                                        ; implicit-def: $vgpr14
	v_cmpx_lt_i16_e32 28, v19
	s_xor_b32 s24, exec_lo, s24
	s_cbranch_execz .LBB14_2223
; %bb.2208:                             ;   in Loop: Header=BB14_17 Depth=1
	s_mov_b32 s25, 0
	s_mov_b32 s23, exec_lo
                                        ; implicit-def: $vgpr14
	v_cmpx_lt_i16_e32 43, v19
	s_xor_b32 s23, exec_lo, s23
	s_cbranch_execz .LBB14_2218
; %bb.2209:                             ;   in Loop: Header=BB14_17 Depth=1
	s_mov_b32 s26, exec_lo
                                        ; implicit-def: $vgpr14
	v_cmpx_lt_i16_e32 45, v19
	s_xor_b32 s26, exec_lo, s26
	s_cbranch_execz .LBB14_2213
; %bb.2210:                             ;   in Loop: Header=BB14_17 Depth=1
	s_mov_b32 s27, exec_lo
                                        ; implicit-def: $vgpr14
	v_cmpx_eq_u16_e32 46, v19
	s_cbranch_execz .LBB14_2212
; %bb.2211:                             ;   in Loop: Header=BB14_17 Depth=1
	flat_load_b32 v14, v[16:17]
	s_mov_b32 s25, exec_lo
	s_wait_loadcnt_dscnt 0x0
	v_lshlrev_b32_e32 v14, 16, v14
.LBB14_2212:                            ;   in Loop: Header=BB14_17 Depth=1
	s_wait_xcnt 0x0
	s_or_b32 exec_lo, exec_lo, s27
	s_delay_alu instid0(SALU_CYCLE_1)
	s_and_b32 s25, s25, exec_lo
                                        ; implicit-def: $vgpr19
                                        ; implicit-def: $vgpr16_vgpr17
.LBB14_2213:                            ;   in Loop: Header=BB14_17 Depth=1
	s_and_not1_saveexec_b32 s26, s26
	s_cbranch_execz .LBB14_2217
; %bb.2214:                             ;   in Loop: Header=BB14_17 Depth=1
	s_mov_b32 s28, s25
	s_mov_b32 s27, exec_lo
                                        ; implicit-def: $vgpr14
	v_cmpx_eq_u16_e32 44, v19
	s_cbranch_execz .LBB14_2216
; %bb.2215:                             ;   in Loop: Header=BB14_17 Depth=1
	flat_load_u8 v14, v[16:17]
	s_or_b32 s28, s25, exec_lo
	s_wait_loadcnt_dscnt 0x0
	v_lshlrev_b32_e32 v16, 23, v14
	v_cmp_ne_u32_e32 vcc_lo, 0xff, v14
	s_delay_alu instid0(VALU_DEP_2) | instskip(SKIP_1) | instid1(VALU_DEP_2)
	v_cndmask_b32_e32 v16, 0x7f800001, v16, vcc_lo
	v_cmp_ne_u32_e32 vcc_lo, 0, v14
	v_cndmask_b32_e32 v14, 0x400000, v16, vcc_lo
.LBB14_2216:                            ;   in Loop: Header=BB14_17 Depth=1
	s_or_b32 exec_lo, exec_lo, s27
	s_delay_alu instid0(SALU_CYCLE_1) | instskip(SKIP_1) | instid1(SALU_CYCLE_1)
	s_and_not1_b32 s25, s25, exec_lo
	s_and_b32 s27, s28, exec_lo
	s_or_b32 s25, s25, s27
.LBB14_2217:                            ;   in Loop: Header=BB14_17 Depth=1
	s_or_b32 exec_lo, exec_lo, s26
	s_delay_alu instid0(SALU_CYCLE_1)
	s_and_b32 s25, s25, exec_lo
                                        ; implicit-def: $vgpr19
                                        ; implicit-def: $vgpr16_vgpr17
.LBB14_2218:                            ;   in Loop: Header=BB14_17 Depth=1
	s_and_not1_saveexec_b32 s23, s23
	s_cbranch_execz .LBB14_2222
; %bb.2219:                             ;   in Loop: Header=BB14_17 Depth=1
	s_mov_b32 s27, s25
	s_mov_b32 s26, exec_lo
                                        ; implicit-def: $vgpr14
	v_cmpx_eq_u16_e32 29, v19
	s_cbranch_execz .LBB14_2221
; %bb.2220:                             ;   in Loop: Header=BB14_17 Depth=1
	flat_load_b64 v[16:17], v[16:17]
	s_or_b32 s27, s25, exec_lo
	s_wait_loadcnt_dscnt 0x0
	v_clz_i32_u32_e32 v14, v17
	s_delay_alu instid0(VALU_DEP_1) | instskip(SKIP_1) | instid1(VALU_DEP_1)
	v_min_u32_e32 v14, 32, v14
	s_wait_xcnt 0x0
	v_lshlrev_b64_e32 v[16:17], v14, v[16:17]
	v_sub_nc_u32_e32 v14, 32, v14
	s_delay_alu instid0(VALU_DEP_2) | instskip(NEXT) | instid1(VALU_DEP_1)
	v_min_u32_e32 v16, 1, v16
	v_or_b32_e32 v16, v17, v16
	s_delay_alu instid0(VALU_DEP_1) | instskip(NEXT) | instid1(VALU_DEP_1)
	v_cvt_f32_u32_e32 v16, v16
	v_ldexp_f32 v14, v16, v14
.LBB14_2221:                            ;   in Loop: Header=BB14_17 Depth=1
	s_or_b32 exec_lo, exec_lo, s26
	s_delay_alu instid0(SALU_CYCLE_1) | instskip(SKIP_1) | instid1(SALU_CYCLE_1)
	s_and_not1_b32 s25, s25, exec_lo
	s_and_b32 s26, s27, exec_lo
	s_or_b32 s25, s25, s26
.LBB14_2222:                            ;   in Loop: Header=BB14_17 Depth=1
	s_or_b32 exec_lo, exec_lo, s23
	s_delay_alu instid0(SALU_CYCLE_1)
	s_and_b32 s23, s25, exec_lo
                                        ; implicit-def: $vgpr19
                                        ; implicit-def: $vgpr16_vgpr17
.LBB14_2223:                            ;   in Loop: Header=BB14_17 Depth=1
	s_and_not1_saveexec_b32 s24, s24
	s_cbranch_execz .LBB14_2237
; %bb.2224:                             ;   in Loop: Header=BB14_17 Depth=1
	s_mov_b32 s25, exec_lo
                                        ; implicit-def: $vgpr14
	v_cmpx_lt_i16_e32 26, v19
	s_xor_b32 s25, exec_lo, s25
	s_cbranch_execz .LBB14_2230
; %bb.2225:                             ;   in Loop: Header=BB14_17 Depth=1
	s_mov_b32 s26, exec_lo
                                        ; implicit-def: $vgpr14
	v_cmpx_lt_i16_e32 27, v19
	s_xor_b32 s26, exec_lo, s26
	s_cbranch_execz .LBB14_2227
; %bb.2226:                             ;   in Loop: Header=BB14_17 Depth=1
	flat_load_b32 v14, v[16:17]
                                        ; implicit-def: $vgpr16_vgpr17
	s_wait_loadcnt_dscnt 0x0
	v_cvt_f32_u32_e32 v14, v14
.LBB14_2227:                            ;   in Loop: Header=BB14_17 Depth=1
	s_wait_xcnt 0x0
	s_and_not1_saveexec_b32 s26, s26
	s_cbranch_execz .LBB14_2229
; %bb.2228:                             ;   in Loop: Header=BB14_17 Depth=1
	flat_load_u16 v14, v[16:17]
	s_wait_loadcnt_dscnt 0x0
	v_cvt_f32_u32_e32 v14, v14
.LBB14_2229:                            ;   in Loop: Header=BB14_17 Depth=1
	s_wait_xcnt 0x0
	s_or_b32 exec_lo, exec_lo, s26
                                        ; implicit-def: $vgpr16_vgpr17
.LBB14_2230:                            ;   in Loop: Header=BB14_17 Depth=1
	s_and_not1_saveexec_b32 s25, s25
	s_cbranch_execz .LBB14_2236
; %bb.2231:                             ;   in Loop: Header=BB14_17 Depth=1
	flat_load_u8 v16, v[16:17]
	s_mov_b32 s26, 0
	s_mov_b32 s27, exec_lo
	s_wait_loadcnt_dscnt 0x0
	v_cmpx_lt_i16_e32 0x7f, v16
	s_xor_b32 s27, exec_lo, s27
	s_cbranch_execnz .LBB14_2770
; %bb.2232:                             ;   in Loop: Header=BB14_17 Depth=1
	s_or_saveexec_b32 s27, s27
	v_mov_b32_e32 v14, 0x7f800001
	s_xor_b32 exec_lo, exec_lo, s27
	s_cbranch_execnz .LBB14_2773
.LBB14_2233:                            ;   in Loop: Header=BB14_17 Depth=1
	s_or_b32 exec_lo, exec_lo, s27
	s_and_saveexec_b32 s27, s26
	s_cbranch_execz .LBB14_2235
.LBB14_2234:                            ;   in Loop: Header=BB14_17 Depth=1
	v_and_b32_e32 v14, 0xffff, v16
	s_delay_alu instid0(VALU_DEP_1) | instskip(SKIP_1) | instid1(VALU_DEP_2)
	v_and_b32_e32 v17, 7, v14
	v_bfe_u32 v21, v14, 3, 4
	v_clz_i32_u32_e32 v19, v17
	s_delay_alu instid0(VALU_DEP_2) | instskip(NEXT) | instid1(VALU_DEP_2)
	v_cmp_eq_u32_e32 vcc_lo, 0, v21
	v_min_u32_e32 v19, 32, v19
	s_delay_alu instid0(VALU_DEP_1) | instskip(NEXT) | instid1(VALU_DEP_1)
	v_subrev_nc_u32_e32 v20, 28, v19
	v_dual_lshlrev_b32 v14, v20, v14 :: v_dual_sub_nc_u32 v19, 29, v19
	s_delay_alu instid0(VALU_DEP_1) | instskip(NEXT) | instid1(VALU_DEP_2)
	v_dual_lshlrev_b32 v16, 24, v16 :: v_dual_bitop2_b32 v14, 7, v14 bitop3:0x40
	v_cndmask_b32_e32 v19, v21, v19, vcc_lo
	s_delay_alu instid0(VALU_DEP_2) | instskip(NEXT) | instid1(VALU_DEP_3)
	v_cndmask_b32_e32 v14, v17, v14, vcc_lo
	v_and_b32_e32 v16, 0x80000000, v16
	s_delay_alu instid0(VALU_DEP_3) | instskip(NEXT) | instid1(VALU_DEP_3)
	v_lshl_add_u32 v17, v19, 23, 0x3b800000
	v_lshlrev_b32_e32 v14, 20, v14
	s_delay_alu instid0(VALU_DEP_1)
	v_or3_b32 v14, v16, v17, v14
.LBB14_2235:                            ;   in Loop: Header=BB14_17 Depth=1
	s_or_b32 exec_lo, exec_lo, s27
.LBB14_2236:                            ;   in Loop: Header=BB14_17 Depth=1
	s_delay_alu instid0(SALU_CYCLE_1) | instskip(NEXT) | instid1(SALU_CYCLE_1)
	s_or_b32 exec_lo, exec_lo, s25
	s_or_b32 s23, s23, exec_lo
.LBB14_2237:                            ;   in Loop: Header=BB14_17 Depth=1
	s_or_b32 exec_lo, exec_lo, s24
	s_delay_alu instid0(SALU_CYCLE_1)
	s_and_b32 s23, s23, exec_lo
                                        ; implicit-def: $vgpr19
                                        ; implicit-def: $vgpr16_vgpr17
.LBB14_2238:                            ;   in Loop: Header=BB14_17 Depth=1
	s_and_not1_saveexec_b32 s22, s22
	s_cbranch_execz .LBB14_2264
; %bb.2239:                             ;   in Loop: Header=BB14_17 Depth=1
	s_mov_b32 s25, s23
	s_mov_b32 s24, exec_lo
                                        ; implicit-def: $vgpr14
	v_cmpx_lt_i16_e32 22, v19
	s_xor_b32 s24, exec_lo, s24
	s_cbranch_execz .LBB14_2253
; %bb.2240:                             ;   in Loop: Header=BB14_17 Depth=1
	s_mov_b32 s25, exec_lo
                                        ; implicit-def: $vgpr14
	v_cmpx_lt_i16_e32 23, v19
	s_xor_b32 s25, exec_lo, s25
	s_cbranch_execz .LBB14_2250
; %bb.2241:                             ;   in Loop: Header=BB14_17 Depth=1
	;; [unrolled: 6-line block ×3, first 2 shown]
	flat_load_u8 v16, v[16:17]
	s_mov_b32 s27, 0
	s_mov_b32 s28, exec_lo
	s_wait_loadcnt_dscnt 0x0
	v_cmpx_lt_i16_e32 0x7f, v16
	s_xor_b32 s28, exec_lo, s28
	s_cbranch_execnz .LBB14_2882
; %bb.2243:                             ;   in Loop: Header=BB14_17 Depth=1
	s_or_saveexec_b32 s28, s28
	v_mov_b32_e32 v14, 0x7f800001
	s_xor_b32 exec_lo, exec_lo, s28
	s_cbranch_execnz .LBB14_2885
.LBB14_2244:                            ;   in Loop: Header=BB14_17 Depth=1
	s_or_b32 exec_lo, exec_lo, s28
	s_and_saveexec_b32 s28, s27
	s_cbranch_execz .LBB14_2246
.LBB14_2245:                            ;   in Loop: Header=BB14_17 Depth=1
	v_and_b32_e32 v14, 0xffff, v16
	s_delay_alu instid0(VALU_DEP_1) | instskip(SKIP_1) | instid1(VALU_DEP_2)
	v_and_b32_e32 v17, 3, v14
	v_bfe_u32 v21, v14, 2, 5
	v_clz_i32_u32_e32 v19, v17
	s_delay_alu instid0(VALU_DEP_2) | instskip(NEXT) | instid1(VALU_DEP_2)
	v_cmp_eq_u32_e32 vcc_lo, 0, v21
	v_min_u32_e32 v19, 32, v19
	s_delay_alu instid0(VALU_DEP_1) | instskip(NEXT) | instid1(VALU_DEP_1)
	v_subrev_nc_u32_e32 v20, 29, v19
	v_dual_lshlrev_b32 v14, v20, v14 :: v_dual_sub_nc_u32 v19, 30, v19
	s_delay_alu instid0(VALU_DEP_1) | instskip(NEXT) | instid1(VALU_DEP_2)
	v_dual_lshlrev_b32 v16, 24, v16 :: v_dual_bitop2_b32 v14, 3, v14 bitop3:0x40
	v_cndmask_b32_e32 v19, v21, v19, vcc_lo
	s_delay_alu instid0(VALU_DEP_2) | instskip(NEXT) | instid1(VALU_DEP_3)
	v_cndmask_b32_e32 v14, v17, v14, vcc_lo
	v_and_b32_e32 v16, 0x80000000, v16
	s_delay_alu instid0(VALU_DEP_3) | instskip(NEXT) | instid1(VALU_DEP_3)
	v_lshl_add_u32 v17, v19, 23, 0x37800000
	v_lshlrev_b32_e32 v14, 21, v14
	s_delay_alu instid0(VALU_DEP_1)
	v_or3_b32 v14, v16, v17, v14
.LBB14_2246:                            ;   in Loop: Header=BB14_17 Depth=1
	s_or_b32 exec_lo, exec_lo, s28
                                        ; implicit-def: $vgpr16_vgpr17
.LBB14_2247:                            ;   in Loop: Header=BB14_17 Depth=1
	s_and_not1_saveexec_b32 s26, s26
	s_cbranch_execz .LBB14_2249
; %bb.2248:                             ;   in Loop: Header=BB14_17 Depth=1
	flat_load_u8 v14, v[16:17]
	s_wait_loadcnt_dscnt 0x0
	v_lshlrev_b32_e32 v14, 24, v14
	s_wait_xcnt 0x0
	s_delay_alu instid0(VALU_DEP_1) | instskip(NEXT) | instid1(VALU_DEP_1)
	v_and_b32_e32 v16, 0x7f000000, v14
	v_clz_i32_u32_e32 v17, v16
	v_add_nc_u32_e32 v20, 0x1000000, v16
	v_cmp_ne_u32_e32 vcc_lo, 0, v16
	s_delay_alu instid0(VALU_DEP_3) | instskip(NEXT) | instid1(VALU_DEP_1)
	v_min_u32_e32 v17, 32, v17
	v_sub_nc_u32_e64 v17, v17, 4 clamp
	s_delay_alu instid0(VALU_DEP_1) | instskip(NEXT) | instid1(VALU_DEP_1)
	v_dual_lshlrev_b32 v19, v17, v16 :: v_dual_lshlrev_b32 v17, 23, v17
	v_lshrrev_b32_e32 v19, 4, v19
	s_delay_alu instid0(VALU_DEP_1) | instskip(NEXT) | instid1(VALU_DEP_1)
	v_dual_sub_nc_u32 v17, v19, v17 :: v_dual_ashrrev_i32 v19, 8, v20
	v_add_nc_u32_e32 v17, 0x3c000000, v17
	s_delay_alu instid0(VALU_DEP_1) | instskip(NEXT) | instid1(VALU_DEP_1)
	v_and_or_b32 v17, 0x7f800000, v19, v17
	v_cndmask_b32_e32 v16, 0, v17, vcc_lo
	s_delay_alu instid0(VALU_DEP_1)
	v_and_or_b32 v14, 0x80000000, v14, v16
.LBB14_2249:                            ;   in Loop: Header=BB14_17 Depth=1
	s_or_b32 exec_lo, exec_lo, s26
                                        ; implicit-def: $vgpr16_vgpr17
.LBB14_2250:                            ;   in Loop: Header=BB14_17 Depth=1
	s_and_not1_saveexec_b32 s25, s25
	s_cbranch_execz .LBB14_2252
; %bb.2251:                             ;   in Loop: Header=BB14_17 Depth=1
	flat_load_u8 v14, v[16:17]
	s_wait_loadcnt_dscnt 0x0
	v_lshlrev_b32_e32 v16, 25, v14
	v_lshlrev_b16 v14, 8, v14
	s_delay_alu instid0(VALU_DEP_1) | instskip(SKIP_1) | instid1(VALU_DEP_2)
	v_and_or_b32 v19, 0x7f00, v14, 0.5
	v_bfe_i32 v14, v14, 0, 16
	v_dual_add_f32 v19, -0.5, v19 :: v_dual_lshrrev_b32 v17, 4, v16
	v_cmp_gt_u32_e32 vcc_lo, 0x8000000, v16
	s_delay_alu instid0(VALU_DEP_2) | instskip(NEXT) | instid1(VALU_DEP_1)
	v_or_b32_e32 v17, 0x70000000, v17
	v_mul_f32_e32 v17, 0x7800000, v17
	s_delay_alu instid0(VALU_DEP_1) | instskip(NEXT) | instid1(VALU_DEP_1)
	v_cndmask_b32_e32 v16, v17, v19, vcc_lo
	v_and_or_b32 v14, 0x80000000, v14, v16
.LBB14_2252:                            ;   in Loop: Header=BB14_17 Depth=1
	s_or_b32 exec_lo, exec_lo, s25
	s_delay_alu instid0(SALU_CYCLE_1)
	s_or_b32 s25, s23, exec_lo
                                        ; implicit-def: $vgpr19
                                        ; implicit-def: $vgpr16_vgpr17
.LBB14_2253:                            ;   in Loop: Header=BB14_17 Depth=1
	s_and_not1_saveexec_b32 s24, s24
	s_cbranch_execz .LBB14_2263
; %bb.2254:                             ;   in Loop: Header=BB14_17 Depth=1
	s_mov_b32 s26, s25
	s_mov_b32 s27, exec_lo
                                        ; implicit-def: $vgpr14
	v_cmpx_lt_i16_e32 14, v19
	s_xor_b32 s27, exec_lo, s27
	s_cbranch_execz .LBB14_2258
; %bb.2255:                             ;   in Loop: Header=BB14_17 Depth=1
	s_mov_b32 s26, s25
	s_mov_b32 s28, exec_lo
                                        ; implicit-def: $vgpr14
	v_cmpx_eq_u16_e32 15, v19
	s_cbranch_execz .LBB14_2257
; %bb.2256:                             ;   in Loop: Header=BB14_17 Depth=1
	flat_load_u16 v14, v[16:17]
	s_or_b32 s26, s25, exec_lo
	s_wait_loadcnt_dscnt 0x0
	v_lshlrev_b32_e32 v14, 16, v14
.LBB14_2257:                            ;   in Loop: Header=BB14_17 Depth=1
	s_wait_xcnt 0x0
	s_or_b32 exec_lo, exec_lo, s28
	s_delay_alu instid0(SALU_CYCLE_1) | instskip(SKIP_1) | instid1(SALU_CYCLE_1)
	s_and_not1_b32 s28, s25, exec_lo
	s_and_b32 s26, s26, exec_lo
                                        ; implicit-def: $vgpr19
                                        ; implicit-def: $vgpr16_vgpr17
	s_or_b32 s26, s28, s26
.LBB14_2258:                            ;   in Loop: Header=BB14_17 Depth=1
	s_and_not1_saveexec_b32 s27, s27
	s_cbranch_execz .LBB14_2262
; %bb.2259:                             ;   in Loop: Header=BB14_17 Depth=1
	s_mov_b32 s28, s26
	s_mov_b32 s29, exec_lo
                                        ; implicit-def: $vgpr14
	v_cmpx_eq_u16_e32 11, v19
	s_cbranch_execz .LBB14_2261
; %bb.2260:                             ;   in Loop: Header=BB14_17 Depth=1
	flat_load_u8 v14, v[16:17]
	s_or_b32 s28, s26, exec_lo
	s_wait_loadcnt_dscnt 0x0
	v_cmp_ne_u16_e32 vcc_lo, 0, v14
	v_cndmask_b32_e64 v14, 0, 1.0, vcc_lo
.LBB14_2261:                            ;   in Loop: Header=BB14_17 Depth=1
	s_wait_xcnt 0x0
	s_or_b32 exec_lo, exec_lo, s29
	s_delay_alu instid0(SALU_CYCLE_1) | instskip(SKIP_1) | instid1(SALU_CYCLE_1)
	s_and_not1_b32 s26, s26, exec_lo
	s_and_b32 s28, s28, exec_lo
	s_or_b32 s26, s26, s28
.LBB14_2262:                            ;   in Loop: Header=BB14_17 Depth=1
	s_or_b32 exec_lo, exec_lo, s27
	s_delay_alu instid0(SALU_CYCLE_1) | instskip(SKIP_1) | instid1(SALU_CYCLE_1)
	s_and_not1_b32 s25, s25, exec_lo
	s_and_b32 s26, s26, exec_lo
	s_or_b32 s25, s25, s26
.LBB14_2263:                            ;   in Loop: Header=BB14_17 Depth=1
	s_or_b32 exec_lo, exec_lo, s24
	s_delay_alu instid0(SALU_CYCLE_1) | instskip(SKIP_1) | instid1(SALU_CYCLE_1)
	s_and_not1_b32 s23, s23, exec_lo
	s_and_b32 s24, s25, exec_lo
	s_or_b32 s23, s23, s24
.LBB14_2264:                            ;   in Loop: Header=BB14_17 Depth=1
	s_or_b32 exec_lo, exec_lo, s22
	s_delay_alu instid0(SALU_CYCLE_1)
	s_and_b32 s22, s23, exec_lo
                                        ; implicit-def: $vgpr19
                                        ; implicit-def: $vgpr16_vgpr17
	s_and_not1_saveexec_b32 s18, s18
	s_cbranch_execz .LBB14_567
.LBB14_2265:                            ;   in Loop: Header=BB14_17 Depth=1
	s_mov_b32 s23, exec_lo
                                        ; implicit-def: $vgpr14
	v_cmpx_lt_i16_e32 4, v19
	s_xor_b32 s23, exec_lo, s23
	s_cbranch_execz .LBB14_2287
; %bb.2266:                             ;   in Loop: Header=BB14_17 Depth=1
	s_mov_b32 s24, exec_lo
                                        ; implicit-def: $vgpr14
	v_cmpx_lt_i16_e32 7, v19
	s_xor_b32 s24, exec_lo, s24
	s_cbranch_execz .LBB14_2276
; %bb.2267:                             ;   in Loop: Header=BB14_17 Depth=1
	;; [unrolled: 6-line block ×4, first 2 shown]
	flat_load_b64 v[16:17], v[16:17]
	s_wait_loadcnt_dscnt 0x0
	v_cvt_f32_f64_e32 v14, v[16:17]
                                        ; implicit-def: $vgpr16_vgpr17
.LBB14_2270:                            ;   in Loop: Header=BB14_17 Depth=1
	s_wait_xcnt 0x0
	s_and_not1_saveexec_b32 s26, s26
	s_cbranch_execz .LBB14_2272
; %bb.2271:                             ;   in Loop: Header=BB14_17 Depth=1
	flat_load_b32 v14, v[16:17]
.LBB14_2272:                            ;   in Loop: Header=BB14_17 Depth=1
	s_wait_xcnt 0x0
	s_or_b32 exec_lo, exec_lo, s26
                                        ; implicit-def: $vgpr16_vgpr17
.LBB14_2273:                            ;   in Loop: Header=BB14_17 Depth=1
	s_and_not1_saveexec_b32 s25, s25
	s_cbranch_execz .LBB14_2275
; %bb.2274:                             ;   in Loop: Header=BB14_17 Depth=1
	s_wait_loadcnt_dscnt 0x0
	flat_load_b32 v14, v[16:17]
	s_wait_loadcnt_dscnt 0x0
	v_cvt_f32_f16_e32 v14, v14
.LBB14_2275:                            ;   in Loop: Header=BB14_17 Depth=1
	s_wait_xcnt 0x0
	s_or_b32 exec_lo, exec_lo, s25
                                        ; implicit-def: $vgpr16_vgpr17
                                        ; implicit-def: $vgpr19
.LBB14_2276:                            ;   in Loop: Header=BB14_17 Depth=1
	s_and_not1_saveexec_b32 s24, s24
	s_cbranch_execz .LBB14_2286
; %bb.2277:                             ;   in Loop: Header=BB14_17 Depth=1
	s_mov_b32 s25, exec_lo
                                        ; implicit-def: $vgpr14
	v_cmpx_lt_i16_e32 5, v19
	s_xor_b32 s25, exec_lo, s25
	s_cbranch_execz .LBB14_2283
; %bb.2278:                             ;   in Loop: Header=BB14_17 Depth=1
	s_mov_b32 s26, exec_lo
                                        ; implicit-def: $vgpr14
	v_cmpx_lt_i16_e32 6, v19
	s_xor_b32 s26, exec_lo, s26
	s_cbranch_execz .LBB14_2280
; %bb.2279:                             ;   in Loop: Header=BB14_17 Depth=1
	flat_load_b64 v[16:17], v[16:17]
	s_wait_loadcnt_dscnt 0x0
	v_cvt_f32_f64_e32 v14, v[16:17]
                                        ; implicit-def: $vgpr16_vgpr17
.LBB14_2280:                            ;   in Loop: Header=BB14_17 Depth=1
	s_wait_xcnt 0x0
	s_and_not1_saveexec_b32 s26, s26
	s_cbranch_execz .LBB14_2282
; %bb.2281:                             ;   in Loop: Header=BB14_17 Depth=1
	s_wait_loadcnt_dscnt 0x0
	flat_load_b32 v14, v[16:17]
.LBB14_2282:                            ;   in Loop: Header=BB14_17 Depth=1
	s_wait_xcnt 0x0
	s_or_b32 exec_lo, exec_lo, s26
                                        ; implicit-def: $vgpr16_vgpr17
.LBB14_2283:                            ;   in Loop: Header=BB14_17 Depth=1
	s_and_not1_saveexec_b32 s25, s25
	s_cbranch_execz .LBB14_2285
; %bb.2284:                             ;   in Loop: Header=BB14_17 Depth=1
	s_wait_loadcnt_dscnt 0x0
	flat_load_u16 v14, v[16:17]
	s_wait_loadcnt_dscnt 0x0
	v_cvt_f32_f16_e32 v14, v14
.LBB14_2285:                            ;   in Loop: Header=BB14_17 Depth=1
	s_wait_xcnt 0x0
	s_or_b32 exec_lo, exec_lo, s25
.LBB14_2286:                            ;   in Loop: Header=BB14_17 Depth=1
	s_delay_alu instid0(SALU_CYCLE_1)
	s_or_b32 exec_lo, exec_lo, s24
                                        ; implicit-def: $vgpr19
                                        ; implicit-def: $vgpr16_vgpr17
.LBB14_2287:                            ;   in Loop: Header=BB14_17 Depth=1
	s_and_not1_saveexec_b32 s23, s23
	s_cbranch_execz .LBB14_2305
; %bb.2288:                             ;   in Loop: Header=BB14_17 Depth=1
	s_mov_b32 s24, exec_lo
                                        ; implicit-def: $vgpr14
	v_cmpx_lt_i16_e32 1, v19
	s_xor_b32 s24, exec_lo, s24
	s_cbranch_execz .LBB14_2298
; %bb.2289:                             ;   in Loop: Header=BB14_17 Depth=1
	s_mov_b32 s25, exec_lo
                                        ; implicit-def: $vgpr14
	v_cmpx_lt_i16_e32 2, v19
	s_xor_b32 s25, exec_lo, s25
	;; [unrolled: 6-line block ×3, first 2 shown]
	s_cbranch_execz .LBB14_2292
; %bb.2291:                             ;   in Loop: Header=BB14_17 Depth=1
	flat_load_b64 v[16:17], v[16:17]
	s_wait_loadcnt_dscnt 0x0
	v_xor_b32_e32 v14, v16, v17
	v_cls_i32_e32 v19, v17
	s_delay_alu instid0(VALU_DEP_2) | instskip(NEXT) | instid1(VALU_DEP_1)
	v_ashrrev_i32_e32 v14, 31, v14
	v_add_nc_u32_e32 v14, 32, v14
	s_delay_alu instid0(VALU_DEP_1) | instskip(SKIP_1) | instid1(VALU_DEP_1)
	v_add_min_u32_e64 v14, v19, -1, v14
	s_wait_xcnt 0x0
	v_lshlrev_b64_e32 v[16:17], v14, v[16:17]
	v_sub_nc_u32_e32 v14, 32, v14
	s_delay_alu instid0(VALU_DEP_2) | instskip(NEXT) | instid1(VALU_DEP_1)
	v_min_u32_e32 v16, 1, v16
	v_or_b32_e32 v16, v17, v16
	s_delay_alu instid0(VALU_DEP_1) | instskip(NEXT) | instid1(VALU_DEP_1)
	v_cvt_f32_i32_e32 v16, v16
	v_ldexp_f32 v14, v16, v14
                                        ; implicit-def: $vgpr16_vgpr17
.LBB14_2292:                            ;   in Loop: Header=BB14_17 Depth=1
	s_and_not1_saveexec_b32 s26, s26
	s_cbranch_execz .LBB14_2294
; %bb.2293:                             ;   in Loop: Header=BB14_17 Depth=1
	s_wait_loadcnt_dscnt 0x0
	flat_load_b32 v14, v[16:17]
	s_wait_loadcnt_dscnt 0x0
	v_cvt_f32_i32_e32 v14, v14
.LBB14_2294:                            ;   in Loop: Header=BB14_17 Depth=1
	s_wait_xcnt 0x0
	s_or_b32 exec_lo, exec_lo, s26
                                        ; implicit-def: $vgpr16_vgpr17
.LBB14_2295:                            ;   in Loop: Header=BB14_17 Depth=1
	s_and_not1_saveexec_b32 s25, s25
	s_cbranch_execz .LBB14_2297
; %bb.2296:                             ;   in Loop: Header=BB14_17 Depth=1
	s_wait_loadcnt_dscnt 0x0
	flat_load_i16 v14, v[16:17]
	s_wait_loadcnt_dscnt 0x0
	v_cvt_f32_i32_e32 v14, v14
.LBB14_2297:                            ;   in Loop: Header=BB14_17 Depth=1
	s_wait_xcnt 0x0
	s_or_b32 exec_lo, exec_lo, s25
                                        ; implicit-def: $vgpr16_vgpr17
                                        ; implicit-def: $vgpr19
.LBB14_2298:                            ;   in Loop: Header=BB14_17 Depth=1
	s_and_not1_saveexec_b32 s24, s24
	s_cbranch_execz .LBB14_2304
; %bb.2299:                             ;   in Loop: Header=BB14_17 Depth=1
	s_mov_b32 s25, exec_lo
                                        ; implicit-def: $vgpr14
	v_cmpx_lt_i16_e32 0, v19
	s_xor_b32 s25, exec_lo, s25
	s_cbranch_execz .LBB14_2301
; %bb.2300:                             ;   in Loop: Header=BB14_17 Depth=1
	s_wait_loadcnt_dscnt 0x0
	flat_load_i8 v14, v[16:17]
                                        ; implicit-def: $vgpr16_vgpr17
	s_wait_loadcnt_dscnt 0x0
	v_cvt_f32_i32_e32 v14, v14
.LBB14_2301:                            ;   in Loop: Header=BB14_17 Depth=1
	s_wait_xcnt 0x0
	s_and_not1_saveexec_b32 s25, s25
	s_cbranch_execz .LBB14_2303
; %bb.2302:                             ;   in Loop: Header=BB14_17 Depth=1
	s_wait_loadcnt_dscnt 0x0
	flat_load_u8 v14, v[16:17]
	s_wait_loadcnt_dscnt 0x0
	v_cvt_f32_ubyte0_e32 v14, v14
.LBB14_2303:                            ;   in Loop: Header=BB14_17 Depth=1
	s_wait_xcnt 0x0
	s_or_b32 exec_lo, exec_lo, s25
.LBB14_2304:                            ;   in Loop: Header=BB14_17 Depth=1
	s_delay_alu instid0(SALU_CYCLE_1)
	s_or_b32 exec_lo, exec_lo, s24
.LBB14_2305:                            ;   in Loop: Header=BB14_17 Depth=1
	s_delay_alu instid0(SALU_CYCLE_1) | instskip(NEXT) | instid1(SALU_CYCLE_1)
	s_or_b32 exec_lo, exec_lo, s23
	s_or_b32 s22, s22, exec_lo
	s_or_b32 exec_lo, exec_lo, s18
	s_mov_b32 s23, 0
	s_and_saveexec_b32 s18, s22
	s_cbranch_execnz .LBB14_568
	s_branch .LBB14_569
.LBB14_2306:                            ;   in Loop: Header=BB14_17 Depth=1
	s_mov_b32 s15, -1
	s_mov_b32 s17, exec_lo
	v_cmpx_eq_u16_e32 0x80, v16
; %bb.2307:                             ;   in Loop: Header=BB14_17 Depth=1
	s_xor_b32 s15, exec_lo, -1
; %bb.2308:                             ;   in Loop: Header=BB14_17 Depth=1
	s_or_b32 exec_lo, exec_lo, s17
	s_delay_alu instid0(SALU_CYCLE_1)
	s_and_b32 s15, s15, exec_lo
	s_or_saveexec_b32 s16, s16
	v_mov_b32_e32 v14, 0x7f800001
	s_xor_b32 exec_lo, exec_lo, s16
	s_cbranch_execz .LBB14_1821
.LBB14_2309:                            ;   in Loop: Header=BB14_17 Depth=1
	v_cmp_ne_u16_e32 vcc_lo, 0, v16
	v_mov_b32_e32 v14, 0
	s_and_not1_b32 s15, s15, exec_lo
	s_and_b32 s17, vcc_lo, exec_lo
	s_delay_alu instid0(SALU_CYCLE_1)
	s_or_b32 s15, s15, s17
	s_or_b32 exec_lo, exec_lo, s16
	s_and_saveexec_b32 s16, s15
	s_cbranch_execnz .LBB14_1822
	s_branch .LBB14_1823
.LBB14_2310:                            ;   in Loop: Header=BB14_17 Depth=1
	s_mov_b32 s16, -1
	s_mov_b32 s18, exec_lo
	v_cmpx_eq_u16_e32 0x80, v16
; %bb.2311:                             ;   in Loop: Header=BB14_17 Depth=1
	s_xor_b32 s16, exec_lo, -1
; %bb.2312:                             ;   in Loop: Header=BB14_17 Depth=1
	s_or_b32 exec_lo, exec_lo, s18
	s_delay_alu instid0(SALU_CYCLE_1)
	s_and_b32 s16, s16, exec_lo
	s_or_saveexec_b32 s17, s17
	v_mov_b32_e32 v14, 0x7f800001
	s_xor_b32 exec_lo, exec_lo, s17
	s_cbranch_execz .LBB14_168
.LBB14_2313:                            ;   in Loop: Header=BB14_17 Depth=1
	v_cmp_ne_u16_e32 vcc_lo, 0, v16
	v_mov_b32_e32 v14, 0
	s_and_not1_b32 s16, s16, exec_lo
	s_and_b32 s18, vcc_lo, exec_lo
	s_delay_alu instid0(SALU_CYCLE_1)
	s_or_b32 s16, s16, s18
	s_or_b32 exec_lo, exec_lo, s17
	s_and_saveexec_b32 s17, s16
	s_cbranch_execnz .LBB14_169
	s_branch .LBB14_170
.LBB14_2314:                            ;   in Loop: Header=BB14_17 Depth=1
	s_mov_b32 s18, -1
	s_mov_b32 s20, exec_lo
	v_cmpx_eq_u16_e32 0x80, v16
; %bb.2315:                             ;   in Loop: Header=BB14_17 Depth=1
	s_xor_b32 s18, exec_lo, -1
; %bb.2316:                             ;   in Loop: Header=BB14_17 Depth=1
	s_or_b32 exec_lo, exec_lo, s20
	s_delay_alu instid0(SALU_CYCLE_1)
	s_and_b32 s18, s18, exec_lo
	s_or_saveexec_b32 s19, s19
	v_mov_b32_e32 v14, 0x7f800001
	s_xor_b32 exec_lo, exec_lo, s19
	s_cbranch_execz .LBB14_268
.LBB14_2317:                            ;   in Loop: Header=BB14_17 Depth=1
	v_cmp_ne_u16_e32 vcc_lo, 0, v16
	v_mov_b32_e32 v14, 0
	s_and_not1_b32 s18, s18, exec_lo
	s_and_b32 s20, vcc_lo, exec_lo
	s_delay_alu instid0(SALU_CYCLE_1)
	s_or_b32 s18, s18, s20
	s_or_b32 exec_lo, exec_lo, s19
	s_and_saveexec_b32 s19, s18
	s_cbranch_execnz .LBB14_269
	s_branch .LBB14_270
.LBB14_2318:                            ;   in Loop: Header=BB14_17 Depth=1
	s_mov_b32 s25, exec_lo
                                        ; implicit-def: $vgpr14
	v_cmpx_lt_i16_e32 25, v19
	s_xor_b32 s25, exec_lo, s25
	s_cbranch_execz .LBB14_2350
; %bb.2319:                             ;   in Loop: Header=BB14_17 Depth=1
	s_mov_b32 s27, exec_lo
                                        ; implicit-def: $vgpr14
	v_cmpx_lt_i16_e32 28, v19
	s_xor_b32 s27, exec_lo, s27
	s_cbranch_execz .LBB14_2335
; %bb.2320:                             ;   in Loop: Header=BB14_17 Depth=1
	s_mov_b32 s28, 0
	s_mov_b32 s26, exec_lo
                                        ; implicit-def: $vgpr14
	v_cmpx_lt_i16_e32 43, v19
	s_xor_b32 s26, exec_lo, s26
	s_cbranch_execz .LBB14_2330
; %bb.2321:                             ;   in Loop: Header=BB14_17 Depth=1
	s_mov_b32 s29, exec_lo
                                        ; implicit-def: $vgpr14
	v_cmpx_lt_i16_e32 45, v19
	s_xor_b32 s29, exec_lo, s29
	s_cbranch_execz .LBB14_2325
; %bb.2322:                             ;   in Loop: Header=BB14_17 Depth=1
	s_mov_b32 s40, exec_lo
                                        ; implicit-def: $vgpr14
	v_cmpx_eq_u16_e32 46, v19
	s_cbranch_execz .LBB14_2324
; %bb.2323:                             ;   in Loop: Header=BB14_17 Depth=1
	flat_load_b32 v14, v[16:17]
	s_mov_b32 s28, exec_lo
	s_wait_loadcnt_dscnt 0x0
	v_lshlrev_b32_e32 v14, 16, v14
.LBB14_2324:                            ;   in Loop: Header=BB14_17 Depth=1
	s_wait_xcnt 0x0
	s_or_b32 exec_lo, exec_lo, s40
	s_delay_alu instid0(SALU_CYCLE_1)
	s_and_b32 s28, s28, exec_lo
                                        ; implicit-def: $vgpr19
                                        ; implicit-def: $vgpr16_vgpr17
.LBB14_2325:                            ;   in Loop: Header=BB14_17 Depth=1
	s_and_not1_saveexec_b32 s29, s29
	s_cbranch_execz .LBB14_2329
; %bb.2326:                             ;   in Loop: Header=BB14_17 Depth=1
	s_mov_b32 s41, s28
	s_mov_b32 s40, exec_lo
                                        ; implicit-def: $vgpr14
	v_cmpx_eq_u16_e32 44, v19
	s_cbranch_execz .LBB14_2328
; %bb.2327:                             ;   in Loop: Header=BB14_17 Depth=1
	flat_load_u8 v14, v[16:17]
	s_or_b32 s41, s28, exec_lo
	s_wait_loadcnt_dscnt 0x0
	v_lshlrev_b32_e32 v16, 23, v14
	v_cmp_ne_u32_e32 vcc_lo, 0xff, v14
	s_delay_alu instid0(VALU_DEP_2) | instskip(SKIP_1) | instid1(VALU_DEP_2)
	v_cndmask_b32_e32 v16, 0x7f800001, v16, vcc_lo
	v_cmp_ne_u32_e32 vcc_lo, 0, v14
	v_cndmask_b32_e32 v14, 0x400000, v16, vcc_lo
.LBB14_2328:                            ;   in Loop: Header=BB14_17 Depth=1
	s_or_b32 exec_lo, exec_lo, s40
	s_delay_alu instid0(SALU_CYCLE_1) | instskip(SKIP_1) | instid1(SALU_CYCLE_1)
	s_and_not1_b32 s28, s28, exec_lo
	s_and_b32 s40, s41, exec_lo
	s_or_b32 s28, s28, s40
.LBB14_2329:                            ;   in Loop: Header=BB14_17 Depth=1
	s_or_b32 exec_lo, exec_lo, s29
	s_delay_alu instid0(SALU_CYCLE_1)
	s_and_b32 s28, s28, exec_lo
                                        ; implicit-def: $vgpr19
                                        ; implicit-def: $vgpr16_vgpr17
.LBB14_2330:                            ;   in Loop: Header=BB14_17 Depth=1
	s_and_not1_saveexec_b32 s26, s26
	s_cbranch_execz .LBB14_2334
; %bb.2331:                             ;   in Loop: Header=BB14_17 Depth=1
	s_mov_b32 s40, s28
	s_mov_b32 s29, exec_lo
                                        ; implicit-def: $vgpr14
	v_cmpx_eq_u16_e32 29, v19
	s_cbranch_execz .LBB14_2333
; %bb.2332:                             ;   in Loop: Header=BB14_17 Depth=1
	flat_load_b64 v[16:17], v[16:17]
	s_or_b32 s40, s28, exec_lo
	s_wait_loadcnt_dscnt 0x0
	v_clz_i32_u32_e32 v14, v17
	s_delay_alu instid0(VALU_DEP_1) | instskip(SKIP_1) | instid1(VALU_DEP_1)
	v_min_u32_e32 v14, 32, v14
	s_wait_xcnt 0x0
	v_lshlrev_b64_e32 v[16:17], v14, v[16:17]
	v_sub_nc_u32_e32 v14, 32, v14
	s_delay_alu instid0(VALU_DEP_2) | instskip(NEXT) | instid1(VALU_DEP_1)
	v_min_u32_e32 v16, 1, v16
	v_or_b32_e32 v16, v17, v16
	s_delay_alu instid0(VALU_DEP_1) | instskip(NEXT) | instid1(VALU_DEP_1)
	v_cvt_f32_u32_e32 v16, v16
	v_ldexp_f32 v14, v16, v14
.LBB14_2333:                            ;   in Loop: Header=BB14_17 Depth=1
	s_or_b32 exec_lo, exec_lo, s29
	s_delay_alu instid0(SALU_CYCLE_1) | instskip(SKIP_1) | instid1(SALU_CYCLE_1)
	s_and_not1_b32 s28, s28, exec_lo
	s_and_b32 s29, s40, exec_lo
	s_or_b32 s28, s28, s29
.LBB14_2334:                            ;   in Loop: Header=BB14_17 Depth=1
	s_or_b32 exec_lo, exec_lo, s26
	s_delay_alu instid0(SALU_CYCLE_1)
	s_and_b32 s26, s28, exec_lo
                                        ; implicit-def: $vgpr19
                                        ; implicit-def: $vgpr16_vgpr17
.LBB14_2335:                            ;   in Loop: Header=BB14_17 Depth=1
	s_and_not1_saveexec_b32 s27, s27
	s_cbranch_execz .LBB14_2349
; %bb.2336:                             ;   in Loop: Header=BB14_17 Depth=1
	s_mov_b32 s28, exec_lo
                                        ; implicit-def: $vgpr14
	v_cmpx_lt_i16_e32 26, v19
	s_xor_b32 s28, exec_lo, s28
	s_cbranch_execz .LBB14_2342
; %bb.2337:                             ;   in Loop: Header=BB14_17 Depth=1
	s_mov_b32 s29, exec_lo
                                        ; implicit-def: $vgpr14
	v_cmpx_lt_i16_e32 27, v19
	s_xor_b32 s29, exec_lo, s29
	s_cbranch_execz .LBB14_2339
; %bb.2338:                             ;   in Loop: Header=BB14_17 Depth=1
	flat_load_b32 v14, v[16:17]
                                        ; implicit-def: $vgpr16_vgpr17
	s_wait_loadcnt_dscnt 0x0
	v_cvt_f32_u32_e32 v14, v14
.LBB14_2339:                            ;   in Loop: Header=BB14_17 Depth=1
	s_wait_xcnt 0x0
	s_and_not1_saveexec_b32 s29, s29
	s_cbranch_execz .LBB14_2341
; %bb.2340:                             ;   in Loop: Header=BB14_17 Depth=1
	flat_load_u16 v14, v[16:17]
	s_wait_loadcnt_dscnt 0x0
	v_cvt_f32_u32_e32 v14, v14
.LBB14_2341:                            ;   in Loop: Header=BB14_17 Depth=1
	s_wait_xcnt 0x0
	s_or_b32 exec_lo, exec_lo, s29
                                        ; implicit-def: $vgpr16_vgpr17
.LBB14_2342:                            ;   in Loop: Header=BB14_17 Depth=1
	s_and_not1_saveexec_b32 s28, s28
	s_cbranch_execz .LBB14_2348
; %bb.2343:                             ;   in Loop: Header=BB14_17 Depth=1
	flat_load_u8 v16, v[16:17]
	s_mov_b32 s29, 0
	s_mov_b32 s40, exec_lo
	s_wait_loadcnt_dscnt 0x0
	v_cmpx_lt_i16_e32 0x7f, v16
	s_xor_b32 s40, exec_lo, s40
	s_cbranch_execnz .LBB14_2886
; %bb.2344:                             ;   in Loop: Header=BB14_17 Depth=1
	s_or_saveexec_b32 s40, s40
	v_mov_b32_e32 v14, 0x7f800001
	s_xor_b32 exec_lo, exec_lo, s40
	s_cbranch_execnz .LBB14_2889
.LBB14_2345:                            ;   in Loop: Header=BB14_17 Depth=1
	s_or_b32 exec_lo, exec_lo, s40
	s_and_saveexec_b32 s40, s29
	s_cbranch_execz .LBB14_2347
.LBB14_2346:                            ;   in Loop: Header=BB14_17 Depth=1
	v_and_b32_e32 v14, 0xffff, v16
	s_delay_alu instid0(VALU_DEP_1) | instskip(SKIP_1) | instid1(VALU_DEP_2)
	v_and_b32_e32 v17, 7, v14
	v_bfe_u32 v21, v14, 3, 4
	v_clz_i32_u32_e32 v19, v17
	s_delay_alu instid0(VALU_DEP_2) | instskip(NEXT) | instid1(VALU_DEP_2)
	v_cmp_eq_u32_e32 vcc_lo, 0, v21
	v_min_u32_e32 v19, 32, v19
	s_delay_alu instid0(VALU_DEP_1) | instskip(NEXT) | instid1(VALU_DEP_1)
	v_subrev_nc_u32_e32 v20, 28, v19
	v_dual_lshlrev_b32 v14, v20, v14 :: v_dual_sub_nc_u32 v19, 29, v19
	s_delay_alu instid0(VALU_DEP_1) | instskip(NEXT) | instid1(VALU_DEP_2)
	v_dual_lshlrev_b32 v16, 24, v16 :: v_dual_bitop2_b32 v14, 7, v14 bitop3:0x40
	v_cndmask_b32_e32 v19, v21, v19, vcc_lo
	s_delay_alu instid0(VALU_DEP_2) | instskip(NEXT) | instid1(VALU_DEP_3)
	v_cndmask_b32_e32 v14, v17, v14, vcc_lo
	v_and_b32_e32 v16, 0x80000000, v16
	s_delay_alu instid0(VALU_DEP_3) | instskip(NEXT) | instid1(VALU_DEP_3)
	v_lshl_add_u32 v17, v19, 23, 0x3b800000
	v_lshlrev_b32_e32 v14, 20, v14
	s_delay_alu instid0(VALU_DEP_1)
	v_or3_b32 v14, v16, v17, v14
.LBB14_2347:                            ;   in Loop: Header=BB14_17 Depth=1
	s_or_b32 exec_lo, exec_lo, s40
.LBB14_2348:                            ;   in Loop: Header=BB14_17 Depth=1
	s_delay_alu instid0(SALU_CYCLE_1) | instskip(NEXT) | instid1(SALU_CYCLE_1)
	s_or_b32 exec_lo, exec_lo, s28
	s_or_b32 s26, s26, exec_lo
.LBB14_2349:                            ;   in Loop: Header=BB14_17 Depth=1
	s_or_b32 exec_lo, exec_lo, s27
	s_delay_alu instid0(SALU_CYCLE_1)
	s_and_b32 s26, s26, exec_lo
                                        ; implicit-def: $vgpr19
                                        ; implicit-def: $vgpr16_vgpr17
.LBB14_2350:                            ;   in Loop: Header=BB14_17 Depth=1
	s_and_not1_saveexec_b32 s25, s25
	s_cbranch_execz .LBB14_2376
; %bb.2351:                             ;   in Loop: Header=BB14_17 Depth=1
	s_mov_b32 s28, s26
	s_mov_b32 s27, exec_lo
                                        ; implicit-def: $vgpr14
	v_cmpx_lt_i16_e32 22, v19
	s_xor_b32 s27, exec_lo, s27
	s_cbranch_execz .LBB14_2365
; %bb.2352:                             ;   in Loop: Header=BB14_17 Depth=1
	s_mov_b32 s28, exec_lo
                                        ; implicit-def: $vgpr14
	v_cmpx_lt_i16_e32 23, v19
	s_xor_b32 s28, exec_lo, s28
	s_cbranch_execz .LBB14_2362
; %bb.2353:                             ;   in Loop: Header=BB14_17 Depth=1
	;; [unrolled: 6-line block ×3, first 2 shown]
	flat_load_u8 v16, v[16:17]
	s_mov_b32 s40, 0
	s_mov_b32 s41, exec_lo
	s_wait_loadcnt_dscnt 0x0
	v_cmpx_lt_i16_e32 0x7f, v16
	s_xor_b32 s41, exec_lo, s41
	s_cbranch_execnz .LBB14_2998
; %bb.2355:                             ;   in Loop: Header=BB14_17 Depth=1
	s_or_saveexec_b32 s41, s41
	v_mov_b32_e32 v14, 0x7f800001
	s_xor_b32 exec_lo, exec_lo, s41
	s_cbranch_execnz .LBB14_3001
.LBB14_2356:                            ;   in Loop: Header=BB14_17 Depth=1
	s_or_b32 exec_lo, exec_lo, s41
	s_and_saveexec_b32 s41, s40
	s_cbranch_execz .LBB14_2358
.LBB14_2357:                            ;   in Loop: Header=BB14_17 Depth=1
	v_and_b32_e32 v14, 0xffff, v16
	s_delay_alu instid0(VALU_DEP_1) | instskip(SKIP_1) | instid1(VALU_DEP_2)
	v_and_b32_e32 v17, 3, v14
	v_bfe_u32 v21, v14, 2, 5
	v_clz_i32_u32_e32 v19, v17
	s_delay_alu instid0(VALU_DEP_2) | instskip(NEXT) | instid1(VALU_DEP_2)
	v_cmp_eq_u32_e32 vcc_lo, 0, v21
	v_min_u32_e32 v19, 32, v19
	s_delay_alu instid0(VALU_DEP_1) | instskip(NEXT) | instid1(VALU_DEP_1)
	v_subrev_nc_u32_e32 v20, 29, v19
	v_dual_lshlrev_b32 v14, v20, v14 :: v_dual_sub_nc_u32 v19, 30, v19
	s_delay_alu instid0(VALU_DEP_1) | instskip(NEXT) | instid1(VALU_DEP_2)
	v_dual_lshlrev_b32 v16, 24, v16 :: v_dual_bitop2_b32 v14, 3, v14 bitop3:0x40
	v_cndmask_b32_e32 v19, v21, v19, vcc_lo
	s_delay_alu instid0(VALU_DEP_2) | instskip(NEXT) | instid1(VALU_DEP_3)
	v_cndmask_b32_e32 v14, v17, v14, vcc_lo
	v_and_b32_e32 v16, 0x80000000, v16
	s_delay_alu instid0(VALU_DEP_3) | instskip(NEXT) | instid1(VALU_DEP_3)
	v_lshl_add_u32 v17, v19, 23, 0x37800000
	v_lshlrev_b32_e32 v14, 21, v14
	s_delay_alu instid0(VALU_DEP_1)
	v_or3_b32 v14, v16, v17, v14
.LBB14_2358:                            ;   in Loop: Header=BB14_17 Depth=1
	s_or_b32 exec_lo, exec_lo, s41
                                        ; implicit-def: $vgpr16_vgpr17
.LBB14_2359:                            ;   in Loop: Header=BB14_17 Depth=1
	s_and_not1_saveexec_b32 s29, s29
	s_cbranch_execz .LBB14_2361
; %bb.2360:                             ;   in Loop: Header=BB14_17 Depth=1
	flat_load_u8 v14, v[16:17]
	s_wait_loadcnt_dscnt 0x0
	v_lshlrev_b32_e32 v14, 24, v14
	s_wait_xcnt 0x0
	s_delay_alu instid0(VALU_DEP_1) | instskip(NEXT) | instid1(VALU_DEP_1)
	v_and_b32_e32 v16, 0x7f000000, v14
	v_clz_i32_u32_e32 v17, v16
	v_add_nc_u32_e32 v20, 0x1000000, v16
	v_cmp_ne_u32_e32 vcc_lo, 0, v16
	s_delay_alu instid0(VALU_DEP_3) | instskip(NEXT) | instid1(VALU_DEP_1)
	v_min_u32_e32 v17, 32, v17
	v_sub_nc_u32_e64 v17, v17, 4 clamp
	s_delay_alu instid0(VALU_DEP_1) | instskip(NEXT) | instid1(VALU_DEP_1)
	v_dual_lshlrev_b32 v19, v17, v16 :: v_dual_lshlrev_b32 v17, 23, v17
	v_lshrrev_b32_e32 v19, 4, v19
	s_delay_alu instid0(VALU_DEP_1) | instskip(NEXT) | instid1(VALU_DEP_1)
	v_dual_sub_nc_u32 v17, v19, v17 :: v_dual_ashrrev_i32 v19, 8, v20
	v_add_nc_u32_e32 v17, 0x3c000000, v17
	s_delay_alu instid0(VALU_DEP_1) | instskip(NEXT) | instid1(VALU_DEP_1)
	v_and_or_b32 v17, 0x7f800000, v19, v17
	v_cndmask_b32_e32 v16, 0, v17, vcc_lo
	s_delay_alu instid0(VALU_DEP_1)
	v_and_or_b32 v14, 0x80000000, v14, v16
.LBB14_2361:                            ;   in Loop: Header=BB14_17 Depth=1
	s_or_b32 exec_lo, exec_lo, s29
                                        ; implicit-def: $vgpr16_vgpr17
.LBB14_2362:                            ;   in Loop: Header=BB14_17 Depth=1
	s_and_not1_saveexec_b32 s28, s28
	s_cbranch_execz .LBB14_2364
; %bb.2363:                             ;   in Loop: Header=BB14_17 Depth=1
	flat_load_u8 v14, v[16:17]
	s_wait_loadcnt_dscnt 0x0
	v_lshlrev_b32_e32 v16, 25, v14
	v_lshlrev_b16 v14, 8, v14
	s_delay_alu instid0(VALU_DEP_1) | instskip(SKIP_1) | instid1(VALU_DEP_2)
	v_and_or_b32 v19, 0x7f00, v14, 0.5
	v_bfe_i32 v14, v14, 0, 16
	v_dual_add_f32 v19, -0.5, v19 :: v_dual_lshrrev_b32 v17, 4, v16
	v_cmp_gt_u32_e32 vcc_lo, 0x8000000, v16
	s_delay_alu instid0(VALU_DEP_2) | instskip(NEXT) | instid1(VALU_DEP_1)
	v_or_b32_e32 v17, 0x70000000, v17
	v_mul_f32_e32 v17, 0x7800000, v17
	s_delay_alu instid0(VALU_DEP_1) | instskip(NEXT) | instid1(VALU_DEP_1)
	v_cndmask_b32_e32 v16, v17, v19, vcc_lo
	v_and_or_b32 v14, 0x80000000, v14, v16
.LBB14_2364:                            ;   in Loop: Header=BB14_17 Depth=1
	s_or_b32 exec_lo, exec_lo, s28
	s_delay_alu instid0(SALU_CYCLE_1)
	s_or_b32 s28, s26, exec_lo
                                        ; implicit-def: $vgpr19
                                        ; implicit-def: $vgpr16_vgpr17
.LBB14_2365:                            ;   in Loop: Header=BB14_17 Depth=1
	s_and_not1_saveexec_b32 s27, s27
	s_cbranch_execz .LBB14_2375
; %bb.2366:                             ;   in Loop: Header=BB14_17 Depth=1
	s_mov_b32 s29, s28
	s_mov_b32 s40, exec_lo
                                        ; implicit-def: $vgpr14
	v_cmpx_lt_i16_e32 14, v19
	s_xor_b32 s40, exec_lo, s40
	s_cbranch_execz .LBB14_2370
; %bb.2367:                             ;   in Loop: Header=BB14_17 Depth=1
	s_mov_b32 s29, s28
	s_mov_b32 s41, exec_lo
                                        ; implicit-def: $vgpr14
	v_cmpx_eq_u16_e32 15, v19
	s_cbranch_execz .LBB14_2369
; %bb.2368:                             ;   in Loop: Header=BB14_17 Depth=1
	flat_load_u16 v14, v[16:17]
	s_or_b32 s29, s28, exec_lo
	s_wait_loadcnt_dscnt 0x0
	v_lshlrev_b32_e32 v14, 16, v14
.LBB14_2369:                            ;   in Loop: Header=BB14_17 Depth=1
	s_wait_xcnt 0x0
	s_or_b32 exec_lo, exec_lo, s41
	s_delay_alu instid0(SALU_CYCLE_1) | instskip(SKIP_1) | instid1(SALU_CYCLE_1)
	s_and_not1_b32 s41, s28, exec_lo
	s_and_b32 s29, s29, exec_lo
                                        ; implicit-def: $vgpr19
                                        ; implicit-def: $vgpr16_vgpr17
	s_or_b32 s29, s41, s29
.LBB14_2370:                            ;   in Loop: Header=BB14_17 Depth=1
	s_and_not1_saveexec_b32 s40, s40
	s_cbranch_execz .LBB14_2374
; %bb.2371:                             ;   in Loop: Header=BB14_17 Depth=1
	s_mov_b32 s41, s29
	s_mov_b32 s42, exec_lo
                                        ; implicit-def: $vgpr14
	v_cmpx_eq_u16_e32 11, v19
	s_cbranch_execz .LBB14_2373
; %bb.2372:                             ;   in Loop: Header=BB14_17 Depth=1
	flat_load_u8 v14, v[16:17]
	s_or_b32 s41, s29, exec_lo
	s_wait_loadcnt_dscnt 0x0
	v_cmp_ne_u16_e32 vcc_lo, 0, v14
	v_cndmask_b32_e64 v14, 0, 1.0, vcc_lo
.LBB14_2373:                            ;   in Loop: Header=BB14_17 Depth=1
	s_wait_xcnt 0x0
	s_or_b32 exec_lo, exec_lo, s42
	s_delay_alu instid0(SALU_CYCLE_1) | instskip(SKIP_1) | instid1(SALU_CYCLE_1)
	s_and_not1_b32 s29, s29, exec_lo
	s_and_b32 s41, s41, exec_lo
	s_or_b32 s29, s29, s41
.LBB14_2374:                            ;   in Loop: Header=BB14_17 Depth=1
	s_or_b32 exec_lo, exec_lo, s40
	s_delay_alu instid0(SALU_CYCLE_1) | instskip(SKIP_1) | instid1(SALU_CYCLE_1)
	s_and_not1_b32 s28, s28, exec_lo
	s_and_b32 s29, s29, exec_lo
	s_or_b32 s28, s28, s29
.LBB14_2375:                            ;   in Loop: Header=BB14_17 Depth=1
	s_or_b32 exec_lo, exec_lo, s27
	s_delay_alu instid0(SALU_CYCLE_1) | instskip(SKIP_1) | instid1(SALU_CYCLE_1)
	s_and_not1_b32 s26, s26, exec_lo
	s_and_b32 s27, s28, exec_lo
	s_or_b32 s26, s26, s27
.LBB14_2376:                            ;   in Loop: Header=BB14_17 Depth=1
	s_or_b32 exec_lo, exec_lo, s25
	s_delay_alu instid0(SALU_CYCLE_1)
	s_and_b32 s25, s26, exec_lo
                                        ; implicit-def: $vgpr19
                                        ; implicit-def: $vgpr16_vgpr17
	s_and_not1_saveexec_b32 s21, s21
	s_cbranch_execz .LBB14_678
.LBB14_2377:                            ;   in Loop: Header=BB14_17 Depth=1
	s_mov_b32 s26, exec_lo
                                        ; implicit-def: $vgpr14
	v_cmpx_lt_i16_e32 4, v19
	s_xor_b32 s26, exec_lo, s26
	s_cbranch_execz .LBB14_2399
; %bb.2378:                             ;   in Loop: Header=BB14_17 Depth=1
	s_mov_b32 s27, exec_lo
                                        ; implicit-def: $vgpr14
	v_cmpx_lt_i16_e32 7, v19
	s_xor_b32 s27, exec_lo, s27
	s_cbranch_execz .LBB14_2388
; %bb.2379:                             ;   in Loop: Header=BB14_17 Depth=1
	;; [unrolled: 6-line block ×4, first 2 shown]
	flat_load_b64 v[16:17], v[16:17]
	s_wait_loadcnt_dscnt 0x0
	v_cvt_f32_f64_e32 v14, v[16:17]
                                        ; implicit-def: $vgpr16_vgpr17
.LBB14_2382:                            ;   in Loop: Header=BB14_17 Depth=1
	s_wait_xcnt 0x0
	s_and_not1_saveexec_b32 s29, s29
	s_cbranch_execz .LBB14_2384
; %bb.2383:                             ;   in Loop: Header=BB14_17 Depth=1
	flat_load_b32 v14, v[16:17]
.LBB14_2384:                            ;   in Loop: Header=BB14_17 Depth=1
	s_wait_xcnt 0x0
	s_or_b32 exec_lo, exec_lo, s29
                                        ; implicit-def: $vgpr16_vgpr17
.LBB14_2385:                            ;   in Loop: Header=BB14_17 Depth=1
	s_and_not1_saveexec_b32 s28, s28
	s_cbranch_execz .LBB14_2387
; %bb.2386:                             ;   in Loop: Header=BB14_17 Depth=1
	s_wait_loadcnt_dscnt 0x0
	flat_load_b32 v14, v[16:17]
	s_wait_loadcnt_dscnt 0x0
	v_cvt_f32_f16_e32 v14, v14
.LBB14_2387:                            ;   in Loop: Header=BB14_17 Depth=1
	s_wait_xcnt 0x0
	s_or_b32 exec_lo, exec_lo, s28
                                        ; implicit-def: $vgpr16_vgpr17
                                        ; implicit-def: $vgpr19
.LBB14_2388:                            ;   in Loop: Header=BB14_17 Depth=1
	s_and_not1_saveexec_b32 s27, s27
	s_cbranch_execz .LBB14_2398
; %bb.2389:                             ;   in Loop: Header=BB14_17 Depth=1
	s_mov_b32 s28, exec_lo
                                        ; implicit-def: $vgpr14
	v_cmpx_lt_i16_e32 5, v19
	s_xor_b32 s28, exec_lo, s28
	s_cbranch_execz .LBB14_2395
; %bb.2390:                             ;   in Loop: Header=BB14_17 Depth=1
	s_mov_b32 s29, exec_lo
                                        ; implicit-def: $vgpr14
	v_cmpx_lt_i16_e32 6, v19
	s_xor_b32 s29, exec_lo, s29
	s_cbranch_execz .LBB14_2392
; %bb.2391:                             ;   in Loop: Header=BB14_17 Depth=1
	flat_load_b64 v[16:17], v[16:17]
	s_wait_loadcnt_dscnt 0x0
	v_cvt_f32_f64_e32 v14, v[16:17]
                                        ; implicit-def: $vgpr16_vgpr17
.LBB14_2392:                            ;   in Loop: Header=BB14_17 Depth=1
	s_wait_xcnt 0x0
	s_and_not1_saveexec_b32 s29, s29
	s_cbranch_execz .LBB14_2394
; %bb.2393:                             ;   in Loop: Header=BB14_17 Depth=1
	s_wait_loadcnt_dscnt 0x0
	flat_load_b32 v14, v[16:17]
.LBB14_2394:                            ;   in Loop: Header=BB14_17 Depth=1
	s_wait_xcnt 0x0
	s_or_b32 exec_lo, exec_lo, s29
                                        ; implicit-def: $vgpr16_vgpr17
.LBB14_2395:                            ;   in Loop: Header=BB14_17 Depth=1
	s_and_not1_saveexec_b32 s28, s28
	s_cbranch_execz .LBB14_2397
; %bb.2396:                             ;   in Loop: Header=BB14_17 Depth=1
	s_wait_loadcnt_dscnt 0x0
	flat_load_u16 v14, v[16:17]
	s_wait_loadcnt_dscnt 0x0
	v_cvt_f32_f16_e32 v14, v14
.LBB14_2397:                            ;   in Loop: Header=BB14_17 Depth=1
	s_wait_xcnt 0x0
	s_or_b32 exec_lo, exec_lo, s28
.LBB14_2398:                            ;   in Loop: Header=BB14_17 Depth=1
	s_delay_alu instid0(SALU_CYCLE_1)
	s_or_b32 exec_lo, exec_lo, s27
                                        ; implicit-def: $vgpr19
                                        ; implicit-def: $vgpr16_vgpr17
.LBB14_2399:                            ;   in Loop: Header=BB14_17 Depth=1
	s_and_not1_saveexec_b32 s26, s26
	s_cbranch_execz .LBB14_2417
; %bb.2400:                             ;   in Loop: Header=BB14_17 Depth=1
	s_mov_b32 s27, exec_lo
                                        ; implicit-def: $vgpr14
	v_cmpx_lt_i16_e32 1, v19
	s_xor_b32 s27, exec_lo, s27
	s_cbranch_execz .LBB14_2410
; %bb.2401:                             ;   in Loop: Header=BB14_17 Depth=1
	s_mov_b32 s28, exec_lo
                                        ; implicit-def: $vgpr14
	v_cmpx_lt_i16_e32 2, v19
	s_xor_b32 s28, exec_lo, s28
	;; [unrolled: 6-line block ×3, first 2 shown]
	s_cbranch_execz .LBB14_2404
; %bb.2403:                             ;   in Loop: Header=BB14_17 Depth=1
	flat_load_b64 v[16:17], v[16:17]
	s_wait_loadcnt_dscnt 0x0
	v_xor_b32_e32 v14, v16, v17
	v_cls_i32_e32 v19, v17
	s_delay_alu instid0(VALU_DEP_2) | instskip(NEXT) | instid1(VALU_DEP_1)
	v_ashrrev_i32_e32 v14, 31, v14
	v_add_nc_u32_e32 v14, 32, v14
	s_delay_alu instid0(VALU_DEP_1) | instskip(SKIP_1) | instid1(VALU_DEP_1)
	v_add_min_u32_e64 v14, v19, -1, v14
	s_wait_xcnt 0x0
	v_lshlrev_b64_e32 v[16:17], v14, v[16:17]
	v_sub_nc_u32_e32 v14, 32, v14
	s_delay_alu instid0(VALU_DEP_2) | instskip(NEXT) | instid1(VALU_DEP_1)
	v_min_u32_e32 v16, 1, v16
	v_or_b32_e32 v16, v17, v16
	s_delay_alu instid0(VALU_DEP_1) | instskip(NEXT) | instid1(VALU_DEP_1)
	v_cvt_f32_i32_e32 v16, v16
	v_ldexp_f32 v14, v16, v14
                                        ; implicit-def: $vgpr16_vgpr17
.LBB14_2404:                            ;   in Loop: Header=BB14_17 Depth=1
	s_and_not1_saveexec_b32 s29, s29
	s_cbranch_execz .LBB14_2406
; %bb.2405:                             ;   in Loop: Header=BB14_17 Depth=1
	s_wait_loadcnt_dscnt 0x0
	flat_load_b32 v14, v[16:17]
	s_wait_loadcnt_dscnt 0x0
	v_cvt_f32_i32_e32 v14, v14
.LBB14_2406:                            ;   in Loop: Header=BB14_17 Depth=1
	s_wait_xcnt 0x0
	s_or_b32 exec_lo, exec_lo, s29
                                        ; implicit-def: $vgpr16_vgpr17
.LBB14_2407:                            ;   in Loop: Header=BB14_17 Depth=1
	s_and_not1_saveexec_b32 s28, s28
	s_cbranch_execz .LBB14_2409
; %bb.2408:                             ;   in Loop: Header=BB14_17 Depth=1
	s_wait_loadcnt_dscnt 0x0
	flat_load_i16 v14, v[16:17]
	s_wait_loadcnt_dscnt 0x0
	v_cvt_f32_i32_e32 v14, v14
.LBB14_2409:                            ;   in Loop: Header=BB14_17 Depth=1
	s_wait_xcnt 0x0
	s_or_b32 exec_lo, exec_lo, s28
                                        ; implicit-def: $vgpr16_vgpr17
                                        ; implicit-def: $vgpr19
.LBB14_2410:                            ;   in Loop: Header=BB14_17 Depth=1
	s_and_not1_saveexec_b32 s27, s27
	s_cbranch_execz .LBB14_2416
; %bb.2411:                             ;   in Loop: Header=BB14_17 Depth=1
	s_mov_b32 s28, exec_lo
                                        ; implicit-def: $vgpr14
	v_cmpx_lt_i16_e32 0, v19
	s_xor_b32 s28, exec_lo, s28
	s_cbranch_execz .LBB14_2413
; %bb.2412:                             ;   in Loop: Header=BB14_17 Depth=1
	s_wait_loadcnt_dscnt 0x0
	flat_load_i8 v14, v[16:17]
                                        ; implicit-def: $vgpr16_vgpr17
	s_wait_loadcnt_dscnt 0x0
	v_cvt_f32_i32_e32 v14, v14
.LBB14_2413:                            ;   in Loop: Header=BB14_17 Depth=1
	s_wait_xcnt 0x0
	s_and_not1_saveexec_b32 s28, s28
	s_cbranch_execz .LBB14_2415
; %bb.2414:                             ;   in Loop: Header=BB14_17 Depth=1
	s_wait_loadcnt_dscnt 0x0
	flat_load_u8 v14, v[16:17]
	s_wait_loadcnt_dscnt 0x0
	v_cvt_f32_ubyte0_e32 v14, v14
.LBB14_2415:                            ;   in Loop: Header=BB14_17 Depth=1
	s_wait_xcnt 0x0
	s_or_b32 exec_lo, exec_lo, s28
.LBB14_2416:                            ;   in Loop: Header=BB14_17 Depth=1
	s_delay_alu instid0(SALU_CYCLE_1)
	s_or_b32 exec_lo, exec_lo, s27
.LBB14_2417:                            ;   in Loop: Header=BB14_17 Depth=1
	s_delay_alu instid0(SALU_CYCLE_1) | instskip(NEXT) | instid1(SALU_CYCLE_1)
	s_or_b32 exec_lo, exec_lo, s26
	s_or_b32 s25, s25, exec_lo
	s_or_b32 exec_lo, exec_lo, s21
	s_mov_b32 s26, 0
	s_and_saveexec_b32 s21, s25
	s_cbranch_execnz .LBB14_679
	s_branch .LBB14_680
.LBB14_2418:                            ;   in Loop: Header=BB14_17 Depth=1
	s_mov_b32 s16, -1
	s_mov_b32 s18, exec_lo
	v_cmpx_eq_u16_e32 0x80, v16
; %bb.2419:                             ;   in Loop: Header=BB14_17 Depth=1
	s_xor_b32 s16, exec_lo, -1
; %bb.2420:                             ;   in Loop: Header=BB14_17 Depth=1
	s_or_b32 exec_lo, exec_lo, s18
	s_delay_alu instid0(SALU_CYCLE_1)
	s_and_b32 s16, s16, exec_lo
	s_or_saveexec_b32 s17, s17
	v_mov_b32_e32 v14, 0x7f800001
	s_xor_b32 exec_lo, exec_lo, s17
	s_cbranch_execz .LBB14_1832
.LBB14_2421:                            ;   in Loop: Header=BB14_17 Depth=1
	v_cmp_ne_u16_e32 vcc_lo, 0, v16
	v_mov_b32_e32 v14, 0
	s_and_not1_b32 s16, s16, exec_lo
	s_and_b32 s18, vcc_lo, exec_lo
	s_delay_alu instid0(SALU_CYCLE_1)
	s_or_b32 s16, s16, s18
	s_or_b32 exec_lo, exec_lo, s17
	s_and_saveexec_b32 s17, s16
	s_cbranch_execnz .LBB14_1833
	s_branch .LBB14_1834
.LBB14_2422:                            ;   in Loop: Header=BB14_17 Depth=1
	s_mov_b32 s17, -1
	s_mov_b32 s19, exec_lo
	v_cmpx_eq_u16_e32 0x80, v16
; %bb.2423:                             ;   in Loop: Header=BB14_17 Depth=1
	s_xor_b32 s17, exec_lo, -1
; %bb.2424:                             ;   in Loop: Header=BB14_17 Depth=1
	s_or_b32 exec_lo, exec_lo, s19
	s_delay_alu instid0(SALU_CYCLE_1)
	s_and_b32 s17, s17, exec_lo
	s_or_saveexec_b32 s18, s18
	v_mov_b32_e32 v14, 0x7f800001
	s_xor_b32 exec_lo, exec_lo, s18
	s_cbranch_execz .LBB14_1921
.LBB14_2425:                            ;   in Loop: Header=BB14_17 Depth=1
	v_cmp_ne_u16_e32 vcc_lo, 0, v16
	v_mov_b32_e32 v14, 0
	s_and_not1_b32 s17, s17, exec_lo
	s_and_b32 s19, vcc_lo, exec_lo
	s_delay_alu instid0(SALU_CYCLE_1)
	s_or_b32 s17, s17, s19
	s_or_b32 exec_lo, exec_lo, s18
	s_and_saveexec_b32 s18, s17
	s_cbranch_execnz .LBB14_1922
	s_branch .LBB14_1923
.LBB14_2426:                            ;   in Loop: Header=BB14_17 Depth=1
	s_mov_b32 s19, -1
	s_mov_b32 s21, exec_lo
	v_cmpx_eq_u16_e32 0x80, v16
; %bb.2427:                             ;   in Loop: Header=BB14_17 Depth=1
	s_xor_b32 s19, exec_lo, -1
; %bb.2428:                             ;   in Loop: Header=BB14_17 Depth=1
	s_or_b32 exec_lo, exec_lo, s21
	s_delay_alu instid0(SALU_CYCLE_1)
	s_and_b32 s19, s19, exec_lo
	s_or_saveexec_b32 s20, s20
	v_mov_b32_e32 v14, 0x7f800001
	s_xor_b32 exec_lo, exec_lo, s20
	s_cbranch_execz .LBB14_279
.LBB14_2429:                            ;   in Loop: Header=BB14_17 Depth=1
	v_cmp_ne_u16_e32 vcc_lo, 0, v16
	v_mov_b32_e32 v14, 0
	s_and_not1_b32 s19, s19, exec_lo
	s_and_b32 s21, vcc_lo, exec_lo
	s_delay_alu instid0(SALU_CYCLE_1)
	s_or_b32 s19, s19, s21
	s_or_b32 exec_lo, exec_lo, s20
	s_and_saveexec_b32 s20, s19
	s_cbranch_execnz .LBB14_280
	s_branch .LBB14_281
.LBB14_2430:                            ;   in Loop: Header=BB14_17 Depth=1
	s_mov_b32 s21, -1
	s_mov_b32 s23, exec_lo
	v_cmpx_eq_u16_e32 0x80, v16
; %bb.2431:                             ;   in Loop: Header=BB14_17 Depth=1
	s_xor_b32 s21, exec_lo, -1
; %bb.2432:                             ;   in Loop: Header=BB14_17 Depth=1
	s_or_b32 exec_lo, exec_lo, s23
	s_delay_alu instid0(SALU_CYCLE_1)
	s_and_b32 s21, s21, exec_lo
	s_or_saveexec_b32 s22, s22
	v_mov_b32_e32 v14, 0x7f800001
	s_xor_b32 exec_lo, exec_lo, s22
	s_cbranch_execz .LBB14_379
.LBB14_2433:                            ;   in Loop: Header=BB14_17 Depth=1
	v_cmp_ne_u16_e32 vcc_lo, 0, v16
	v_mov_b32_e32 v14, 0
	s_and_not1_b32 s21, s21, exec_lo
	s_and_b32 s23, vcc_lo, exec_lo
	s_delay_alu instid0(SALU_CYCLE_1)
	s_or_b32 s21, s21, s23
	s_or_b32 exec_lo, exec_lo, s22
	s_and_saveexec_b32 s22, s21
	s_cbranch_execnz .LBB14_380
	s_branch .LBB14_381
.LBB14_2434:                            ;   in Loop: Header=BB14_17 Depth=1
	s_mov_b32 s28, exec_lo
                                        ; implicit-def: $vgpr14
	v_cmpx_lt_i16_e32 25, v19
	s_xor_b32 s28, exec_lo, s28
	s_cbranch_execz .LBB14_2466
; %bb.2435:                             ;   in Loop: Header=BB14_17 Depth=1
	s_mov_b32 s40, exec_lo
                                        ; implicit-def: $vgpr14
	v_cmpx_lt_i16_e32 28, v19
	s_xor_b32 s40, exec_lo, s40
	s_cbranch_execz .LBB14_2451
; %bb.2436:                             ;   in Loop: Header=BB14_17 Depth=1
	s_mov_b32 s41, 0
	s_mov_b32 s29, exec_lo
                                        ; implicit-def: $vgpr14
	v_cmpx_lt_i16_e32 43, v19
	s_xor_b32 s29, exec_lo, s29
	s_cbranch_execz .LBB14_2446
; %bb.2437:                             ;   in Loop: Header=BB14_17 Depth=1
	s_mov_b32 s42, exec_lo
                                        ; implicit-def: $vgpr14
	v_cmpx_lt_i16_e32 45, v19
	s_xor_b32 s42, exec_lo, s42
	s_cbranch_execz .LBB14_2441
; %bb.2438:                             ;   in Loop: Header=BB14_17 Depth=1
	s_mov_b32 s43, exec_lo
                                        ; implicit-def: $vgpr14
	v_cmpx_eq_u16_e32 46, v19
	s_cbranch_execz .LBB14_2440
; %bb.2439:                             ;   in Loop: Header=BB14_17 Depth=1
	flat_load_b32 v14, v[16:17]
	s_mov_b32 s41, exec_lo
	s_wait_loadcnt_dscnt 0x0
	v_lshlrev_b32_e32 v14, 16, v14
.LBB14_2440:                            ;   in Loop: Header=BB14_17 Depth=1
	s_wait_xcnt 0x0
	s_or_b32 exec_lo, exec_lo, s43
	s_delay_alu instid0(SALU_CYCLE_1)
	s_and_b32 s41, s41, exec_lo
                                        ; implicit-def: $vgpr19
                                        ; implicit-def: $vgpr16_vgpr17
.LBB14_2441:                            ;   in Loop: Header=BB14_17 Depth=1
	s_and_not1_saveexec_b32 s42, s42
	s_cbranch_execz .LBB14_2445
; %bb.2442:                             ;   in Loop: Header=BB14_17 Depth=1
	s_mov_b32 s44, s41
	s_mov_b32 s43, exec_lo
                                        ; implicit-def: $vgpr14
	v_cmpx_eq_u16_e32 44, v19
	s_cbranch_execz .LBB14_2444
; %bb.2443:                             ;   in Loop: Header=BB14_17 Depth=1
	flat_load_u8 v14, v[16:17]
	s_or_b32 s44, s41, exec_lo
	s_wait_loadcnt_dscnt 0x0
	v_lshlrev_b32_e32 v16, 23, v14
	v_cmp_ne_u32_e32 vcc_lo, 0xff, v14
	s_delay_alu instid0(VALU_DEP_2) | instskip(SKIP_1) | instid1(VALU_DEP_2)
	v_cndmask_b32_e32 v16, 0x7f800001, v16, vcc_lo
	v_cmp_ne_u32_e32 vcc_lo, 0, v14
	v_cndmask_b32_e32 v14, 0x400000, v16, vcc_lo
.LBB14_2444:                            ;   in Loop: Header=BB14_17 Depth=1
	s_or_b32 exec_lo, exec_lo, s43
	s_delay_alu instid0(SALU_CYCLE_1) | instskip(SKIP_1) | instid1(SALU_CYCLE_1)
	s_and_not1_b32 s41, s41, exec_lo
	s_and_b32 s43, s44, exec_lo
	s_or_b32 s41, s41, s43
.LBB14_2445:                            ;   in Loop: Header=BB14_17 Depth=1
	s_or_b32 exec_lo, exec_lo, s42
	s_delay_alu instid0(SALU_CYCLE_1)
	s_and_b32 s41, s41, exec_lo
                                        ; implicit-def: $vgpr19
                                        ; implicit-def: $vgpr16_vgpr17
.LBB14_2446:                            ;   in Loop: Header=BB14_17 Depth=1
	s_and_not1_saveexec_b32 s29, s29
	s_cbranch_execz .LBB14_2450
; %bb.2447:                             ;   in Loop: Header=BB14_17 Depth=1
	s_mov_b32 s43, s41
	s_mov_b32 s42, exec_lo
                                        ; implicit-def: $vgpr14
	v_cmpx_eq_u16_e32 29, v19
	s_cbranch_execz .LBB14_2449
; %bb.2448:                             ;   in Loop: Header=BB14_17 Depth=1
	flat_load_b64 v[16:17], v[16:17]
	s_or_b32 s43, s41, exec_lo
	s_wait_loadcnt_dscnt 0x0
	v_clz_i32_u32_e32 v14, v17
	s_delay_alu instid0(VALU_DEP_1) | instskip(SKIP_1) | instid1(VALU_DEP_1)
	v_min_u32_e32 v14, 32, v14
	s_wait_xcnt 0x0
	v_lshlrev_b64_e32 v[16:17], v14, v[16:17]
	v_sub_nc_u32_e32 v14, 32, v14
	s_delay_alu instid0(VALU_DEP_2) | instskip(NEXT) | instid1(VALU_DEP_1)
	v_min_u32_e32 v16, 1, v16
	v_or_b32_e32 v16, v17, v16
	s_delay_alu instid0(VALU_DEP_1) | instskip(NEXT) | instid1(VALU_DEP_1)
	v_cvt_f32_u32_e32 v16, v16
	v_ldexp_f32 v14, v16, v14
.LBB14_2449:                            ;   in Loop: Header=BB14_17 Depth=1
	s_or_b32 exec_lo, exec_lo, s42
	s_delay_alu instid0(SALU_CYCLE_1) | instskip(SKIP_1) | instid1(SALU_CYCLE_1)
	s_and_not1_b32 s41, s41, exec_lo
	s_and_b32 s42, s43, exec_lo
	s_or_b32 s41, s41, s42
.LBB14_2450:                            ;   in Loop: Header=BB14_17 Depth=1
	s_or_b32 exec_lo, exec_lo, s29
	s_delay_alu instid0(SALU_CYCLE_1)
	s_and_b32 s29, s41, exec_lo
                                        ; implicit-def: $vgpr19
                                        ; implicit-def: $vgpr16_vgpr17
.LBB14_2451:                            ;   in Loop: Header=BB14_17 Depth=1
	s_and_not1_saveexec_b32 s40, s40
	s_cbranch_execz .LBB14_2465
; %bb.2452:                             ;   in Loop: Header=BB14_17 Depth=1
	s_mov_b32 s41, exec_lo
                                        ; implicit-def: $vgpr14
	v_cmpx_lt_i16_e32 26, v19
	s_xor_b32 s41, exec_lo, s41
	s_cbranch_execz .LBB14_2458
; %bb.2453:                             ;   in Loop: Header=BB14_17 Depth=1
	s_mov_b32 s42, exec_lo
                                        ; implicit-def: $vgpr14
	v_cmpx_lt_i16_e32 27, v19
	s_xor_b32 s42, exec_lo, s42
	s_cbranch_execz .LBB14_2455
; %bb.2454:                             ;   in Loop: Header=BB14_17 Depth=1
	flat_load_b32 v14, v[16:17]
                                        ; implicit-def: $vgpr16_vgpr17
	s_wait_loadcnt_dscnt 0x0
	v_cvt_f32_u32_e32 v14, v14
.LBB14_2455:                            ;   in Loop: Header=BB14_17 Depth=1
	s_wait_xcnt 0x0
	s_and_not1_saveexec_b32 s42, s42
	s_cbranch_execz .LBB14_2457
; %bb.2456:                             ;   in Loop: Header=BB14_17 Depth=1
	flat_load_u16 v14, v[16:17]
	s_wait_loadcnt_dscnt 0x0
	v_cvt_f32_u32_e32 v14, v14
.LBB14_2457:                            ;   in Loop: Header=BB14_17 Depth=1
	s_wait_xcnt 0x0
	s_or_b32 exec_lo, exec_lo, s42
                                        ; implicit-def: $vgpr16_vgpr17
.LBB14_2458:                            ;   in Loop: Header=BB14_17 Depth=1
	s_and_not1_saveexec_b32 s41, s41
	s_cbranch_execz .LBB14_2464
; %bb.2459:                             ;   in Loop: Header=BB14_17 Depth=1
	flat_load_u8 v16, v[16:17]
	s_mov_b32 s42, 0
	s_mov_b32 s43, exec_lo
	s_wait_loadcnt_dscnt 0x0
	v_cmpx_lt_i16_e32 0x7f, v16
	s_xor_b32 s43, exec_lo, s43
	s_cbranch_execnz .LBB14_3002
; %bb.2460:                             ;   in Loop: Header=BB14_17 Depth=1
	s_or_saveexec_b32 s43, s43
	v_mov_b32_e32 v14, 0x7f800001
	s_xor_b32 exec_lo, exec_lo, s43
	s_cbranch_execnz .LBB14_3005
.LBB14_2461:                            ;   in Loop: Header=BB14_17 Depth=1
	s_or_b32 exec_lo, exec_lo, s43
	s_and_saveexec_b32 s43, s42
	s_cbranch_execz .LBB14_2463
.LBB14_2462:                            ;   in Loop: Header=BB14_17 Depth=1
	v_and_b32_e32 v14, 0xffff, v16
	s_delay_alu instid0(VALU_DEP_1) | instskip(SKIP_1) | instid1(VALU_DEP_2)
	v_and_b32_e32 v17, 7, v14
	v_bfe_u32 v21, v14, 3, 4
	v_clz_i32_u32_e32 v19, v17
	s_delay_alu instid0(VALU_DEP_2) | instskip(NEXT) | instid1(VALU_DEP_2)
	v_cmp_eq_u32_e32 vcc_lo, 0, v21
	v_min_u32_e32 v19, 32, v19
	s_delay_alu instid0(VALU_DEP_1) | instskip(NEXT) | instid1(VALU_DEP_1)
	v_subrev_nc_u32_e32 v20, 28, v19
	v_dual_lshlrev_b32 v14, v20, v14 :: v_dual_sub_nc_u32 v19, 29, v19
	s_delay_alu instid0(VALU_DEP_1) | instskip(NEXT) | instid1(VALU_DEP_2)
	v_dual_lshlrev_b32 v16, 24, v16 :: v_dual_bitop2_b32 v14, 7, v14 bitop3:0x40
	v_cndmask_b32_e32 v19, v21, v19, vcc_lo
	s_delay_alu instid0(VALU_DEP_2) | instskip(NEXT) | instid1(VALU_DEP_3)
	v_cndmask_b32_e32 v14, v17, v14, vcc_lo
	v_and_b32_e32 v16, 0x80000000, v16
	s_delay_alu instid0(VALU_DEP_3) | instskip(NEXT) | instid1(VALU_DEP_3)
	v_lshl_add_u32 v17, v19, 23, 0x3b800000
	v_lshlrev_b32_e32 v14, 20, v14
	s_delay_alu instid0(VALU_DEP_1)
	v_or3_b32 v14, v16, v17, v14
.LBB14_2463:                            ;   in Loop: Header=BB14_17 Depth=1
	s_or_b32 exec_lo, exec_lo, s43
.LBB14_2464:                            ;   in Loop: Header=BB14_17 Depth=1
	s_delay_alu instid0(SALU_CYCLE_1) | instskip(NEXT) | instid1(SALU_CYCLE_1)
	s_or_b32 exec_lo, exec_lo, s41
	s_or_b32 s29, s29, exec_lo
.LBB14_2465:                            ;   in Loop: Header=BB14_17 Depth=1
	s_or_b32 exec_lo, exec_lo, s40
	s_delay_alu instid0(SALU_CYCLE_1)
	s_and_b32 s29, s29, exec_lo
                                        ; implicit-def: $vgpr19
                                        ; implicit-def: $vgpr16_vgpr17
.LBB14_2466:                            ;   in Loop: Header=BB14_17 Depth=1
	s_and_not1_saveexec_b32 s28, s28
	s_cbranch_execz .LBB14_2492
; %bb.2467:                             ;   in Loop: Header=BB14_17 Depth=1
	s_mov_b32 s41, s29
	s_mov_b32 s40, exec_lo
                                        ; implicit-def: $vgpr14
	v_cmpx_lt_i16_e32 22, v19
	s_xor_b32 s40, exec_lo, s40
	s_cbranch_execz .LBB14_2481
; %bb.2468:                             ;   in Loop: Header=BB14_17 Depth=1
	s_mov_b32 s41, exec_lo
                                        ; implicit-def: $vgpr14
	v_cmpx_lt_i16_e32 23, v19
	s_xor_b32 s41, exec_lo, s41
	s_cbranch_execz .LBB14_2478
; %bb.2469:                             ;   in Loop: Header=BB14_17 Depth=1
	;; [unrolled: 6-line block ×3, first 2 shown]
	flat_load_u8 v16, v[16:17]
	s_mov_b32 s43, 0
	s_mov_b32 s44, exec_lo
	s_wait_loadcnt_dscnt 0x0
	v_cmpx_lt_i16_e32 0x7f, v16
	s_xor_b32 s44, exec_lo, s44
	s_cbranch_execnz .LBB14_3114
; %bb.2471:                             ;   in Loop: Header=BB14_17 Depth=1
	s_or_saveexec_b32 s44, s44
	v_mov_b32_e32 v14, 0x7f800001
	s_xor_b32 exec_lo, exec_lo, s44
	s_cbranch_execnz .LBB14_3117
.LBB14_2472:                            ;   in Loop: Header=BB14_17 Depth=1
	s_or_b32 exec_lo, exec_lo, s44
	s_and_saveexec_b32 s44, s43
	s_cbranch_execz .LBB14_2474
.LBB14_2473:                            ;   in Loop: Header=BB14_17 Depth=1
	v_and_b32_e32 v14, 0xffff, v16
	s_delay_alu instid0(VALU_DEP_1) | instskip(SKIP_1) | instid1(VALU_DEP_2)
	v_and_b32_e32 v17, 3, v14
	v_bfe_u32 v21, v14, 2, 5
	v_clz_i32_u32_e32 v19, v17
	s_delay_alu instid0(VALU_DEP_2) | instskip(NEXT) | instid1(VALU_DEP_2)
	v_cmp_eq_u32_e32 vcc_lo, 0, v21
	v_min_u32_e32 v19, 32, v19
	s_delay_alu instid0(VALU_DEP_1) | instskip(NEXT) | instid1(VALU_DEP_1)
	v_subrev_nc_u32_e32 v20, 29, v19
	v_dual_lshlrev_b32 v14, v20, v14 :: v_dual_sub_nc_u32 v19, 30, v19
	s_delay_alu instid0(VALU_DEP_1) | instskip(NEXT) | instid1(VALU_DEP_2)
	v_dual_lshlrev_b32 v16, 24, v16 :: v_dual_bitop2_b32 v14, 3, v14 bitop3:0x40
	v_cndmask_b32_e32 v19, v21, v19, vcc_lo
	s_delay_alu instid0(VALU_DEP_2) | instskip(NEXT) | instid1(VALU_DEP_3)
	v_cndmask_b32_e32 v14, v17, v14, vcc_lo
	v_and_b32_e32 v16, 0x80000000, v16
	s_delay_alu instid0(VALU_DEP_3) | instskip(NEXT) | instid1(VALU_DEP_3)
	v_lshl_add_u32 v17, v19, 23, 0x37800000
	v_lshlrev_b32_e32 v14, 21, v14
	s_delay_alu instid0(VALU_DEP_1)
	v_or3_b32 v14, v16, v17, v14
.LBB14_2474:                            ;   in Loop: Header=BB14_17 Depth=1
	s_or_b32 exec_lo, exec_lo, s44
                                        ; implicit-def: $vgpr16_vgpr17
.LBB14_2475:                            ;   in Loop: Header=BB14_17 Depth=1
	s_and_not1_saveexec_b32 s42, s42
	s_cbranch_execz .LBB14_2477
; %bb.2476:                             ;   in Loop: Header=BB14_17 Depth=1
	flat_load_u8 v14, v[16:17]
	s_wait_loadcnt_dscnt 0x0
	v_lshlrev_b32_e32 v14, 24, v14
	s_wait_xcnt 0x0
	s_delay_alu instid0(VALU_DEP_1) | instskip(NEXT) | instid1(VALU_DEP_1)
	v_and_b32_e32 v16, 0x7f000000, v14
	v_clz_i32_u32_e32 v17, v16
	v_add_nc_u32_e32 v20, 0x1000000, v16
	v_cmp_ne_u32_e32 vcc_lo, 0, v16
	s_delay_alu instid0(VALU_DEP_3) | instskip(NEXT) | instid1(VALU_DEP_1)
	v_min_u32_e32 v17, 32, v17
	v_sub_nc_u32_e64 v17, v17, 4 clamp
	s_delay_alu instid0(VALU_DEP_1) | instskip(NEXT) | instid1(VALU_DEP_1)
	v_dual_lshlrev_b32 v19, v17, v16 :: v_dual_lshlrev_b32 v17, 23, v17
	v_lshrrev_b32_e32 v19, 4, v19
	s_delay_alu instid0(VALU_DEP_1) | instskip(NEXT) | instid1(VALU_DEP_1)
	v_dual_sub_nc_u32 v17, v19, v17 :: v_dual_ashrrev_i32 v19, 8, v20
	v_add_nc_u32_e32 v17, 0x3c000000, v17
	s_delay_alu instid0(VALU_DEP_1) | instskip(NEXT) | instid1(VALU_DEP_1)
	v_and_or_b32 v17, 0x7f800000, v19, v17
	v_cndmask_b32_e32 v16, 0, v17, vcc_lo
	s_delay_alu instid0(VALU_DEP_1)
	v_and_or_b32 v14, 0x80000000, v14, v16
.LBB14_2477:                            ;   in Loop: Header=BB14_17 Depth=1
	s_or_b32 exec_lo, exec_lo, s42
                                        ; implicit-def: $vgpr16_vgpr17
.LBB14_2478:                            ;   in Loop: Header=BB14_17 Depth=1
	s_and_not1_saveexec_b32 s41, s41
	s_cbranch_execz .LBB14_2480
; %bb.2479:                             ;   in Loop: Header=BB14_17 Depth=1
	flat_load_u8 v14, v[16:17]
	s_wait_loadcnt_dscnt 0x0
	v_lshlrev_b32_e32 v16, 25, v14
	v_lshlrev_b16 v14, 8, v14
	s_delay_alu instid0(VALU_DEP_1) | instskip(SKIP_1) | instid1(VALU_DEP_2)
	v_and_or_b32 v19, 0x7f00, v14, 0.5
	v_bfe_i32 v14, v14, 0, 16
	v_dual_add_f32 v19, -0.5, v19 :: v_dual_lshrrev_b32 v17, 4, v16
	v_cmp_gt_u32_e32 vcc_lo, 0x8000000, v16
	s_delay_alu instid0(VALU_DEP_2) | instskip(NEXT) | instid1(VALU_DEP_1)
	v_or_b32_e32 v17, 0x70000000, v17
	v_mul_f32_e32 v17, 0x7800000, v17
	s_delay_alu instid0(VALU_DEP_1) | instskip(NEXT) | instid1(VALU_DEP_1)
	v_cndmask_b32_e32 v16, v17, v19, vcc_lo
	v_and_or_b32 v14, 0x80000000, v14, v16
.LBB14_2480:                            ;   in Loop: Header=BB14_17 Depth=1
	s_or_b32 exec_lo, exec_lo, s41
	s_delay_alu instid0(SALU_CYCLE_1)
	s_or_b32 s41, s29, exec_lo
                                        ; implicit-def: $vgpr19
                                        ; implicit-def: $vgpr16_vgpr17
.LBB14_2481:                            ;   in Loop: Header=BB14_17 Depth=1
	s_and_not1_saveexec_b32 s40, s40
	s_cbranch_execz .LBB14_2491
; %bb.2482:                             ;   in Loop: Header=BB14_17 Depth=1
	s_mov_b32 s42, s41
	s_mov_b32 s43, exec_lo
                                        ; implicit-def: $vgpr14
	v_cmpx_lt_i16_e32 14, v19
	s_xor_b32 s43, exec_lo, s43
	s_cbranch_execz .LBB14_2486
; %bb.2483:                             ;   in Loop: Header=BB14_17 Depth=1
	s_mov_b32 s42, s41
	s_mov_b32 s44, exec_lo
                                        ; implicit-def: $vgpr14
	v_cmpx_eq_u16_e32 15, v19
	s_cbranch_execz .LBB14_2485
; %bb.2484:                             ;   in Loop: Header=BB14_17 Depth=1
	flat_load_u16 v14, v[16:17]
	s_or_b32 s42, s41, exec_lo
	s_wait_loadcnt_dscnt 0x0
	v_lshlrev_b32_e32 v14, 16, v14
.LBB14_2485:                            ;   in Loop: Header=BB14_17 Depth=1
	s_wait_xcnt 0x0
	s_or_b32 exec_lo, exec_lo, s44
	s_delay_alu instid0(SALU_CYCLE_1) | instskip(SKIP_1) | instid1(SALU_CYCLE_1)
	s_and_not1_b32 s44, s41, exec_lo
	s_and_b32 s42, s42, exec_lo
                                        ; implicit-def: $vgpr19
                                        ; implicit-def: $vgpr16_vgpr17
	s_or_b32 s42, s44, s42
.LBB14_2486:                            ;   in Loop: Header=BB14_17 Depth=1
	s_and_not1_saveexec_b32 s43, s43
	s_cbranch_execz .LBB14_2490
; %bb.2487:                             ;   in Loop: Header=BB14_17 Depth=1
	s_mov_b32 s44, s42
	s_mov_b32 s45, exec_lo
                                        ; implicit-def: $vgpr14
	v_cmpx_eq_u16_e32 11, v19
	s_cbranch_execz .LBB14_2489
; %bb.2488:                             ;   in Loop: Header=BB14_17 Depth=1
	flat_load_u8 v14, v[16:17]
	s_or_b32 s44, s42, exec_lo
	s_wait_loadcnt_dscnt 0x0
	v_cmp_ne_u16_e32 vcc_lo, 0, v14
	v_cndmask_b32_e64 v14, 0, 1.0, vcc_lo
.LBB14_2489:                            ;   in Loop: Header=BB14_17 Depth=1
	s_wait_xcnt 0x0
	s_or_b32 exec_lo, exec_lo, s45
	s_delay_alu instid0(SALU_CYCLE_1) | instskip(SKIP_1) | instid1(SALU_CYCLE_1)
	s_and_not1_b32 s42, s42, exec_lo
	s_and_b32 s44, s44, exec_lo
	s_or_b32 s42, s42, s44
.LBB14_2490:                            ;   in Loop: Header=BB14_17 Depth=1
	s_or_b32 exec_lo, exec_lo, s43
	s_delay_alu instid0(SALU_CYCLE_1) | instskip(SKIP_1) | instid1(SALU_CYCLE_1)
	s_and_not1_b32 s41, s41, exec_lo
	s_and_b32 s42, s42, exec_lo
	s_or_b32 s41, s41, s42
.LBB14_2491:                            ;   in Loop: Header=BB14_17 Depth=1
	s_or_b32 exec_lo, exec_lo, s40
	s_delay_alu instid0(SALU_CYCLE_1) | instskip(SKIP_1) | instid1(SALU_CYCLE_1)
	s_and_not1_b32 s29, s29, exec_lo
	s_and_b32 s40, s41, exec_lo
	s_or_b32 s29, s29, s40
.LBB14_2492:                            ;   in Loop: Header=BB14_17 Depth=1
	s_or_b32 exec_lo, exec_lo, s28
	s_delay_alu instid0(SALU_CYCLE_1)
	s_and_b32 s28, s29, exec_lo
                                        ; implicit-def: $vgpr19
                                        ; implicit-def: $vgpr16_vgpr17
	s_and_not1_saveexec_b32 s24, s24
	s_cbranch_execz .LBB14_789
.LBB14_2493:                            ;   in Loop: Header=BB14_17 Depth=1
	s_mov_b32 s29, exec_lo
                                        ; implicit-def: $vgpr14
	v_cmpx_lt_i16_e32 4, v19
	s_xor_b32 s29, exec_lo, s29
	s_cbranch_execz .LBB14_2515
; %bb.2494:                             ;   in Loop: Header=BB14_17 Depth=1
	s_mov_b32 s40, exec_lo
                                        ; implicit-def: $vgpr14
	v_cmpx_lt_i16_e32 7, v19
	s_xor_b32 s40, exec_lo, s40
	s_cbranch_execz .LBB14_2504
; %bb.2495:                             ;   in Loop: Header=BB14_17 Depth=1
	;; [unrolled: 6-line block ×4, first 2 shown]
	flat_load_b64 v[16:17], v[16:17]
	s_wait_loadcnt_dscnt 0x0
	v_cvt_f32_f64_e32 v14, v[16:17]
                                        ; implicit-def: $vgpr16_vgpr17
.LBB14_2498:                            ;   in Loop: Header=BB14_17 Depth=1
	s_wait_xcnt 0x0
	s_and_not1_saveexec_b32 s42, s42
	s_cbranch_execz .LBB14_2500
; %bb.2499:                             ;   in Loop: Header=BB14_17 Depth=1
	flat_load_b32 v14, v[16:17]
.LBB14_2500:                            ;   in Loop: Header=BB14_17 Depth=1
	s_wait_xcnt 0x0
	s_or_b32 exec_lo, exec_lo, s42
                                        ; implicit-def: $vgpr16_vgpr17
.LBB14_2501:                            ;   in Loop: Header=BB14_17 Depth=1
	s_and_not1_saveexec_b32 s41, s41
	s_cbranch_execz .LBB14_2503
; %bb.2502:                             ;   in Loop: Header=BB14_17 Depth=1
	s_wait_loadcnt_dscnt 0x0
	flat_load_b32 v14, v[16:17]
	s_wait_loadcnt_dscnt 0x0
	v_cvt_f32_f16_e32 v14, v14
.LBB14_2503:                            ;   in Loop: Header=BB14_17 Depth=1
	s_wait_xcnt 0x0
	s_or_b32 exec_lo, exec_lo, s41
                                        ; implicit-def: $vgpr16_vgpr17
                                        ; implicit-def: $vgpr19
.LBB14_2504:                            ;   in Loop: Header=BB14_17 Depth=1
	s_and_not1_saveexec_b32 s40, s40
	s_cbranch_execz .LBB14_2514
; %bb.2505:                             ;   in Loop: Header=BB14_17 Depth=1
	s_mov_b32 s41, exec_lo
                                        ; implicit-def: $vgpr14
	v_cmpx_lt_i16_e32 5, v19
	s_xor_b32 s41, exec_lo, s41
	s_cbranch_execz .LBB14_2511
; %bb.2506:                             ;   in Loop: Header=BB14_17 Depth=1
	s_mov_b32 s42, exec_lo
                                        ; implicit-def: $vgpr14
	v_cmpx_lt_i16_e32 6, v19
	s_xor_b32 s42, exec_lo, s42
	s_cbranch_execz .LBB14_2508
; %bb.2507:                             ;   in Loop: Header=BB14_17 Depth=1
	flat_load_b64 v[16:17], v[16:17]
	s_wait_loadcnt_dscnt 0x0
	v_cvt_f32_f64_e32 v14, v[16:17]
                                        ; implicit-def: $vgpr16_vgpr17
.LBB14_2508:                            ;   in Loop: Header=BB14_17 Depth=1
	s_wait_xcnt 0x0
	s_and_not1_saveexec_b32 s42, s42
	s_cbranch_execz .LBB14_2510
; %bb.2509:                             ;   in Loop: Header=BB14_17 Depth=1
	s_wait_loadcnt_dscnt 0x0
	flat_load_b32 v14, v[16:17]
.LBB14_2510:                            ;   in Loop: Header=BB14_17 Depth=1
	s_wait_xcnt 0x0
	s_or_b32 exec_lo, exec_lo, s42
                                        ; implicit-def: $vgpr16_vgpr17
.LBB14_2511:                            ;   in Loop: Header=BB14_17 Depth=1
	s_and_not1_saveexec_b32 s41, s41
	s_cbranch_execz .LBB14_2513
; %bb.2512:                             ;   in Loop: Header=BB14_17 Depth=1
	s_wait_loadcnt_dscnt 0x0
	flat_load_u16 v14, v[16:17]
	s_wait_loadcnt_dscnt 0x0
	v_cvt_f32_f16_e32 v14, v14
.LBB14_2513:                            ;   in Loop: Header=BB14_17 Depth=1
	s_wait_xcnt 0x0
	s_or_b32 exec_lo, exec_lo, s41
.LBB14_2514:                            ;   in Loop: Header=BB14_17 Depth=1
	s_delay_alu instid0(SALU_CYCLE_1)
	s_or_b32 exec_lo, exec_lo, s40
                                        ; implicit-def: $vgpr19
                                        ; implicit-def: $vgpr16_vgpr17
.LBB14_2515:                            ;   in Loop: Header=BB14_17 Depth=1
	s_and_not1_saveexec_b32 s29, s29
	s_cbranch_execz .LBB14_2533
; %bb.2516:                             ;   in Loop: Header=BB14_17 Depth=1
	s_mov_b32 s40, exec_lo
                                        ; implicit-def: $vgpr14
	v_cmpx_lt_i16_e32 1, v19
	s_xor_b32 s40, exec_lo, s40
	s_cbranch_execz .LBB14_2526
; %bb.2517:                             ;   in Loop: Header=BB14_17 Depth=1
	s_mov_b32 s41, exec_lo
                                        ; implicit-def: $vgpr14
	v_cmpx_lt_i16_e32 2, v19
	s_xor_b32 s41, exec_lo, s41
	;; [unrolled: 6-line block ×3, first 2 shown]
	s_cbranch_execz .LBB14_2520
; %bb.2519:                             ;   in Loop: Header=BB14_17 Depth=1
	flat_load_b64 v[16:17], v[16:17]
	s_wait_loadcnt_dscnt 0x0
	v_xor_b32_e32 v14, v16, v17
	v_cls_i32_e32 v19, v17
	s_delay_alu instid0(VALU_DEP_2) | instskip(NEXT) | instid1(VALU_DEP_1)
	v_ashrrev_i32_e32 v14, 31, v14
	v_add_nc_u32_e32 v14, 32, v14
	s_delay_alu instid0(VALU_DEP_1) | instskip(SKIP_1) | instid1(VALU_DEP_1)
	v_add_min_u32_e64 v14, v19, -1, v14
	s_wait_xcnt 0x0
	v_lshlrev_b64_e32 v[16:17], v14, v[16:17]
	v_sub_nc_u32_e32 v14, 32, v14
	s_delay_alu instid0(VALU_DEP_2) | instskip(NEXT) | instid1(VALU_DEP_1)
	v_min_u32_e32 v16, 1, v16
	v_or_b32_e32 v16, v17, v16
	s_delay_alu instid0(VALU_DEP_1) | instskip(NEXT) | instid1(VALU_DEP_1)
	v_cvt_f32_i32_e32 v16, v16
	v_ldexp_f32 v14, v16, v14
                                        ; implicit-def: $vgpr16_vgpr17
.LBB14_2520:                            ;   in Loop: Header=BB14_17 Depth=1
	s_and_not1_saveexec_b32 s42, s42
	s_cbranch_execz .LBB14_2522
; %bb.2521:                             ;   in Loop: Header=BB14_17 Depth=1
	s_wait_loadcnt_dscnt 0x0
	flat_load_b32 v14, v[16:17]
	s_wait_loadcnt_dscnt 0x0
	v_cvt_f32_i32_e32 v14, v14
.LBB14_2522:                            ;   in Loop: Header=BB14_17 Depth=1
	s_wait_xcnt 0x0
	s_or_b32 exec_lo, exec_lo, s42
                                        ; implicit-def: $vgpr16_vgpr17
.LBB14_2523:                            ;   in Loop: Header=BB14_17 Depth=1
	s_and_not1_saveexec_b32 s41, s41
	s_cbranch_execz .LBB14_2525
; %bb.2524:                             ;   in Loop: Header=BB14_17 Depth=1
	s_wait_loadcnt_dscnt 0x0
	flat_load_i16 v14, v[16:17]
	s_wait_loadcnt_dscnt 0x0
	v_cvt_f32_i32_e32 v14, v14
.LBB14_2525:                            ;   in Loop: Header=BB14_17 Depth=1
	s_wait_xcnt 0x0
	s_or_b32 exec_lo, exec_lo, s41
                                        ; implicit-def: $vgpr16_vgpr17
                                        ; implicit-def: $vgpr19
.LBB14_2526:                            ;   in Loop: Header=BB14_17 Depth=1
	s_and_not1_saveexec_b32 s40, s40
	s_cbranch_execz .LBB14_2532
; %bb.2527:                             ;   in Loop: Header=BB14_17 Depth=1
	s_mov_b32 s41, exec_lo
                                        ; implicit-def: $vgpr14
	v_cmpx_lt_i16_e32 0, v19
	s_xor_b32 s41, exec_lo, s41
	s_cbranch_execz .LBB14_2529
; %bb.2528:                             ;   in Loop: Header=BB14_17 Depth=1
	s_wait_loadcnt_dscnt 0x0
	flat_load_i8 v14, v[16:17]
                                        ; implicit-def: $vgpr16_vgpr17
	s_wait_loadcnt_dscnt 0x0
	v_cvt_f32_i32_e32 v14, v14
.LBB14_2529:                            ;   in Loop: Header=BB14_17 Depth=1
	s_wait_xcnt 0x0
	s_and_not1_saveexec_b32 s41, s41
	s_cbranch_execz .LBB14_2531
; %bb.2530:                             ;   in Loop: Header=BB14_17 Depth=1
	s_wait_loadcnt_dscnt 0x0
	flat_load_u8 v14, v[16:17]
	s_wait_loadcnt_dscnt 0x0
	v_cvt_f32_ubyte0_e32 v14, v14
.LBB14_2531:                            ;   in Loop: Header=BB14_17 Depth=1
	s_wait_xcnt 0x0
	s_or_b32 exec_lo, exec_lo, s41
.LBB14_2532:                            ;   in Loop: Header=BB14_17 Depth=1
	s_delay_alu instid0(SALU_CYCLE_1)
	s_or_b32 exec_lo, exec_lo, s40
.LBB14_2533:                            ;   in Loop: Header=BB14_17 Depth=1
	s_delay_alu instid0(SALU_CYCLE_1) | instskip(NEXT) | instid1(SALU_CYCLE_1)
	s_or_b32 exec_lo, exec_lo, s29
	s_or_b32 s28, s28, exec_lo
	s_or_b32 exec_lo, exec_lo, s24
	s_mov_b32 s29, 0
	s_and_saveexec_b32 s24, s28
	s_cbranch_execnz .LBB14_790
	s_branch .LBB14_791
.LBB14_2534:                            ;   in Loop: Header=BB14_17 Depth=1
	s_mov_b32 s18, -1
	s_mov_b32 s20, exec_lo
	v_cmpx_eq_u16_e32 0x80, v16
; %bb.2535:                             ;   in Loop: Header=BB14_17 Depth=1
	s_xor_b32 s18, exec_lo, -1
; %bb.2536:                             ;   in Loop: Header=BB14_17 Depth=1
	s_or_b32 exec_lo, exec_lo, s20
	s_delay_alu instid0(SALU_CYCLE_1)
	s_and_b32 s18, s18, exec_lo
	s_or_saveexec_b32 s19, s19
	v_mov_b32_e32 v14, 0x7f800001
	s_xor_b32 exec_lo, exec_lo, s19
	s_cbranch_execz .LBB14_1932
.LBB14_2537:                            ;   in Loop: Header=BB14_17 Depth=1
	v_cmp_ne_u16_e32 vcc_lo, 0, v16
	v_mov_b32_e32 v14, 0
	s_and_not1_b32 s18, s18, exec_lo
	s_and_b32 s20, vcc_lo, exec_lo
	s_delay_alu instid0(SALU_CYCLE_1)
	s_or_b32 s18, s18, s20
	s_or_b32 exec_lo, exec_lo, s19
	s_and_saveexec_b32 s19, s18
	s_cbranch_execnz .LBB14_1933
	s_branch .LBB14_1934
.LBB14_2538:                            ;   in Loop: Header=BB14_17 Depth=1
	s_mov_b32 s20, -1
	s_mov_b32 s22, exec_lo
	v_cmpx_eq_u16_e32 0x80, v16
; %bb.2539:                             ;   in Loop: Header=BB14_17 Depth=1
	s_xor_b32 s20, exec_lo, -1
; %bb.2540:                             ;   in Loop: Header=BB14_17 Depth=1
	s_or_b32 exec_lo, exec_lo, s22
	s_delay_alu instid0(SALU_CYCLE_1)
	s_and_b32 s20, s20, exec_lo
	s_or_saveexec_b32 s21, s21
	v_mov_b32_e32 v14, 0x7f800001
	s_xor_b32 exec_lo, exec_lo, s21
	s_cbranch_execz .LBB14_2021
.LBB14_2541:                            ;   in Loop: Header=BB14_17 Depth=1
	v_cmp_ne_u16_e32 vcc_lo, 0, v16
	v_mov_b32_e32 v14, 0
	s_and_not1_b32 s20, s20, exec_lo
	s_and_b32 s22, vcc_lo, exec_lo
	s_delay_alu instid0(SALU_CYCLE_1)
	s_or_b32 s20, s20, s22
	s_or_b32 exec_lo, exec_lo, s21
	s_and_saveexec_b32 s21, s20
	s_cbranch_execnz .LBB14_2022
	s_branch .LBB14_2023
.LBB14_2542:                            ;   in Loop: Header=BB14_17 Depth=1
	s_mov_b32 s22, -1
	s_mov_b32 s24, exec_lo
	v_cmpx_eq_u16_e32 0x80, v16
; %bb.2543:                             ;   in Loop: Header=BB14_17 Depth=1
	s_xor_b32 s22, exec_lo, -1
; %bb.2544:                             ;   in Loop: Header=BB14_17 Depth=1
	s_or_b32 exec_lo, exec_lo, s24
	s_delay_alu instid0(SALU_CYCLE_1)
	s_and_b32 s22, s22, exec_lo
	s_or_saveexec_b32 s23, s23
	v_mov_b32_e32 v14, 0x7f800001
	s_xor_b32 exec_lo, exec_lo, s23
	s_cbranch_execz .LBB14_390
.LBB14_2545:                            ;   in Loop: Header=BB14_17 Depth=1
	v_cmp_ne_u16_e32 vcc_lo, 0, v16
	v_mov_b32_e32 v14, 0
	s_and_not1_b32 s22, s22, exec_lo
	s_and_b32 s24, vcc_lo, exec_lo
	s_delay_alu instid0(SALU_CYCLE_1)
	s_or_b32 s22, s22, s24
	s_or_b32 exec_lo, exec_lo, s23
	s_and_saveexec_b32 s23, s22
	s_cbranch_execnz .LBB14_391
	s_branch .LBB14_392
.LBB14_2546:                            ;   in Loop: Header=BB14_17 Depth=1
	s_mov_b32 s24, -1
	s_mov_b32 s26, exec_lo
	v_cmpx_eq_u16_e32 0x80, v16
; %bb.2547:                             ;   in Loop: Header=BB14_17 Depth=1
	s_xor_b32 s24, exec_lo, -1
; %bb.2548:                             ;   in Loop: Header=BB14_17 Depth=1
	s_or_b32 exec_lo, exec_lo, s26
	s_delay_alu instid0(SALU_CYCLE_1)
	s_and_b32 s24, s24, exec_lo
	s_or_saveexec_b32 s25, s25
	v_mov_b32_e32 v14, 0x7f800001
	s_xor_b32 exec_lo, exec_lo, s25
	s_cbranch_execz .LBB14_490
.LBB14_2549:                            ;   in Loop: Header=BB14_17 Depth=1
	v_cmp_ne_u16_e32 vcc_lo, 0, v16
	v_mov_b32_e32 v14, 0
	s_and_not1_b32 s24, s24, exec_lo
	s_and_b32 s26, vcc_lo, exec_lo
	s_delay_alu instid0(SALU_CYCLE_1)
	s_or_b32 s24, s24, s26
	s_or_b32 exec_lo, exec_lo, s25
	s_and_saveexec_b32 s25, s24
	s_cbranch_execnz .LBB14_491
	s_branch .LBB14_492
.LBB14_2550:                            ;   in Loop: Header=BB14_17 Depth=1
	s_mov_b32 s41, exec_lo
                                        ; implicit-def: $vgpr14
	v_cmpx_lt_i16_e32 25, v19
	s_xor_b32 s41, exec_lo, s41
	s_cbranch_execz .LBB14_2582
; %bb.2551:                             ;   in Loop: Header=BB14_17 Depth=1
	s_mov_b32 s43, exec_lo
                                        ; implicit-def: $vgpr14
	v_cmpx_lt_i16_e32 28, v19
	s_xor_b32 s43, exec_lo, s43
	s_cbranch_execz .LBB14_2567
; %bb.2552:                             ;   in Loop: Header=BB14_17 Depth=1
	s_mov_b32 s44, 0
	s_mov_b32 s42, exec_lo
                                        ; implicit-def: $vgpr14
	v_cmpx_lt_i16_e32 43, v19
	s_xor_b32 s42, exec_lo, s42
	s_cbranch_execz .LBB14_2562
; %bb.2553:                             ;   in Loop: Header=BB14_17 Depth=1
	s_mov_b32 s45, exec_lo
                                        ; implicit-def: $vgpr14
	v_cmpx_lt_i16_e32 45, v19
	s_xor_b32 s45, exec_lo, s45
	s_cbranch_execz .LBB14_2557
; %bb.2554:                             ;   in Loop: Header=BB14_17 Depth=1
	s_mov_b32 s46, exec_lo
                                        ; implicit-def: $vgpr14
	v_cmpx_eq_u16_e32 46, v19
	s_cbranch_execz .LBB14_2556
; %bb.2555:                             ;   in Loop: Header=BB14_17 Depth=1
	flat_load_b32 v14, v[16:17]
	s_mov_b32 s44, exec_lo
	s_wait_loadcnt_dscnt 0x0
	v_lshlrev_b32_e32 v14, 16, v14
.LBB14_2556:                            ;   in Loop: Header=BB14_17 Depth=1
	s_wait_xcnt 0x0
	s_or_b32 exec_lo, exec_lo, s46
	s_delay_alu instid0(SALU_CYCLE_1)
	s_and_b32 s44, s44, exec_lo
                                        ; implicit-def: $vgpr19
                                        ; implicit-def: $vgpr16_vgpr17
.LBB14_2557:                            ;   in Loop: Header=BB14_17 Depth=1
	s_and_not1_saveexec_b32 s45, s45
	s_cbranch_execz .LBB14_2561
; %bb.2558:                             ;   in Loop: Header=BB14_17 Depth=1
	s_mov_b32 s47, s44
	s_mov_b32 s46, exec_lo
                                        ; implicit-def: $vgpr14
	v_cmpx_eq_u16_e32 44, v19
	s_cbranch_execz .LBB14_2560
; %bb.2559:                             ;   in Loop: Header=BB14_17 Depth=1
	flat_load_u8 v14, v[16:17]
	s_or_b32 s47, s44, exec_lo
	s_wait_loadcnt_dscnt 0x0
	v_lshlrev_b32_e32 v16, 23, v14
	v_cmp_ne_u32_e32 vcc_lo, 0xff, v14
	s_delay_alu instid0(VALU_DEP_2) | instskip(SKIP_1) | instid1(VALU_DEP_2)
	v_cndmask_b32_e32 v16, 0x7f800001, v16, vcc_lo
	v_cmp_ne_u32_e32 vcc_lo, 0, v14
	v_cndmask_b32_e32 v14, 0x400000, v16, vcc_lo
.LBB14_2560:                            ;   in Loop: Header=BB14_17 Depth=1
	s_or_b32 exec_lo, exec_lo, s46
	s_delay_alu instid0(SALU_CYCLE_1) | instskip(SKIP_1) | instid1(SALU_CYCLE_1)
	s_and_not1_b32 s44, s44, exec_lo
	s_and_b32 s46, s47, exec_lo
	s_or_b32 s44, s44, s46
.LBB14_2561:                            ;   in Loop: Header=BB14_17 Depth=1
	s_or_b32 exec_lo, exec_lo, s45
	s_delay_alu instid0(SALU_CYCLE_1)
	s_and_b32 s44, s44, exec_lo
                                        ; implicit-def: $vgpr19
                                        ; implicit-def: $vgpr16_vgpr17
.LBB14_2562:                            ;   in Loop: Header=BB14_17 Depth=1
	s_and_not1_saveexec_b32 s42, s42
	s_cbranch_execz .LBB14_2566
; %bb.2563:                             ;   in Loop: Header=BB14_17 Depth=1
	s_mov_b32 s46, s44
	s_mov_b32 s45, exec_lo
                                        ; implicit-def: $vgpr14
	v_cmpx_eq_u16_e32 29, v19
	s_cbranch_execz .LBB14_2565
; %bb.2564:                             ;   in Loop: Header=BB14_17 Depth=1
	flat_load_b64 v[16:17], v[16:17]
	s_or_b32 s46, s44, exec_lo
	s_wait_loadcnt_dscnt 0x0
	v_clz_i32_u32_e32 v14, v17
	s_delay_alu instid0(VALU_DEP_1) | instskip(SKIP_1) | instid1(VALU_DEP_1)
	v_min_u32_e32 v14, 32, v14
	s_wait_xcnt 0x0
	v_lshlrev_b64_e32 v[16:17], v14, v[16:17]
	v_sub_nc_u32_e32 v14, 32, v14
	s_delay_alu instid0(VALU_DEP_2) | instskip(NEXT) | instid1(VALU_DEP_1)
	v_min_u32_e32 v16, 1, v16
	v_or_b32_e32 v16, v17, v16
	s_delay_alu instid0(VALU_DEP_1) | instskip(NEXT) | instid1(VALU_DEP_1)
	v_cvt_f32_u32_e32 v16, v16
	v_ldexp_f32 v14, v16, v14
.LBB14_2565:                            ;   in Loop: Header=BB14_17 Depth=1
	s_or_b32 exec_lo, exec_lo, s45
	s_delay_alu instid0(SALU_CYCLE_1) | instskip(SKIP_1) | instid1(SALU_CYCLE_1)
	s_and_not1_b32 s44, s44, exec_lo
	s_and_b32 s45, s46, exec_lo
	s_or_b32 s44, s44, s45
.LBB14_2566:                            ;   in Loop: Header=BB14_17 Depth=1
	s_or_b32 exec_lo, exec_lo, s42
	s_delay_alu instid0(SALU_CYCLE_1)
	s_and_b32 s42, s44, exec_lo
                                        ; implicit-def: $vgpr19
                                        ; implicit-def: $vgpr16_vgpr17
.LBB14_2567:                            ;   in Loop: Header=BB14_17 Depth=1
	s_and_not1_saveexec_b32 s43, s43
	s_cbranch_execz .LBB14_2581
; %bb.2568:                             ;   in Loop: Header=BB14_17 Depth=1
	s_mov_b32 s44, exec_lo
                                        ; implicit-def: $vgpr14
	v_cmpx_lt_i16_e32 26, v19
	s_xor_b32 s44, exec_lo, s44
	s_cbranch_execz .LBB14_2574
; %bb.2569:                             ;   in Loop: Header=BB14_17 Depth=1
	s_mov_b32 s45, exec_lo
                                        ; implicit-def: $vgpr14
	v_cmpx_lt_i16_e32 27, v19
	s_xor_b32 s45, exec_lo, s45
	s_cbranch_execz .LBB14_2571
; %bb.2570:                             ;   in Loop: Header=BB14_17 Depth=1
	flat_load_b32 v14, v[16:17]
                                        ; implicit-def: $vgpr16_vgpr17
	s_wait_loadcnt_dscnt 0x0
	v_cvt_f32_u32_e32 v14, v14
.LBB14_2571:                            ;   in Loop: Header=BB14_17 Depth=1
	s_wait_xcnt 0x0
	s_and_not1_saveexec_b32 s45, s45
	s_cbranch_execz .LBB14_2573
; %bb.2572:                             ;   in Loop: Header=BB14_17 Depth=1
	flat_load_u16 v14, v[16:17]
	s_wait_loadcnt_dscnt 0x0
	v_cvt_f32_u32_e32 v14, v14
.LBB14_2573:                            ;   in Loop: Header=BB14_17 Depth=1
	s_wait_xcnt 0x0
	s_or_b32 exec_lo, exec_lo, s45
                                        ; implicit-def: $vgpr16_vgpr17
.LBB14_2574:                            ;   in Loop: Header=BB14_17 Depth=1
	s_and_not1_saveexec_b32 s44, s44
	s_cbranch_execz .LBB14_2580
; %bb.2575:                             ;   in Loop: Header=BB14_17 Depth=1
	flat_load_u8 v16, v[16:17]
	s_mov_b32 s45, 0
	s_mov_b32 s46, exec_lo
	s_wait_loadcnt_dscnt 0x0
	v_cmpx_lt_i16_e32 0x7f, v16
	s_xor_b32 s46, exec_lo, s46
	s_cbranch_execnz .LBB14_3118
; %bb.2576:                             ;   in Loop: Header=BB14_17 Depth=1
	s_or_saveexec_b32 s46, s46
	v_mov_b32_e32 v14, 0x7f800001
	s_xor_b32 exec_lo, exec_lo, s46
	s_cbranch_execnz .LBB14_3121
.LBB14_2577:                            ;   in Loop: Header=BB14_17 Depth=1
	s_or_b32 exec_lo, exec_lo, s46
	s_and_saveexec_b32 s46, s45
	s_cbranch_execz .LBB14_2579
.LBB14_2578:                            ;   in Loop: Header=BB14_17 Depth=1
	v_and_b32_e32 v14, 0xffff, v16
	s_delay_alu instid0(VALU_DEP_1) | instskip(SKIP_1) | instid1(VALU_DEP_2)
	v_and_b32_e32 v17, 7, v14
	v_bfe_u32 v21, v14, 3, 4
	v_clz_i32_u32_e32 v19, v17
	s_delay_alu instid0(VALU_DEP_2) | instskip(NEXT) | instid1(VALU_DEP_2)
	v_cmp_eq_u32_e32 vcc_lo, 0, v21
	v_min_u32_e32 v19, 32, v19
	s_delay_alu instid0(VALU_DEP_1) | instskip(NEXT) | instid1(VALU_DEP_1)
	v_subrev_nc_u32_e32 v20, 28, v19
	v_dual_lshlrev_b32 v14, v20, v14 :: v_dual_sub_nc_u32 v19, 29, v19
	s_delay_alu instid0(VALU_DEP_1) | instskip(NEXT) | instid1(VALU_DEP_2)
	v_dual_lshlrev_b32 v16, 24, v16 :: v_dual_bitop2_b32 v14, 7, v14 bitop3:0x40
	v_cndmask_b32_e32 v19, v21, v19, vcc_lo
	s_delay_alu instid0(VALU_DEP_2) | instskip(NEXT) | instid1(VALU_DEP_3)
	v_cndmask_b32_e32 v14, v17, v14, vcc_lo
	v_and_b32_e32 v16, 0x80000000, v16
	s_delay_alu instid0(VALU_DEP_3) | instskip(NEXT) | instid1(VALU_DEP_3)
	v_lshl_add_u32 v17, v19, 23, 0x3b800000
	v_lshlrev_b32_e32 v14, 20, v14
	s_delay_alu instid0(VALU_DEP_1)
	v_or3_b32 v14, v16, v17, v14
.LBB14_2579:                            ;   in Loop: Header=BB14_17 Depth=1
	s_or_b32 exec_lo, exec_lo, s46
.LBB14_2580:                            ;   in Loop: Header=BB14_17 Depth=1
	s_delay_alu instid0(SALU_CYCLE_1) | instskip(NEXT) | instid1(SALU_CYCLE_1)
	s_or_b32 exec_lo, exec_lo, s44
	s_or_b32 s42, s42, exec_lo
.LBB14_2581:                            ;   in Loop: Header=BB14_17 Depth=1
	s_or_b32 exec_lo, exec_lo, s43
	s_delay_alu instid0(SALU_CYCLE_1)
	s_and_b32 s42, s42, exec_lo
                                        ; implicit-def: $vgpr19
                                        ; implicit-def: $vgpr16_vgpr17
.LBB14_2582:                            ;   in Loop: Header=BB14_17 Depth=1
	s_and_not1_saveexec_b32 s41, s41
	s_cbranch_execz .LBB14_2608
; %bb.2583:                             ;   in Loop: Header=BB14_17 Depth=1
	s_mov_b32 s44, s42
	s_mov_b32 s43, exec_lo
                                        ; implicit-def: $vgpr14
	v_cmpx_lt_i16_e32 22, v19
	s_xor_b32 s43, exec_lo, s43
	s_cbranch_execz .LBB14_2597
; %bb.2584:                             ;   in Loop: Header=BB14_17 Depth=1
	s_mov_b32 s44, exec_lo
                                        ; implicit-def: $vgpr14
	v_cmpx_lt_i16_e32 23, v19
	s_xor_b32 s44, exec_lo, s44
	s_cbranch_execz .LBB14_2594
; %bb.2585:                             ;   in Loop: Header=BB14_17 Depth=1
	;; [unrolled: 6-line block ×3, first 2 shown]
	flat_load_u8 v16, v[16:17]
	s_mov_b32 s46, 0
	s_mov_b32 s47, exec_lo
	s_wait_loadcnt_dscnt 0x0
	v_cmpx_lt_i16_e32 0x7f, v16
	s_xor_b32 s47, exec_lo, s47
	s_cbranch_execnz .LBB14_3230
; %bb.2587:                             ;   in Loop: Header=BB14_17 Depth=1
	s_or_saveexec_b32 s47, s47
	v_mov_b32_e32 v14, 0x7f800001
	s_xor_b32 exec_lo, exec_lo, s47
	s_cbranch_execnz .LBB14_3233
.LBB14_2588:                            ;   in Loop: Header=BB14_17 Depth=1
	s_or_b32 exec_lo, exec_lo, s47
	s_and_saveexec_b32 s47, s46
	s_cbranch_execz .LBB14_2590
.LBB14_2589:                            ;   in Loop: Header=BB14_17 Depth=1
	v_and_b32_e32 v14, 0xffff, v16
	s_delay_alu instid0(VALU_DEP_1) | instskip(SKIP_1) | instid1(VALU_DEP_2)
	v_and_b32_e32 v17, 3, v14
	v_bfe_u32 v21, v14, 2, 5
	v_clz_i32_u32_e32 v19, v17
	s_delay_alu instid0(VALU_DEP_2) | instskip(NEXT) | instid1(VALU_DEP_2)
	v_cmp_eq_u32_e32 vcc_lo, 0, v21
	v_min_u32_e32 v19, 32, v19
	s_delay_alu instid0(VALU_DEP_1) | instskip(NEXT) | instid1(VALU_DEP_1)
	v_subrev_nc_u32_e32 v20, 29, v19
	v_dual_lshlrev_b32 v14, v20, v14 :: v_dual_sub_nc_u32 v19, 30, v19
	s_delay_alu instid0(VALU_DEP_1) | instskip(NEXT) | instid1(VALU_DEP_2)
	v_dual_lshlrev_b32 v16, 24, v16 :: v_dual_bitop2_b32 v14, 3, v14 bitop3:0x40
	v_cndmask_b32_e32 v19, v21, v19, vcc_lo
	s_delay_alu instid0(VALU_DEP_2) | instskip(NEXT) | instid1(VALU_DEP_3)
	v_cndmask_b32_e32 v14, v17, v14, vcc_lo
	v_and_b32_e32 v16, 0x80000000, v16
	s_delay_alu instid0(VALU_DEP_3) | instskip(NEXT) | instid1(VALU_DEP_3)
	v_lshl_add_u32 v17, v19, 23, 0x37800000
	v_lshlrev_b32_e32 v14, 21, v14
	s_delay_alu instid0(VALU_DEP_1)
	v_or3_b32 v14, v16, v17, v14
.LBB14_2590:                            ;   in Loop: Header=BB14_17 Depth=1
	s_or_b32 exec_lo, exec_lo, s47
                                        ; implicit-def: $vgpr16_vgpr17
.LBB14_2591:                            ;   in Loop: Header=BB14_17 Depth=1
	s_and_not1_saveexec_b32 s45, s45
	s_cbranch_execz .LBB14_2593
; %bb.2592:                             ;   in Loop: Header=BB14_17 Depth=1
	flat_load_u8 v14, v[16:17]
	s_wait_loadcnt_dscnt 0x0
	v_lshlrev_b32_e32 v14, 24, v14
	s_wait_xcnt 0x0
	s_delay_alu instid0(VALU_DEP_1) | instskip(NEXT) | instid1(VALU_DEP_1)
	v_and_b32_e32 v16, 0x7f000000, v14
	v_clz_i32_u32_e32 v17, v16
	v_add_nc_u32_e32 v20, 0x1000000, v16
	v_cmp_ne_u32_e32 vcc_lo, 0, v16
	s_delay_alu instid0(VALU_DEP_3) | instskip(NEXT) | instid1(VALU_DEP_1)
	v_min_u32_e32 v17, 32, v17
	v_sub_nc_u32_e64 v17, v17, 4 clamp
	s_delay_alu instid0(VALU_DEP_1) | instskip(NEXT) | instid1(VALU_DEP_1)
	v_dual_lshlrev_b32 v19, v17, v16 :: v_dual_lshlrev_b32 v17, 23, v17
	v_lshrrev_b32_e32 v19, 4, v19
	s_delay_alu instid0(VALU_DEP_1) | instskip(NEXT) | instid1(VALU_DEP_1)
	v_dual_sub_nc_u32 v17, v19, v17 :: v_dual_ashrrev_i32 v19, 8, v20
	v_add_nc_u32_e32 v17, 0x3c000000, v17
	s_delay_alu instid0(VALU_DEP_1) | instskip(NEXT) | instid1(VALU_DEP_1)
	v_and_or_b32 v17, 0x7f800000, v19, v17
	v_cndmask_b32_e32 v16, 0, v17, vcc_lo
	s_delay_alu instid0(VALU_DEP_1)
	v_and_or_b32 v14, 0x80000000, v14, v16
.LBB14_2593:                            ;   in Loop: Header=BB14_17 Depth=1
	s_or_b32 exec_lo, exec_lo, s45
                                        ; implicit-def: $vgpr16_vgpr17
.LBB14_2594:                            ;   in Loop: Header=BB14_17 Depth=1
	s_and_not1_saveexec_b32 s44, s44
	s_cbranch_execz .LBB14_2596
; %bb.2595:                             ;   in Loop: Header=BB14_17 Depth=1
	flat_load_u8 v14, v[16:17]
	s_wait_loadcnt_dscnt 0x0
	v_lshlrev_b32_e32 v16, 25, v14
	v_lshlrev_b16 v14, 8, v14
	s_delay_alu instid0(VALU_DEP_1) | instskip(SKIP_1) | instid1(VALU_DEP_2)
	v_and_or_b32 v19, 0x7f00, v14, 0.5
	v_bfe_i32 v14, v14, 0, 16
	v_dual_add_f32 v19, -0.5, v19 :: v_dual_lshrrev_b32 v17, 4, v16
	v_cmp_gt_u32_e32 vcc_lo, 0x8000000, v16
	s_delay_alu instid0(VALU_DEP_2) | instskip(NEXT) | instid1(VALU_DEP_1)
	v_or_b32_e32 v17, 0x70000000, v17
	v_mul_f32_e32 v17, 0x7800000, v17
	s_delay_alu instid0(VALU_DEP_1) | instskip(NEXT) | instid1(VALU_DEP_1)
	v_cndmask_b32_e32 v16, v17, v19, vcc_lo
	v_and_or_b32 v14, 0x80000000, v14, v16
.LBB14_2596:                            ;   in Loop: Header=BB14_17 Depth=1
	s_or_b32 exec_lo, exec_lo, s44
	s_delay_alu instid0(SALU_CYCLE_1)
	s_or_b32 s44, s42, exec_lo
                                        ; implicit-def: $vgpr19
                                        ; implicit-def: $vgpr16_vgpr17
.LBB14_2597:                            ;   in Loop: Header=BB14_17 Depth=1
	s_and_not1_saveexec_b32 s43, s43
	s_cbranch_execz .LBB14_2607
; %bb.2598:                             ;   in Loop: Header=BB14_17 Depth=1
	s_mov_b32 s45, s44
	s_mov_b32 s46, exec_lo
                                        ; implicit-def: $vgpr14
	v_cmpx_lt_i16_e32 14, v19
	s_xor_b32 s46, exec_lo, s46
	s_cbranch_execz .LBB14_2602
; %bb.2599:                             ;   in Loop: Header=BB14_17 Depth=1
	s_mov_b32 s45, s44
	s_mov_b32 s47, exec_lo
                                        ; implicit-def: $vgpr14
	v_cmpx_eq_u16_e32 15, v19
	s_cbranch_execz .LBB14_2601
; %bb.2600:                             ;   in Loop: Header=BB14_17 Depth=1
	flat_load_u16 v14, v[16:17]
	s_or_b32 s45, s44, exec_lo
	s_wait_loadcnt_dscnt 0x0
	v_lshlrev_b32_e32 v14, 16, v14
.LBB14_2601:                            ;   in Loop: Header=BB14_17 Depth=1
	s_wait_xcnt 0x0
	s_or_b32 exec_lo, exec_lo, s47
	s_delay_alu instid0(SALU_CYCLE_1) | instskip(SKIP_1) | instid1(SALU_CYCLE_1)
	s_and_not1_b32 s47, s44, exec_lo
	s_and_b32 s45, s45, exec_lo
                                        ; implicit-def: $vgpr19
                                        ; implicit-def: $vgpr16_vgpr17
	s_or_b32 s45, s47, s45
.LBB14_2602:                            ;   in Loop: Header=BB14_17 Depth=1
	s_and_not1_saveexec_b32 s46, s46
	s_cbranch_execz .LBB14_2606
; %bb.2603:                             ;   in Loop: Header=BB14_17 Depth=1
	s_mov_b32 s47, s45
	s_mov_b32 s56, exec_lo
                                        ; implicit-def: $vgpr14
	v_cmpx_eq_u16_e32 11, v19
	s_cbranch_execz .LBB14_2605
; %bb.2604:                             ;   in Loop: Header=BB14_17 Depth=1
	flat_load_u8 v14, v[16:17]
	s_or_b32 s47, s45, exec_lo
	s_wait_loadcnt_dscnt 0x0
	v_cmp_ne_u16_e32 vcc_lo, 0, v14
	v_cndmask_b32_e64 v14, 0, 1.0, vcc_lo
.LBB14_2605:                            ;   in Loop: Header=BB14_17 Depth=1
	s_wait_xcnt 0x0
	s_or_b32 exec_lo, exec_lo, s56
	s_delay_alu instid0(SALU_CYCLE_1) | instskip(SKIP_1) | instid1(SALU_CYCLE_1)
	s_and_not1_b32 s45, s45, exec_lo
	s_and_b32 s47, s47, exec_lo
	s_or_b32 s45, s45, s47
.LBB14_2606:                            ;   in Loop: Header=BB14_17 Depth=1
	s_or_b32 exec_lo, exec_lo, s46
	s_delay_alu instid0(SALU_CYCLE_1) | instskip(SKIP_1) | instid1(SALU_CYCLE_1)
	s_and_not1_b32 s44, s44, exec_lo
	s_and_b32 s45, s45, exec_lo
	s_or_b32 s44, s44, s45
.LBB14_2607:                            ;   in Loop: Header=BB14_17 Depth=1
	s_or_b32 exec_lo, exec_lo, s43
	s_delay_alu instid0(SALU_CYCLE_1) | instskip(SKIP_1) | instid1(SALU_CYCLE_1)
	s_and_not1_b32 s42, s42, exec_lo
	s_and_b32 s43, s44, exec_lo
	s_or_b32 s42, s42, s43
.LBB14_2608:                            ;   in Loop: Header=BB14_17 Depth=1
	s_or_b32 exec_lo, exec_lo, s41
	s_delay_alu instid0(SALU_CYCLE_1)
	s_and_b32 s41, s42, exec_lo
                                        ; implicit-def: $vgpr19
                                        ; implicit-def: $vgpr16_vgpr17
	s_and_not1_saveexec_b32 s27, s27
	s_cbranch_execz .LBB14_900
.LBB14_2609:                            ;   in Loop: Header=BB14_17 Depth=1
	s_mov_b32 s42, exec_lo
                                        ; implicit-def: $vgpr14
	v_cmpx_lt_i16_e32 4, v19
	s_xor_b32 s42, exec_lo, s42
	s_cbranch_execz .LBB14_2631
; %bb.2610:                             ;   in Loop: Header=BB14_17 Depth=1
	s_mov_b32 s43, exec_lo
                                        ; implicit-def: $vgpr14
	v_cmpx_lt_i16_e32 7, v19
	s_xor_b32 s43, exec_lo, s43
	s_cbranch_execz .LBB14_2620
; %bb.2611:                             ;   in Loop: Header=BB14_17 Depth=1
	;; [unrolled: 6-line block ×4, first 2 shown]
	flat_load_b64 v[16:17], v[16:17]
	s_wait_loadcnt_dscnt 0x0
	v_cvt_f32_f64_e32 v14, v[16:17]
                                        ; implicit-def: $vgpr16_vgpr17
.LBB14_2614:                            ;   in Loop: Header=BB14_17 Depth=1
	s_wait_xcnt 0x0
	s_and_not1_saveexec_b32 s45, s45
	s_cbranch_execz .LBB14_2616
; %bb.2615:                             ;   in Loop: Header=BB14_17 Depth=1
	flat_load_b32 v14, v[16:17]
.LBB14_2616:                            ;   in Loop: Header=BB14_17 Depth=1
	s_wait_xcnt 0x0
	s_or_b32 exec_lo, exec_lo, s45
                                        ; implicit-def: $vgpr16_vgpr17
.LBB14_2617:                            ;   in Loop: Header=BB14_17 Depth=1
	s_and_not1_saveexec_b32 s44, s44
	s_cbranch_execz .LBB14_2619
; %bb.2618:                             ;   in Loop: Header=BB14_17 Depth=1
	s_wait_loadcnt_dscnt 0x0
	flat_load_b32 v14, v[16:17]
	s_wait_loadcnt_dscnt 0x0
	v_cvt_f32_f16_e32 v14, v14
.LBB14_2619:                            ;   in Loop: Header=BB14_17 Depth=1
	s_wait_xcnt 0x0
	s_or_b32 exec_lo, exec_lo, s44
                                        ; implicit-def: $vgpr16_vgpr17
                                        ; implicit-def: $vgpr19
.LBB14_2620:                            ;   in Loop: Header=BB14_17 Depth=1
	s_and_not1_saveexec_b32 s43, s43
	s_cbranch_execz .LBB14_2630
; %bb.2621:                             ;   in Loop: Header=BB14_17 Depth=1
	s_mov_b32 s44, exec_lo
                                        ; implicit-def: $vgpr14
	v_cmpx_lt_i16_e32 5, v19
	s_xor_b32 s44, exec_lo, s44
	s_cbranch_execz .LBB14_2627
; %bb.2622:                             ;   in Loop: Header=BB14_17 Depth=1
	s_mov_b32 s45, exec_lo
                                        ; implicit-def: $vgpr14
	v_cmpx_lt_i16_e32 6, v19
	s_xor_b32 s45, exec_lo, s45
	s_cbranch_execz .LBB14_2624
; %bb.2623:                             ;   in Loop: Header=BB14_17 Depth=1
	flat_load_b64 v[16:17], v[16:17]
	s_wait_loadcnt_dscnt 0x0
	v_cvt_f32_f64_e32 v14, v[16:17]
                                        ; implicit-def: $vgpr16_vgpr17
.LBB14_2624:                            ;   in Loop: Header=BB14_17 Depth=1
	s_wait_xcnt 0x0
	s_and_not1_saveexec_b32 s45, s45
	s_cbranch_execz .LBB14_2626
; %bb.2625:                             ;   in Loop: Header=BB14_17 Depth=1
	s_wait_loadcnt_dscnt 0x0
	flat_load_b32 v14, v[16:17]
.LBB14_2626:                            ;   in Loop: Header=BB14_17 Depth=1
	s_wait_xcnt 0x0
	s_or_b32 exec_lo, exec_lo, s45
                                        ; implicit-def: $vgpr16_vgpr17
.LBB14_2627:                            ;   in Loop: Header=BB14_17 Depth=1
	s_and_not1_saveexec_b32 s44, s44
	s_cbranch_execz .LBB14_2629
; %bb.2628:                             ;   in Loop: Header=BB14_17 Depth=1
	s_wait_loadcnt_dscnt 0x0
	flat_load_u16 v14, v[16:17]
	s_wait_loadcnt_dscnt 0x0
	v_cvt_f32_f16_e32 v14, v14
.LBB14_2629:                            ;   in Loop: Header=BB14_17 Depth=1
	s_wait_xcnt 0x0
	s_or_b32 exec_lo, exec_lo, s44
.LBB14_2630:                            ;   in Loop: Header=BB14_17 Depth=1
	s_delay_alu instid0(SALU_CYCLE_1)
	s_or_b32 exec_lo, exec_lo, s43
                                        ; implicit-def: $vgpr19
                                        ; implicit-def: $vgpr16_vgpr17
.LBB14_2631:                            ;   in Loop: Header=BB14_17 Depth=1
	s_and_not1_saveexec_b32 s42, s42
	s_cbranch_execz .LBB14_2649
; %bb.2632:                             ;   in Loop: Header=BB14_17 Depth=1
	s_mov_b32 s43, exec_lo
                                        ; implicit-def: $vgpr14
	v_cmpx_lt_i16_e32 1, v19
	s_xor_b32 s43, exec_lo, s43
	s_cbranch_execz .LBB14_2642
; %bb.2633:                             ;   in Loop: Header=BB14_17 Depth=1
	s_mov_b32 s44, exec_lo
                                        ; implicit-def: $vgpr14
	v_cmpx_lt_i16_e32 2, v19
	s_xor_b32 s44, exec_lo, s44
	;; [unrolled: 6-line block ×3, first 2 shown]
	s_cbranch_execz .LBB14_2636
; %bb.2635:                             ;   in Loop: Header=BB14_17 Depth=1
	flat_load_b64 v[16:17], v[16:17]
	s_wait_loadcnt_dscnt 0x0
	v_xor_b32_e32 v14, v16, v17
	v_cls_i32_e32 v19, v17
	s_delay_alu instid0(VALU_DEP_2) | instskip(NEXT) | instid1(VALU_DEP_1)
	v_ashrrev_i32_e32 v14, 31, v14
	v_add_nc_u32_e32 v14, 32, v14
	s_delay_alu instid0(VALU_DEP_1) | instskip(SKIP_1) | instid1(VALU_DEP_1)
	v_add_min_u32_e64 v14, v19, -1, v14
	s_wait_xcnt 0x0
	v_lshlrev_b64_e32 v[16:17], v14, v[16:17]
	v_sub_nc_u32_e32 v14, 32, v14
	s_delay_alu instid0(VALU_DEP_2) | instskip(NEXT) | instid1(VALU_DEP_1)
	v_min_u32_e32 v16, 1, v16
	v_or_b32_e32 v16, v17, v16
	s_delay_alu instid0(VALU_DEP_1) | instskip(NEXT) | instid1(VALU_DEP_1)
	v_cvt_f32_i32_e32 v16, v16
	v_ldexp_f32 v14, v16, v14
                                        ; implicit-def: $vgpr16_vgpr17
.LBB14_2636:                            ;   in Loop: Header=BB14_17 Depth=1
	s_and_not1_saveexec_b32 s45, s45
	s_cbranch_execz .LBB14_2638
; %bb.2637:                             ;   in Loop: Header=BB14_17 Depth=1
	s_wait_loadcnt_dscnt 0x0
	flat_load_b32 v14, v[16:17]
	s_wait_loadcnt_dscnt 0x0
	v_cvt_f32_i32_e32 v14, v14
.LBB14_2638:                            ;   in Loop: Header=BB14_17 Depth=1
	s_wait_xcnt 0x0
	s_or_b32 exec_lo, exec_lo, s45
                                        ; implicit-def: $vgpr16_vgpr17
.LBB14_2639:                            ;   in Loop: Header=BB14_17 Depth=1
	s_and_not1_saveexec_b32 s44, s44
	s_cbranch_execz .LBB14_2641
; %bb.2640:                             ;   in Loop: Header=BB14_17 Depth=1
	s_wait_loadcnt_dscnt 0x0
	flat_load_i16 v14, v[16:17]
	s_wait_loadcnt_dscnt 0x0
	v_cvt_f32_i32_e32 v14, v14
.LBB14_2641:                            ;   in Loop: Header=BB14_17 Depth=1
	s_wait_xcnt 0x0
	s_or_b32 exec_lo, exec_lo, s44
                                        ; implicit-def: $vgpr16_vgpr17
                                        ; implicit-def: $vgpr19
.LBB14_2642:                            ;   in Loop: Header=BB14_17 Depth=1
	s_and_not1_saveexec_b32 s43, s43
	s_cbranch_execz .LBB14_2648
; %bb.2643:                             ;   in Loop: Header=BB14_17 Depth=1
	s_mov_b32 s44, exec_lo
                                        ; implicit-def: $vgpr14
	v_cmpx_lt_i16_e32 0, v19
	s_xor_b32 s44, exec_lo, s44
	s_cbranch_execz .LBB14_2645
; %bb.2644:                             ;   in Loop: Header=BB14_17 Depth=1
	s_wait_loadcnt_dscnt 0x0
	flat_load_i8 v14, v[16:17]
                                        ; implicit-def: $vgpr16_vgpr17
	s_wait_loadcnt_dscnt 0x0
	v_cvt_f32_i32_e32 v14, v14
.LBB14_2645:                            ;   in Loop: Header=BB14_17 Depth=1
	s_wait_xcnt 0x0
	s_and_not1_saveexec_b32 s44, s44
	s_cbranch_execz .LBB14_2647
; %bb.2646:                             ;   in Loop: Header=BB14_17 Depth=1
	s_wait_loadcnt_dscnt 0x0
	flat_load_u8 v14, v[16:17]
	s_wait_loadcnt_dscnt 0x0
	v_cvt_f32_ubyte0_e32 v14, v14
.LBB14_2647:                            ;   in Loop: Header=BB14_17 Depth=1
	s_wait_xcnt 0x0
	s_or_b32 exec_lo, exec_lo, s44
.LBB14_2648:                            ;   in Loop: Header=BB14_17 Depth=1
	s_delay_alu instid0(SALU_CYCLE_1)
	s_or_b32 exec_lo, exec_lo, s43
.LBB14_2649:                            ;   in Loop: Header=BB14_17 Depth=1
	s_delay_alu instid0(SALU_CYCLE_1) | instskip(NEXT) | instid1(SALU_CYCLE_1)
	s_or_b32 exec_lo, exec_lo, s42
	s_or_b32 s41, s41, exec_lo
	s_or_b32 exec_lo, exec_lo, s27
	s_mov_b32 s42, 0
	s_and_saveexec_b32 s27, s41
	s_cbranch_execnz .LBB14_901
	s_branch .LBB14_902
.LBB14_2650:                            ;   in Loop: Header=BB14_17 Depth=1
	s_mov_b32 s21, -1
	s_mov_b32 s23, exec_lo
	v_cmpx_eq_u16_e32 0x80, v16
; %bb.2651:                             ;   in Loop: Header=BB14_17 Depth=1
	s_xor_b32 s21, exec_lo, -1
; %bb.2652:                             ;   in Loop: Header=BB14_17 Depth=1
	s_or_b32 exec_lo, exec_lo, s23
	s_delay_alu instid0(SALU_CYCLE_1)
	s_and_b32 s21, s21, exec_lo
	s_or_saveexec_b32 s22, s22
	v_mov_b32_e32 v14, 0x7f800001
	s_xor_b32 exec_lo, exec_lo, s22
	s_cbranch_execz .LBB14_2032
.LBB14_2653:                            ;   in Loop: Header=BB14_17 Depth=1
	v_cmp_ne_u16_e32 vcc_lo, 0, v16
	v_mov_b32_e32 v14, 0
	s_and_not1_b32 s21, s21, exec_lo
	s_and_b32 s23, vcc_lo, exec_lo
	s_delay_alu instid0(SALU_CYCLE_1)
	s_or_b32 s21, s21, s23
	s_or_b32 exec_lo, exec_lo, s22
	s_and_saveexec_b32 s22, s21
	s_cbranch_execnz .LBB14_2033
	s_branch .LBB14_2034
.LBB14_2654:                            ;   in Loop: Header=BB14_17 Depth=1
	s_mov_b32 s23, -1
	s_mov_b32 s25, exec_lo
	v_cmpx_eq_u16_e32 0x80, v16
; %bb.2655:                             ;   in Loop: Header=BB14_17 Depth=1
	s_xor_b32 s23, exec_lo, -1
; %bb.2656:                             ;   in Loop: Header=BB14_17 Depth=1
	s_or_b32 exec_lo, exec_lo, s25
	s_delay_alu instid0(SALU_CYCLE_1)
	s_and_b32 s23, s23, exec_lo
	s_or_saveexec_b32 s24, s24
	v_mov_b32_e32 v14, 0x7f800001
	s_xor_b32 exec_lo, exec_lo, s24
	s_cbranch_execz .LBB14_2125
.LBB14_2657:                            ;   in Loop: Header=BB14_17 Depth=1
	v_cmp_ne_u16_e32 vcc_lo, 0, v16
	v_mov_b32_e32 v14, 0
	s_and_not1_b32 s23, s23, exec_lo
	s_and_b32 s25, vcc_lo, exec_lo
	s_delay_alu instid0(SALU_CYCLE_1)
	s_or_b32 s23, s23, s25
	s_or_b32 exec_lo, exec_lo, s24
	s_and_saveexec_b32 s24, s23
	s_cbranch_execnz .LBB14_2126
	s_branch .LBB14_2127
.LBB14_2658:                            ;   in Loop: Header=BB14_17 Depth=1
	s_mov_b32 s25, -1
	s_mov_b32 s27, exec_lo
	v_cmpx_eq_u16_e32 0x80, v16
; %bb.2659:                             ;   in Loop: Header=BB14_17 Depth=1
	s_xor_b32 s25, exec_lo, -1
; %bb.2660:                             ;   in Loop: Header=BB14_17 Depth=1
	s_or_b32 exec_lo, exec_lo, s27
	s_delay_alu instid0(SALU_CYCLE_1)
	s_and_b32 s25, s25, exec_lo
	s_or_saveexec_b32 s26, s26
	v_mov_b32_e32 v14, 0x7f800001
	s_xor_b32 exec_lo, exec_lo, s26
	s_cbranch_execz .LBB14_501
.LBB14_2661:                            ;   in Loop: Header=BB14_17 Depth=1
	v_cmp_ne_u16_e32 vcc_lo, 0, v16
	v_mov_b32_e32 v14, 0
	s_and_not1_b32 s25, s25, exec_lo
	s_and_b32 s27, vcc_lo, exec_lo
	s_delay_alu instid0(SALU_CYCLE_1)
	s_or_b32 s25, s25, s27
	s_or_b32 exec_lo, exec_lo, s26
	s_and_saveexec_b32 s26, s25
	s_cbranch_execnz .LBB14_502
	s_branch .LBB14_503
.LBB14_2662:                            ;   in Loop: Header=BB14_17 Depth=1
	s_mov_b32 s27, -1
	s_mov_b32 s29, exec_lo
	v_cmpx_eq_u16_e32 0x80, v16
; %bb.2663:                             ;   in Loop: Header=BB14_17 Depth=1
	s_xor_b32 s27, exec_lo, -1
; %bb.2664:                             ;   in Loop: Header=BB14_17 Depth=1
	s_or_b32 exec_lo, exec_lo, s29
	s_delay_alu instid0(SALU_CYCLE_1)
	s_and_b32 s27, s27, exec_lo
	s_or_saveexec_b32 s28, s28
	v_mov_b32_e32 v14, 0x7f800001
	s_xor_b32 exec_lo, exec_lo, s28
	s_cbranch_execz .LBB14_601
.LBB14_2665:                            ;   in Loop: Header=BB14_17 Depth=1
	v_cmp_ne_u16_e32 vcc_lo, 0, v16
	v_mov_b32_e32 v14, 0
	s_and_not1_b32 s27, s27, exec_lo
	s_and_b32 s29, vcc_lo, exec_lo
	s_delay_alu instid0(SALU_CYCLE_1)
	s_or_b32 s27, s27, s29
	s_or_b32 exec_lo, exec_lo, s28
	s_and_saveexec_b32 s28, s27
	s_cbranch_execnz .LBB14_602
	s_branch .LBB14_603
.LBB14_2666:                            ;   in Loop: Header=BB14_17 Depth=1
	s_mov_b32 s44, exec_lo
                                        ; implicit-def: $vgpr14
	v_cmpx_lt_i16_e32 25, v19
	s_xor_b32 s44, exec_lo, s44
	s_cbranch_execz .LBB14_2698
; %bb.2667:                             ;   in Loop: Header=BB14_17 Depth=1
	s_mov_b32 s46, exec_lo
                                        ; implicit-def: $vgpr14
	v_cmpx_lt_i16_e32 28, v19
	s_xor_b32 s46, exec_lo, s46
	s_cbranch_execz .LBB14_2683
; %bb.2668:                             ;   in Loop: Header=BB14_17 Depth=1
	s_mov_b32 s47, 0
	s_mov_b32 s45, exec_lo
                                        ; implicit-def: $vgpr14
	v_cmpx_lt_i16_e32 43, v19
	s_xor_b32 s45, exec_lo, s45
	s_cbranch_execz .LBB14_2678
; %bb.2669:                             ;   in Loop: Header=BB14_17 Depth=1
	s_mov_b32 s56, exec_lo
                                        ; implicit-def: $vgpr14
	v_cmpx_lt_i16_e32 45, v19
	s_xor_b32 s56, exec_lo, s56
	s_cbranch_execz .LBB14_2673
; %bb.2670:                             ;   in Loop: Header=BB14_17 Depth=1
	s_mov_b32 s57, exec_lo
                                        ; implicit-def: $vgpr14
	v_cmpx_eq_u16_e32 46, v19
	s_cbranch_execz .LBB14_2672
; %bb.2671:                             ;   in Loop: Header=BB14_17 Depth=1
	flat_load_b32 v14, v[16:17]
	s_mov_b32 s47, exec_lo
	s_wait_loadcnt_dscnt 0x0
	v_lshlrev_b32_e32 v14, 16, v14
.LBB14_2672:                            ;   in Loop: Header=BB14_17 Depth=1
	s_wait_xcnt 0x0
	s_or_b32 exec_lo, exec_lo, s57
	s_delay_alu instid0(SALU_CYCLE_1)
	s_and_b32 s47, s47, exec_lo
                                        ; implicit-def: $vgpr19
                                        ; implicit-def: $vgpr16_vgpr17
.LBB14_2673:                            ;   in Loop: Header=BB14_17 Depth=1
	s_and_not1_saveexec_b32 s56, s56
	s_cbranch_execz .LBB14_2677
; %bb.2674:                             ;   in Loop: Header=BB14_17 Depth=1
	s_mov_b32 s58, s47
	s_mov_b32 s57, exec_lo
                                        ; implicit-def: $vgpr14
	v_cmpx_eq_u16_e32 44, v19
	s_cbranch_execz .LBB14_2676
; %bb.2675:                             ;   in Loop: Header=BB14_17 Depth=1
	flat_load_u8 v14, v[16:17]
	s_or_b32 s58, s47, exec_lo
	s_wait_loadcnt_dscnt 0x0
	v_lshlrev_b32_e32 v16, 23, v14
	v_cmp_ne_u32_e32 vcc_lo, 0xff, v14
	s_delay_alu instid0(VALU_DEP_2) | instskip(SKIP_1) | instid1(VALU_DEP_2)
	v_cndmask_b32_e32 v16, 0x7f800001, v16, vcc_lo
	v_cmp_ne_u32_e32 vcc_lo, 0, v14
	v_cndmask_b32_e32 v14, 0x400000, v16, vcc_lo
.LBB14_2676:                            ;   in Loop: Header=BB14_17 Depth=1
	s_or_b32 exec_lo, exec_lo, s57
	s_delay_alu instid0(SALU_CYCLE_1) | instskip(SKIP_1) | instid1(SALU_CYCLE_1)
	s_and_not1_b32 s47, s47, exec_lo
	s_and_b32 s57, s58, exec_lo
	s_or_b32 s47, s47, s57
.LBB14_2677:                            ;   in Loop: Header=BB14_17 Depth=1
	s_or_b32 exec_lo, exec_lo, s56
	s_delay_alu instid0(SALU_CYCLE_1)
	s_and_b32 s47, s47, exec_lo
                                        ; implicit-def: $vgpr19
                                        ; implicit-def: $vgpr16_vgpr17
.LBB14_2678:                            ;   in Loop: Header=BB14_17 Depth=1
	s_and_not1_saveexec_b32 s45, s45
	s_cbranch_execz .LBB14_2682
; %bb.2679:                             ;   in Loop: Header=BB14_17 Depth=1
	s_mov_b32 s57, s47
	s_mov_b32 s56, exec_lo
                                        ; implicit-def: $vgpr14
	v_cmpx_eq_u16_e32 29, v19
	s_cbranch_execz .LBB14_2681
; %bb.2680:                             ;   in Loop: Header=BB14_17 Depth=1
	flat_load_b64 v[16:17], v[16:17]
	s_or_b32 s57, s47, exec_lo
	s_wait_loadcnt_dscnt 0x0
	v_clz_i32_u32_e32 v14, v17
	s_delay_alu instid0(VALU_DEP_1) | instskip(SKIP_1) | instid1(VALU_DEP_1)
	v_min_u32_e32 v14, 32, v14
	s_wait_xcnt 0x0
	v_lshlrev_b64_e32 v[16:17], v14, v[16:17]
	v_sub_nc_u32_e32 v14, 32, v14
	s_delay_alu instid0(VALU_DEP_2) | instskip(NEXT) | instid1(VALU_DEP_1)
	v_min_u32_e32 v16, 1, v16
	v_or_b32_e32 v16, v17, v16
	s_delay_alu instid0(VALU_DEP_1) | instskip(NEXT) | instid1(VALU_DEP_1)
	v_cvt_f32_u32_e32 v16, v16
	v_ldexp_f32 v14, v16, v14
.LBB14_2681:                            ;   in Loop: Header=BB14_17 Depth=1
	s_or_b32 exec_lo, exec_lo, s56
	s_delay_alu instid0(SALU_CYCLE_1) | instskip(SKIP_1) | instid1(SALU_CYCLE_1)
	s_and_not1_b32 s47, s47, exec_lo
	s_and_b32 s56, s57, exec_lo
	s_or_b32 s47, s47, s56
.LBB14_2682:                            ;   in Loop: Header=BB14_17 Depth=1
	s_or_b32 exec_lo, exec_lo, s45
	s_delay_alu instid0(SALU_CYCLE_1)
	s_and_b32 s45, s47, exec_lo
                                        ; implicit-def: $vgpr19
                                        ; implicit-def: $vgpr16_vgpr17
.LBB14_2683:                            ;   in Loop: Header=BB14_17 Depth=1
	s_and_not1_saveexec_b32 s46, s46
	s_cbranch_execz .LBB14_2697
; %bb.2684:                             ;   in Loop: Header=BB14_17 Depth=1
	s_mov_b32 s47, exec_lo
                                        ; implicit-def: $vgpr14
	v_cmpx_lt_i16_e32 26, v19
	s_xor_b32 s47, exec_lo, s47
	s_cbranch_execz .LBB14_2690
; %bb.2685:                             ;   in Loop: Header=BB14_17 Depth=1
	s_mov_b32 s56, exec_lo
                                        ; implicit-def: $vgpr14
	v_cmpx_lt_i16_e32 27, v19
	s_xor_b32 s56, exec_lo, s56
	s_cbranch_execz .LBB14_2687
; %bb.2686:                             ;   in Loop: Header=BB14_17 Depth=1
	flat_load_b32 v14, v[16:17]
                                        ; implicit-def: $vgpr16_vgpr17
	s_wait_loadcnt_dscnt 0x0
	v_cvt_f32_u32_e32 v14, v14
.LBB14_2687:                            ;   in Loop: Header=BB14_17 Depth=1
	s_wait_xcnt 0x0
	s_and_not1_saveexec_b32 s56, s56
	s_cbranch_execz .LBB14_2689
; %bb.2688:                             ;   in Loop: Header=BB14_17 Depth=1
	flat_load_u16 v14, v[16:17]
	s_wait_loadcnt_dscnt 0x0
	v_cvt_f32_u32_e32 v14, v14
.LBB14_2689:                            ;   in Loop: Header=BB14_17 Depth=1
	s_wait_xcnt 0x0
	s_or_b32 exec_lo, exec_lo, s56
                                        ; implicit-def: $vgpr16_vgpr17
.LBB14_2690:                            ;   in Loop: Header=BB14_17 Depth=1
	s_and_not1_saveexec_b32 s47, s47
	s_cbranch_execz .LBB14_2696
; %bb.2691:                             ;   in Loop: Header=BB14_17 Depth=1
	flat_load_u8 v16, v[16:17]
	s_mov_b32 s56, 0
	s_mov_b32 s57, exec_lo
	s_wait_loadcnt_dscnt 0x0
	v_cmpx_lt_i16_e32 0x7f, v16
	s_xor_b32 s57, exec_lo, s57
	s_cbranch_execnz .LBB14_3234
; %bb.2692:                             ;   in Loop: Header=BB14_17 Depth=1
	s_or_saveexec_b32 s57, s57
	v_mov_b32_e32 v14, 0x7f800001
	s_xor_b32 exec_lo, exec_lo, s57
	s_cbranch_execnz .LBB14_3237
.LBB14_2693:                            ;   in Loop: Header=BB14_17 Depth=1
	s_or_b32 exec_lo, exec_lo, s57
	s_and_saveexec_b32 s57, s56
	s_cbranch_execz .LBB14_2695
.LBB14_2694:                            ;   in Loop: Header=BB14_17 Depth=1
	v_and_b32_e32 v14, 0xffff, v16
	s_delay_alu instid0(VALU_DEP_1) | instskip(SKIP_1) | instid1(VALU_DEP_2)
	v_and_b32_e32 v17, 7, v14
	v_bfe_u32 v21, v14, 3, 4
	v_clz_i32_u32_e32 v19, v17
	s_delay_alu instid0(VALU_DEP_2) | instskip(NEXT) | instid1(VALU_DEP_2)
	v_cmp_eq_u32_e32 vcc_lo, 0, v21
	v_min_u32_e32 v19, 32, v19
	s_delay_alu instid0(VALU_DEP_1) | instskip(NEXT) | instid1(VALU_DEP_1)
	v_subrev_nc_u32_e32 v20, 28, v19
	v_dual_lshlrev_b32 v14, v20, v14 :: v_dual_sub_nc_u32 v19, 29, v19
	s_delay_alu instid0(VALU_DEP_1) | instskip(NEXT) | instid1(VALU_DEP_2)
	v_dual_lshlrev_b32 v16, 24, v16 :: v_dual_bitop2_b32 v14, 7, v14 bitop3:0x40
	v_cndmask_b32_e32 v19, v21, v19, vcc_lo
	s_delay_alu instid0(VALU_DEP_2) | instskip(NEXT) | instid1(VALU_DEP_3)
	v_cndmask_b32_e32 v14, v17, v14, vcc_lo
	v_and_b32_e32 v16, 0x80000000, v16
	s_delay_alu instid0(VALU_DEP_3) | instskip(NEXT) | instid1(VALU_DEP_3)
	v_lshl_add_u32 v17, v19, 23, 0x3b800000
	v_lshlrev_b32_e32 v14, 20, v14
	s_delay_alu instid0(VALU_DEP_1)
	v_or3_b32 v14, v16, v17, v14
.LBB14_2695:                            ;   in Loop: Header=BB14_17 Depth=1
	s_or_b32 exec_lo, exec_lo, s57
.LBB14_2696:                            ;   in Loop: Header=BB14_17 Depth=1
	s_delay_alu instid0(SALU_CYCLE_1) | instskip(NEXT) | instid1(SALU_CYCLE_1)
	s_or_b32 exec_lo, exec_lo, s47
	s_or_b32 s45, s45, exec_lo
.LBB14_2697:                            ;   in Loop: Header=BB14_17 Depth=1
	s_or_b32 exec_lo, exec_lo, s46
	s_delay_alu instid0(SALU_CYCLE_1)
	s_and_b32 s45, s45, exec_lo
                                        ; implicit-def: $vgpr19
                                        ; implicit-def: $vgpr16_vgpr17
.LBB14_2698:                            ;   in Loop: Header=BB14_17 Depth=1
	s_and_not1_saveexec_b32 s44, s44
	s_cbranch_execz .LBB14_2724
; %bb.2699:                             ;   in Loop: Header=BB14_17 Depth=1
	s_mov_b32 s47, s45
	s_mov_b32 s46, exec_lo
                                        ; implicit-def: $vgpr14
	v_cmpx_lt_i16_e32 22, v19
	s_xor_b32 s46, exec_lo, s46
	s_cbranch_execz .LBB14_2713
; %bb.2700:                             ;   in Loop: Header=BB14_17 Depth=1
	s_mov_b32 s47, exec_lo
                                        ; implicit-def: $vgpr14
	v_cmpx_lt_i16_e32 23, v19
	s_xor_b32 s47, exec_lo, s47
	s_cbranch_execz .LBB14_2710
; %bb.2701:                             ;   in Loop: Header=BB14_17 Depth=1
	;; [unrolled: 6-line block ×3, first 2 shown]
	flat_load_u8 v16, v[16:17]
	s_mov_b32 s57, 0
	s_mov_b32 s58, exec_lo
	s_wait_loadcnt_dscnt 0x0
	v_cmpx_lt_i16_e32 0x7f, v16
	s_xor_b32 s58, exec_lo, s58
	s_cbranch_execnz .LBB14_3346
; %bb.2703:                             ;   in Loop: Header=BB14_17 Depth=1
	s_or_saveexec_b32 s58, s58
	v_mov_b32_e32 v14, 0x7f800001
	s_xor_b32 exec_lo, exec_lo, s58
	s_cbranch_execnz .LBB14_3349
.LBB14_2704:                            ;   in Loop: Header=BB14_17 Depth=1
	s_or_b32 exec_lo, exec_lo, s58
	s_and_saveexec_b32 s58, s57
	s_cbranch_execz .LBB14_2706
.LBB14_2705:                            ;   in Loop: Header=BB14_17 Depth=1
	v_and_b32_e32 v14, 0xffff, v16
	s_delay_alu instid0(VALU_DEP_1) | instskip(SKIP_1) | instid1(VALU_DEP_2)
	v_and_b32_e32 v17, 3, v14
	v_bfe_u32 v21, v14, 2, 5
	v_clz_i32_u32_e32 v19, v17
	s_delay_alu instid0(VALU_DEP_2) | instskip(NEXT) | instid1(VALU_DEP_2)
	v_cmp_eq_u32_e32 vcc_lo, 0, v21
	v_min_u32_e32 v19, 32, v19
	s_delay_alu instid0(VALU_DEP_1) | instskip(NEXT) | instid1(VALU_DEP_1)
	v_subrev_nc_u32_e32 v20, 29, v19
	v_dual_lshlrev_b32 v14, v20, v14 :: v_dual_sub_nc_u32 v19, 30, v19
	s_delay_alu instid0(VALU_DEP_1) | instskip(NEXT) | instid1(VALU_DEP_2)
	v_dual_lshlrev_b32 v16, 24, v16 :: v_dual_bitop2_b32 v14, 3, v14 bitop3:0x40
	v_cndmask_b32_e32 v19, v21, v19, vcc_lo
	s_delay_alu instid0(VALU_DEP_2) | instskip(NEXT) | instid1(VALU_DEP_3)
	v_cndmask_b32_e32 v14, v17, v14, vcc_lo
	v_and_b32_e32 v16, 0x80000000, v16
	s_delay_alu instid0(VALU_DEP_3) | instskip(NEXT) | instid1(VALU_DEP_3)
	v_lshl_add_u32 v17, v19, 23, 0x37800000
	v_lshlrev_b32_e32 v14, 21, v14
	s_delay_alu instid0(VALU_DEP_1)
	v_or3_b32 v14, v16, v17, v14
.LBB14_2706:                            ;   in Loop: Header=BB14_17 Depth=1
	s_or_b32 exec_lo, exec_lo, s58
                                        ; implicit-def: $vgpr16_vgpr17
.LBB14_2707:                            ;   in Loop: Header=BB14_17 Depth=1
	s_and_not1_saveexec_b32 s56, s56
	s_cbranch_execz .LBB14_2709
; %bb.2708:                             ;   in Loop: Header=BB14_17 Depth=1
	flat_load_u8 v14, v[16:17]
	s_wait_loadcnt_dscnt 0x0
	v_lshlrev_b32_e32 v14, 24, v14
	s_wait_xcnt 0x0
	s_delay_alu instid0(VALU_DEP_1) | instskip(NEXT) | instid1(VALU_DEP_1)
	v_and_b32_e32 v16, 0x7f000000, v14
	v_clz_i32_u32_e32 v17, v16
	v_add_nc_u32_e32 v20, 0x1000000, v16
	v_cmp_ne_u32_e32 vcc_lo, 0, v16
	s_delay_alu instid0(VALU_DEP_3) | instskip(NEXT) | instid1(VALU_DEP_1)
	v_min_u32_e32 v17, 32, v17
	v_sub_nc_u32_e64 v17, v17, 4 clamp
	s_delay_alu instid0(VALU_DEP_1) | instskip(NEXT) | instid1(VALU_DEP_1)
	v_dual_lshlrev_b32 v19, v17, v16 :: v_dual_lshlrev_b32 v17, 23, v17
	v_lshrrev_b32_e32 v19, 4, v19
	s_delay_alu instid0(VALU_DEP_1) | instskip(NEXT) | instid1(VALU_DEP_1)
	v_dual_sub_nc_u32 v17, v19, v17 :: v_dual_ashrrev_i32 v19, 8, v20
	v_add_nc_u32_e32 v17, 0x3c000000, v17
	s_delay_alu instid0(VALU_DEP_1) | instskip(NEXT) | instid1(VALU_DEP_1)
	v_and_or_b32 v17, 0x7f800000, v19, v17
	v_cndmask_b32_e32 v16, 0, v17, vcc_lo
	s_delay_alu instid0(VALU_DEP_1)
	v_and_or_b32 v14, 0x80000000, v14, v16
.LBB14_2709:                            ;   in Loop: Header=BB14_17 Depth=1
	s_or_b32 exec_lo, exec_lo, s56
                                        ; implicit-def: $vgpr16_vgpr17
.LBB14_2710:                            ;   in Loop: Header=BB14_17 Depth=1
	s_and_not1_saveexec_b32 s47, s47
	s_cbranch_execz .LBB14_2712
; %bb.2711:                             ;   in Loop: Header=BB14_17 Depth=1
	flat_load_u8 v14, v[16:17]
	s_wait_loadcnt_dscnt 0x0
	v_lshlrev_b32_e32 v16, 25, v14
	v_lshlrev_b16 v14, 8, v14
	s_delay_alu instid0(VALU_DEP_1) | instskip(SKIP_1) | instid1(VALU_DEP_2)
	v_and_or_b32 v19, 0x7f00, v14, 0.5
	v_bfe_i32 v14, v14, 0, 16
	v_dual_add_f32 v19, -0.5, v19 :: v_dual_lshrrev_b32 v17, 4, v16
	v_cmp_gt_u32_e32 vcc_lo, 0x8000000, v16
	s_delay_alu instid0(VALU_DEP_2) | instskip(NEXT) | instid1(VALU_DEP_1)
	v_or_b32_e32 v17, 0x70000000, v17
	v_mul_f32_e32 v17, 0x7800000, v17
	s_delay_alu instid0(VALU_DEP_1) | instskip(NEXT) | instid1(VALU_DEP_1)
	v_cndmask_b32_e32 v16, v17, v19, vcc_lo
	v_and_or_b32 v14, 0x80000000, v14, v16
.LBB14_2712:                            ;   in Loop: Header=BB14_17 Depth=1
	s_or_b32 exec_lo, exec_lo, s47
	s_delay_alu instid0(SALU_CYCLE_1)
	s_or_b32 s47, s45, exec_lo
                                        ; implicit-def: $vgpr19
                                        ; implicit-def: $vgpr16_vgpr17
.LBB14_2713:                            ;   in Loop: Header=BB14_17 Depth=1
	s_and_not1_saveexec_b32 s46, s46
	s_cbranch_execz .LBB14_2723
; %bb.2714:                             ;   in Loop: Header=BB14_17 Depth=1
	s_mov_b32 s56, s47
	s_mov_b32 s57, exec_lo
                                        ; implicit-def: $vgpr14
	v_cmpx_lt_i16_e32 14, v19
	s_xor_b32 s57, exec_lo, s57
	s_cbranch_execz .LBB14_2718
; %bb.2715:                             ;   in Loop: Header=BB14_17 Depth=1
	s_mov_b32 s56, s47
	s_mov_b32 s58, exec_lo
                                        ; implicit-def: $vgpr14
	v_cmpx_eq_u16_e32 15, v19
	s_cbranch_execz .LBB14_2717
; %bb.2716:                             ;   in Loop: Header=BB14_17 Depth=1
	flat_load_u16 v14, v[16:17]
	s_or_b32 s56, s47, exec_lo
	s_wait_loadcnt_dscnt 0x0
	v_lshlrev_b32_e32 v14, 16, v14
.LBB14_2717:                            ;   in Loop: Header=BB14_17 Depth=1
	s_wait_xcnt 0x0
	s_or_b32 exec_lo, exec_lo, s58
	s_delay_alu instid0(SALU_CYCLE_1) | instskip(SKIP_1) | instid1(SALU_CYCLE_1)
	s_and_not1_b32 s58, s47, exec_lo
	s_and_b32 s56, s56, exec_lo
                                        ; implicit-def: $vgpr19
                                        ; implicit-def: $vgpr16_vgpr17
	s_or_b32 s56, s58, s56
.LBB14_2718:                            ;   in Loop: Header=BB14_17 Depth=1
	s_and_not1_saveexec_b32 s57, s57
	s_cbranch_execz .LBB14_2722
; %bb.2719:                             ;   in Loop: Header=BB14_17 Depth=1
	s_mov_b32 s58, s56
	s_mov_b32 s59, exec_lo
                                        ; implicit-def: $vgpr14
	v_cmpx_eq_u16_e32 11, v19
	s_cbranch_execz .LBB14_2721
; %bb.2720:                             ;   in Loop: Header=BB14_17 Depth=1
	flat_load_u8 v14, v[16:17]
	s_or_b32 s58, s56, exec_lo
	s_wait_loadcnt_dscnt 0x0
	v_cmp_ne_u16_e32 vcc_lo, 0, v14
	v_cndmask_b32_e64 v14, 0, 1.0, vcc_lo
.LBB14_2721:                            ;   in Loop: Header=BB14_17 Depth=1
	s_wait_xcnt 0x0
	s_or_b32 exec_lo, exec_lo, s59
	s_delay_alu instid0(SALU_CYCLE_1) | instskip(SKIP_1) | instid1(SALU_CYCLE_1)
	s_and_not1_b32 s56, s56, exec_lo
	s_and_b32 s58, s58, exec_lo
	s_or_b32 s56, s56, s58
.LBB14_2722:                            ;   in Loop: Header=BB14_17 Depth=1
	s_or_b32 exec_lo, exec_lo, s57
	s_delay_alu instid0(SALU_CYCLE_1) | instskip(SKIP_1) | instid1(SALU_CYCLE_1)
	s_and_not1_b32 s47, s47, exec_lo
	s_and_b32 s56, s56, exec_lo
	s_or_b32 s47, s47, s56
.LBB14_2723:                            ;   in Loop: Header=BB14_17 Depth=1
	s_or_b32 exec_lo, exec_lo, s46
	s_delay_alu instid0(SALU_CYCLE_1) | instskip(SKIP_1) | instid1(SALU_CYCLE_1)
	s_and_not1_b32 s45, s45, exec_lo
	s_and_b32 s46, s47, exec_lo
	s_or_b32 s45, s45, s46
.LBB14_2724:                            ;   in Loop: Header=BB14_17 Depth=1
	s_or_b32 exec_lo, exec_lo, s44
	s_delay_alu instid0(SALU_CYCLE_1)
	s_and_b32 s44, s45, exec_lo
                                        ; implicit-def: $vgpr19
                                        ; implicit-def: $vgpr16_vgpr17
	s_and_not1_saveexec_b32 s40, s40
	s_cbranch_execz .LBB14_1011
.LBB14_2725:                            ;   in Loop: Header=BB14_17 Depth=1
	s_mov_b32 s45, exec_lo
                                        ; implicit-def: $vgpr14
	v_cmpx_lt_i16_e32 4, v19
	s_xor_b32 s45, exec_lo, s45
	s_cbranch_execz .LBB14_2747
; %bb.2726:                             ;   in Loop: Header=BB14_17 Depth=1
	s_mov_b32 s46, exec_lo
                                        ; implicit-def: $vgpr14
	v_cmpx_lt_i16_e32 7, v19
	s_xor_b32 s46, exec_lo, s46
	s_cbranch_execz .LBB14_2736
; %bb.2727:                             ;   in Loop: Header=BB14_17 Depth=1
	;; [unrolled: 6-line block ×4, first 2 shown]
	flat_load_b64 v[16:17], v[16:17]
	s_wait_loadcnt_dscnt 0x0
	v_cvt_f32_f64_e32 v14, v[16:17]
                                        ; implicit-def: $vgpr16_vgpr17
.LBB14_2730:                            ;   in Loop: Header=BB14_17 Depth=1
	s_wait_xcnt 0x0
	s_and_not1_saveexec_b32 s56, s56
	s_cbranch_execz .LBB14_2732
; %bb.2731:                             ;   in Loop: Header=BB14_17 Depth=1
	flat_load_b32 v14, v[16:17]
.LBB14_2732:                            ;   in Loop: Header=BB14_17 Depth=1
	s_wait_xcnt 0x0
	s_or_b32 exec_lo, exec_lo, s56
                                        ; implicit-def: $vgpr16_vgpr17
.LBB14_2733:                            ;   in Loop: Header=BB14_17 Depth=1
	s_and_not1_saveexec_b32 s47, s47
	s_cbranch_execz .LBB14_2735
; %bb.2734:                             ;   in Loop: Header=BB14_17 Depth=1
	s_wait_loadcnt_dscnt 0x0
	flat_load_b32 v14, v[16:17]
	s_wait_loadcnt_dscnt 0x0
	v_cvt_f32_f16_e32 v14, v14
.LBB14_2735:                            ;   in Loop: Header=BB14_17 Depth=1
	s_wait_xcnt 0x0
	s_or_b32 exec_lo, exec_lo, s47
                                        ; implicit-def: $vgpr16_vgpr17
                                        ; implicit-def: $vgpr19
.LBB14_2736:                            ;   in Loop: Header=BB14_17 Depth=1
	s_and_not1_saveexec_b32 s46, s46
	s_cbranch_execz .LBB14_2746
; %bb.2737:                             ;   in Loop: Header=BB14_17 Depth=1
	s_mov_b32 s47, exec_lo
                                        ; implicit-def: $vgpr14
	v_cmpx_lt_i16_e32 5, v19
	s_xor_b32 s47, exec_lo, s47
	s_cbranch_execz .LBB14_2743
; %bb.2738:                             ;   in Loop: Header=BB14_17 Depth=1
	s_mov_b32 s56, exec_lo
                                        ; implicit-def: $vgpr14
	v_cmpx_lt_i16_e32 6, v19
	s_xor_b32 s56, exec_lo, s56
	s_cbranch_execz .LBB14_2740
; %bb.2739:                             ;   in Loop: Header=BB14_17 Depth=1
	flat_load_b64 v[16:17], v[16:17]
	s_wait_loadcnt_dscnt 0x0
	v_cvt_f32_f64_e32 v14, v[16:17]
                                        ; implicit-def: $vgpr16_vgpr17
.LBB14_2740:                            ;   in Loop: Header=BB14_17 Depth=1
	s_wait_xcnt 0x0
	s_and_not1_saveexec_b32 s56, s56
	s_cbranch_execz .LBB14_2742
; %bb.2741:                             ;   in Loop: Header=BB14_17 Depth=1
	s_wait_loadcnt_dscnt 0x0
	flat_load_b32 v14, v[16:17]
.LBB14_2742:                            ;   in Loop: Header=BB14_17 Depth=1
	s_wait_xcnt 0x0
	s_or_b32 exec_lo, exec_lo, s56
                                        ; implicit-def: $vgpr16_vgpr17
.LBB14_2743:                            ;   in Loop: Header=BB14_17 Depth=1
	s_and_not1_saveexec_b32 s47, s47
	s_cbranch_execz .LBB14_2745
; %bb.2744:                             ;   in Loop: Header=BB14_17 Depth=1
	s_wait_loadcnt_dscnt 0x0
	flat_load_u16 v14, v[16:17]
	s_wait_loadcnt_dscnt 0x0
	v_cvt_f32_f16_e32 v14, v14
.LBB14_2745:                            ;   in Loop: Header=BB14_17 Depth=1
	s_wait_xcnt 0x0
	s_or_b32 exec_lo, exec_lo, s47
.LBB14_2746:                            ;   in Loop: Header=BB14_17 Depth=1
	s_delay_alu instid0(SALU_CYCLE_1)
	s_or_b32 exec_lo, exec_lo, s46
                                        ; implicit-def: $vgpr19
                                        ; implicit-def: $vgpr16_vgpr17
.LBB14_2747:                            ;   in Loop: Header=BB14_17 Depth=1
	s_and_not1_saveexec_b32 s45, s45
	s_cbranch_execz .LBB14_2765
; %bb.2748:                             ;   in Loop: Header=BB14_17 Depth=1
	s_mov_b32 s46, exec_lo
                                        ; implicit-def: $vgpr14
	v_cmpx_lt_i16_e32 1, v19
	s_xor_b32 s46, exec_lo, s46
	s_cbranch_execz .LBB14_2758
; %bb.2749:                             ;   in Loop: Header=BB14_17 Depth=1
	s_mov_b32 s47, exec_lo
                                        ; implicit-def: $vgpr14
	v_cmpx_lt_i16_e32 2, v19
	s_xor_b32 s47, exec_lo, s47
	;; [unrolled: 6-line block ×3, first 2 shown]
	s_cbranch_execz .LBB14_2752
; %bb.2751:                             ;   in Loop: Header=BB14_17 Depth=1
	flat_load_b64 v[16:17], v[16:17]
	s_wait_loadcnt_dscnt 0x0
	v_xor_b32_e32 v14, v16, v17
	v_cls_i32_e32 v19, v17
	s_delay_alu instid0(VALU_DEP_2) | instskip(NEXT) | instid1(VALU_DEP_1)
	v_ashrrev_i32_e32 v14, 31, v14
	v_add_nc_u32_e32 v14, 32, v14
	s_delay_alu instid0(VALU_DEP_1) | instskip(SKIP_1) | instid1(VALU_DEP_1)
	v_add_min_u32_e64 v14, v19, -1, v14
	s_wait_xcnt 0x0
	v_lshlrev_b64_e32 v[16:17], v14, v[16:17]
	v_sub_nc_u32_e32 v14, 32, v14
	s_delay_alu instid0(VALU_DEP_2) | instskip(NEXT) | instid1(VALU_DEP_1)
	v_min_u32_e32 v16, 1, v16
	v_or_b32_e32 v16, v17, v16
	s_delay_alu instid0(VALU_DEP_1) | instskip(NEXT) | instid1(VALU_DEP_1)
	v_cvt_f32_i32_e32 v16, v16
	v_ldexp_f32 v14, v16, v14
                                        ; implicit-def: $vgpr16_vgpr17
.LBB14_2752:                            ;   in Loop: Header=BB14_17 Depth=1
	s_and_not1_saveexec_b32 s56, s56
	s_cbranch_execz .LBB14_2754
; %bb.2753:                             ;   in Loop: Header=BB14_17 Depth=1
	s_wait_loadcnt_dscnt 0x0
	flat_load_b32 v14, v[16:17]
	s_wait_loadcnt_dscnt 0x0
	v_cvt_f32_i32_e32 v14, v14
.LBB14_2754:                            ;   in Loop: Header=BB14_17 Depth=1
	s_wait_xcnt 0x0
	s_or_b32 exec_lo, exec_lo, s56
                                        ; implicit-def: $vgpr16_vgpr17
.LBB14_2755:                            ;   in Loop: Header=BB14_17 Depth=1
	s_and_not1_saveexec_b32 s47, s47
	s_cbranch_execz .LBB14_2757
; %bb.2756:                             ;   in Loop: Header=BB14_17 Depth=1
	s_wait_loadcnt_dscnt 0x0
	flat_load_i16 v14, v[16:17]
	s_wait_loadcnt_dscnt 0x0
	v_cvt_f32_i32_e32 v14, v14
.LBB14_2757:                            ;   in Loop: Header=BB14_17 Depth=1
	s_wait_xcnt 0x0
	s_or_b32 exec_lo, exec_lo, s47
                                        ; implicit-def: $vgpr16_vgpr17
                                        ; implicit-def: $vgpr19
.LBB14_2758:                            ;   in Loop: Header=BB14_17 Depth=1
	s_and_not1_saveexec_b32 s46, s46
	s_cbranch_execz .LBB14_2764
; %bb.2759:                             ;   in Loop: Header=BB14_17 Depth=1
	s_mov_b32 s47, exec_lo
                                        ; implicit-def: $vgpr14
	v_cmpx_lt_i16_e32 0, v19
	s_xor_b32 s47, exec_lo, s47
	s_cbranch_execz .LBB14_2761
; %bb.2760:                             ;   in Loop: Header=BB14_17 Depth=1
	s_wait_loadcnt_dscnt 0x0
	flat_load_i8 v14, v[16:17]
                                        ; implicit-def: $vgpr16_vgpr17
	s_wait_loadcnt_dscnt 0x0
	v_cvt_f32_i32_e32 v14, v14
.LBB14_2761:                            ;   in Loop: Header=BB14_17 Depth=1
	s_wait_xcnt 0x0
	s_and_not1_saveexec_b32 s47, s47
	s_cbranch_execz .LBB14_2763
; %bb.2762:                             ;   in Loop: Header=BB14_17 Depth=1
	s_wait_loadcnt_dscnt 0x0
	flat_load_u8 v14, v[16:17]
	s_wait_loadcnt_dscnt 0x0
	v_cvt_f32_ubyte0_e32 v14, v14
.LBB14_2763:                            ;   in Loop: Header=BB14_17 Depth=1
	s_wait_xcnt 0x0
	s_or_b32 exec_lo, exec_lo, s47
.LBB14_2764:                            ;   in Loop: Header=BB14_17 Depth=1
	s_delay_alu instid0(SALU_CYCLE_1)
	s_or_b32 exec_lo, exec_lo, s46
.LBB14_2765:                            ;   in Loop: Header=BB14_17 Depth=1
	s_delay_alu instid0(SALU_CYCLE_1) | instskip(NEXT) | instid1(SALU_CYCLE_1)
	s_or_b32 exec_lo, exec_lo, s45
	s_or_b32 s44, s44, exec_lo
	s_or_b32 exec_lo, exec_lo, s40
	s_mov_b32 s45, 0
	s_and_saveexec_b32 s40, s44
	s_cbranch_execnz .LBB14_1012
	s_branch .LBB14_1013
.LBB14_2766:                            ;   in Loop: Header=BB14_17 Depth=1
	s_mov_b32 s24, -1
	s_mov_b32 s26, exec_lo
	v_cmpx_eq_u16_e32 0x80, v16
; %bb.2767:                             ;   in Loop: Header=BB14_17 Depth=1
	s_xor_b32 s24, exec_lo, -1
; %bb.2768:                             ;   in Loop: Header=BB14_17 Depth=1
	s_or_b32 exec_lo, exec_lo, s26
	s_delay_alu instid0(SALU_CYCLE_1)
	s_and_b32 s24, s24, exec_lo
	s_or_saveexec_b32 s25, s25
	v_mov_b32_e32 v14, 0x7f800001
	s_xor_b32 exec_lo, exec_lo, s25
	s_cbranch_execz .LBB14_2136
.LBB14_2769:                            ;   in Loop: Header=BB14_17 Depth=1
	v_cmp_ne_u16_e32 vcc_lo, 0, v16
	v_mov_b32_e32 v14, 0
	s_and_not1_b32 s24, s24, exec_lo
	s_and_b32 s26, vcc_lo, exec_lo
	s_delay_alu instid0(SALU_CYCLE_1)
	s_or_b32 s24, s24, s26
	s_or_b32 exec_lo, exec_lo, s25
	s_and_saveexec_b32 s25, s24
	s_cbranch_execnz .LBB14_2137
	s_branch .LBB14_2138
.LBB14_2770:                            ;   in Loop: Header=BB14_17 Depth=1
	s_mov_b32 s26, -1
	s_mov_b32 s28, exec_lo
	v_cmpx_eq_u16_e32 0x80, v16
; %bb.2771:                             ;   in Loop: Header=BB14_17 Depth=1
	s_xor_b32 s26, exec_lo, -1
; %bb.2772:                             ;   in Loop: Header=BB14_17 Depth=1
	s_or_b32 exec_lo, exec_lo, s28
	s_delay_alu instid0(SALU_CYCLE_1)
	s_and_b32 s26, s26, exec_lo
	s_or_saveexec_b32 s27, s27
	v_mov_b32_e32 v14, 0x7f800001
	s_xor_b32 exec_lo, exec_lo, s27
	s_cbranch_execz .LBB14_2233
.LBB14_2773:                            ;   in Loop: Header=BB14_17 Depth=1
	v_cmp_ne_u16_e32 vcc_lo, 0, v16
	v_mov_b32_e32 v14, 0
	s_and_not1_b32 s26, s26, exec_lo
	s_and_b32 s28, vcc_lo, exec_lo
	s_delay_alu instid0(SALU_CYCLE_1)
	s_or_b32 s26, s26, s28
	s_or_b32 exec_lo, exec_lo, s27
	s_and_saveexec_b32 s27, s26
	s_cbranch_execnz .LBB14_2234
	s_branch .LBB14_2235
.LBB14_2774:                            ;   in Loop: Header=BB14_17 Depth=1
	s_mov_b32 s28, -1
	s_mov_b32 s40, exec_lo
	v_cmpx_eq_u16_e32 0x80, v16
; %bb.2775:                             ;   in Loop: Header=BB14_17 Depth=1
	s_xor_b32 s28, exec_lo, -1
; %bb.2776:                             ;   in Loop: Header=BB14_17 Depth=1
	s_or_b32 exec_lo, exec_lo, s40
	s_delay_alu instid0(SALU_CYCLE_1)
	s_and_b32 s28, s28, exec_lo
	s_or_saveexec_b32 s29, s29
	v_mov_b32_e32 v14, 0x7f800001
	s_xor_b32 exec_lo, exec_lo, s29
	s_cbranch_execz .LBB14_612
.LBB14_2777:                            ;   in Loop: Header=BB14_17 Depth=1
	v_cmp_ne_u16_e32 vcc_lo, 0, v16
	v_mov_b32_e32 v14, 0
	s_and_not1_b32 s28, s28, exec_lo
	s_and_b32 s40, vcc_lo, exec_lo
	s_delay_alu instid0(SALU_CYCLE_1)
	s_or_b32 s28, s28, s40
	s_or_b32 exec_lo, exec_lo, s29
	s_and_saveexec_b32 s29, s28
	s_cbranch_execnz .LBB14_613
	s_branch .LBB14_614
.LBB14_2778:                            ;   in Loop: Header=BB14_17 Depth=1
	s_mov_b32 s40, -1
	s_mov_b32 s42, exec_lo
	v_cmpx_eq_u16_e32 0x80, v16
; %bb.2779:                             ;   in Loop: Header=BB14_17 Depth=1
	s_xor_b32 s40, exec_lo, -1
; %bb.2780:                             ;   in Loop: Header=BB14_17 Depth=1
	s_or_b32 exec_lo, exec_lo, s42
	s_delay_alu instid0(SALU_CYCLE_1)
	s_and_b32 s40, s40, exec_lo
	s_or_saveexec_b32 s41, s41
	v_mov_b32_e32 v14, 0x7f800001
	s_xor_b32 exec_lo, exec_lo, s41
	s_cbranch_execz .LBB14_712
.LBB14_2781:                            ;   in Loop: Header=BB14_17 Depth=1
	v_cmp_ne_u16_e32 vcc_lo, 0, v16
	v_mov_b32_e32 v14, 0
	s_and_not1_b32 s40, s40, exec_lo
	s_and_b32 s42, vcc_lo, exec_lo
	s_delay_alu instid0(SALU_CYCLE_1)
	s_or_b32 s40, s40, s42
	s_or_b32 exec_lo, exec_lo, s41
	s_and_saveexec_b32 s41, s40
	s_cbranch_execnz .LBB14_713
	s_branch .LBB14_714
.LBB14_2782:                            ;   in Loop: Header=BB14_17 Depth=1
	s_mov_b32 s47, exec_lo
                                        ; implicit-def: $vgpr14
	v_cmpx_lt_i16_e32 25, v19
	s_xor_b32 s47, exec_lo, s47
	s_cbranch_execz .LBB14_2814
; %bb.2783:                             ;   in Loop: Header=BB14_17 Depth=1
	s_mov_b32 s57, exec_lo
                                        ; implicit-def: $vgpr14
	v_cmpx_lt_i16_e32 28, v19
	s_xor_b32 s57, exec_lo, s57
	s_cbranch_execz .LBB14_2799
; %bb.2784:                             ;   in Loop: Header=BB14_17 Depth=1
	s_mov_b32 s58, 0
	s_mov_b32 s56, exec_lo
                                        ; implicit-def: $vgpr14
	v_cmpx_lt_i16_e32 43, v19
	s_xor_b32 s56, exec_lo, s56
	s_cbranch_execz .LBB14_2794
; %bb.2785:                             ;   in Loop: Header=BB14_17 Depth=1
	s_mov_b32 s59, exec_lo
                                        ; implicit-def: $vgpr14
	v_cmpx_lt_i16_e32 45, v19
	s_xor_b32 s59, exec_lo, s59
	s_cbranch_execz .LBB14_2789
; %bb.2786:                             ;   in Loop: Header=BB14_17 Depth=1
	s_mov_b32 s60, exec_lo
                                        ; implicit-def: $vgpr14
	v_cmpx_eq_u16_e32 46, v19
	s_cbranch_execz .LBB14_2788
; %bb.2787:                             ;   in Loop: Header=BB14_17 Depth=1
	flat_load_b32 v14, v[16:17]
	s_mov_b32 s58, exec_lo
	s_wait_loadcnt_dscnt 0x0
	v_lshlrev_b32_e32 v14, 16, v14
.LBB14_2788:                            ;   in Loop: Header=BB14_17 Depth=1
	s_wait_xcnt 0x0
	s_or_b32 exec_lo, exec_lo, s60
	s_delay_alu instid0(SALU_CYCLE_1)
	s_and_b32 s58, s58, exec_lo
                                        ; implicit-def: $vgpr19
                                        ; implicit-def: $vgpr16_vgpr17
.LBB14_2789:                            ;   in Loop: Header=BB14_17 Depth=1
	s_and_not1_saveexec_b32 s59, s59
	s_cbranch_execz .LBB14_2793
; %bb.2790:                             ;   in Loop: Header=BB14_17 Depth=1
	s_mov_b32 s61, s58
	s_mov_b32 s60, exec_lo
                                        ; implicit-def: $vgpr14
	v_cmpx_eq_u16_e32 44, v19
	s_cbranch_execz .LBB14_2792
; %bb.2791:                             ;   in Loop: Header=BB14_17 Depth=1
	flat_load_u8 v14, v[16:17]
	s_or_b32 s61, s58, exec_lo
	s_wait_loadcnt_dscnt 0x0
	v_lshlrev_b32_e32 v16, 23, v14
	v_cmp_ne_u32_e32 vcc_lo, 0xff, v14
	s_delay_alu instid0(VALU_DEP_2) | instskip(SKIP_1) | instid1(VALU_DEP_2)
	v_cndmask_b32_e32 v16, 0x7f800001, v16, vcc_lo
	v_cmp_ne_u32_e32 vcc_lo, 0, v14
	v_cndmask_b32_e32 v14, 0x400000, v16, vcc_lo
.LBB14_2792:                            ;   in Loop: Header=BB14_17 Depth=1
	s_or_b32 exec_lo, exec_lo, s60
	s_delay_alu instid0(SALU_CYCLE_1) | instskip(SKIP_1) | instid1(SALU_CYCLE_1)
	s_and_not1_b32 s58, s58, exec_lo
	s_and_b32 s60, s61, exec_lo
	s_or_b32 s58, s58, s60
.LBB14_2793:                            ;   in Loop: Header=BB14_17 Depth=1
	s_or_b32 exec_lo, exec_lo, s59
	s_delay_alu instid0(SALU_CYCLE_1)
	s_and_b32 s58, s58, exec_lo
                                        ; implicit-def: $vgpr19
                                        ; implicit-def: $vgpr16_vgpr17
.LBB14_2794:                            ;   in Loop: Header=BB14_17 Depth=1
	s_and_not1_saveexec_b32 s56, s56
	s_cbranch_execz .LBB14_2798
; %bb.2795:                             ;   in Loop: Header=BB14_17 Depth=1
	s_mov_b32 s60, s58
	s_mov_b32 s59, exec_lo
                                        ; implicit-def: $vgpr14
	v_cmpx_eq_u16_e32 29, v19
	s_cbranch_execz .LBB14_2797
; %bb.2796:                             ;   in Loop: Header=BB14_17 Depth=1
	flat_load_b64 v[16:17], v[16:17]
	s_or_b32 s60, s58, exec_lo
	s_wait_loadcnt_dscnt 0x0
	v_clz_i32_u32_e32 v14, v17
	s_delay_alu instid0(VALU_DEP_1) | instskip(SKIP_1) | instid1(VALU_DEP_1)
	v_min_u32_e32 v14, 32, v14
	s_wait_xcnt 0x0
	v_lshlrev_b64_e32 v[16:17], v14, v[16:17]
	v_sub_nc_u32_e32 v14, 32, v14
	s_delay_alu instid0(VALU_DEP_2) | instskip(NEXT) | instid1(VALU_DEP_1)
	v_min_u32_e32 v16, 1, v16
	v_or_b32_e32 v16, v17, v16
	s_delay_alu instid0(VALU_DEP_1) | instskip(NEXT) | instid1(VALU_DEP_1)
	v_cvt_f32_u32_e32 v16, v16
	v_ldexp_f32 v14, v16, v14
.LBB14_2797:                            ;   in Loop: Header=BB14_17 Depth=1
	s_or_b32 exec_lo, exec_lo, s59
	s_delay_alu instid0(SALU_CYCLE_1) | instskip(SKIP_1) | instid1(SALU_CYCLE_1)
	s_and_not1_b32 s58, s58, exec_lo
	s_and_b32 s59, s60, exec_lo
	s_or_b32 s58, s58, s59
.LBB14_2798:                            ;   in Loop: Header=BB14_17 Depth=1
	s_or_b32 exec_lo, exec_lo, s56
	s_delay_alu instid0(SALU_CYCLE_1)
	s_and_b32 s56, s58, exec_lo
                                        ; implicit-def: $vgpr19
                                        ; implicit-def: $vgpr16_vgpr17
.LBB14_2799:                            ;   in Loop: Header=BB14_17 Depth=1
	s_and_not1_saveexec_b32 s57, s57
	s_cbranch_execz .LBB14_2813
; %bb.2800:                             ;   in Loop: Header=BB14_17 Depth=1
	s_mov_b32 s58, exec_lo
                                        ; implicit-def: $vgpr14
	v_cmpx_lt_i16_e32 26, v19
	s_xor_b32 s58, exec_lo, s58
	s_cbranch_execz .LBB14_2806
; %bb.2801:                             ;   in Loop: Header=BB14_17 Depth=1
	s_mov_b32 s59, exec_lo
                                        ; implicit-def: $vgpr14
	v_cmpx_lt_i16_e32 27, v19
	s_xor_b32 s59, exec_lo, s59
	s_cbranch_execz .LBB14_2803
; %bb.2802:                             ;   in Loop: Header=BB14_17 Depth=1
	flat_load_b32 v14, v[16:17]
                                        ; implicit-def: $vgpr16_vgpr17
	s_wait_loadcnt_dscnt 0x0
	v_cvt_f32_u32_e32 v14, v14
.LBB14_2803:                            ;   in Loop: Header=BB14_17 Depth=1
	s_wait_xcnt 0x0
	s_and_not1_saveexec_b32 s59, s59
	s_cbranch_execz .LBB14_2805
; %bb.2804:                             ;   in Loop: Header=BB14_17 Depth=1
	flat_load_u16 v14, v[16:17]
	s_wait_loadcnt_dscnt 0x0
	v_cvt_f32_u32_e32 v14, v14
.LBB14_2805:                            ;   in Loop: Header=BB14_17 Depth=1
	s_wait_xcnt 0x0
	s_or_b32 exec_lo, exec_lo, s59
                                        ; implicit-def: $vgpr16_vgpr17
.LBB14_2806:                            ;   in Loop: Header=BB14_17 Depth=1
	s_and_not1_saveexec_b32 s58, s58
	s_cbranch_execz .LBB14_2812
; %bb.2807:                             ;   in Loop: Header=BB14_17 Depth=1
	flat_load_u8 v16, v[16:17]
	s_mov_b32 s59, 0
	s_mov_b32 s60, exec_lo
	s_wait_loadcnt_dscnt 0x0
	v_cmpx_lt_i16_e32 0x7f, v16
	s_xor_b32 s60, exec_lo, s60
	s_cbranch_execnz .LBB14_3350
; %bb.2808:                             ;   in Loop: Header=BB14_17 Depth=1
	s_or_saveexec_b32 s60, s60
	v_mov_b32_e32 v14, 0x7f800001
	s_xor_b32 exec_lo, exec_lo, s60
	s_cbranch_execnz .LBB14_3353
.LBB14_2809:                            ;   in Loop: Header=BB14_17 Depth=1
	s_or_b32 exec_lo, exec_lo, s60
	s_and_saveexec_b32 s60, s59
	s_cbranch_execz .LBB14_2811
.LBB14_2810:                            ;   in Loop: Header=BB14_17 Depth=1
	v_and_b32_e32 v14, 0xffff, v16
	s_delay_alu instid0(VALU_DEP_1) | instskip(SKIP_1) | instid1(VALU_DEP_2)
	v_and_b32_e32 v17, 7, v14
	v_bfe_u32 v21, v14, 3, 4
	v_clz_i32_u32_e32 v19, v17
	s_delay_alu instid0(VALU_DEP_2) | instskip(NEXT) | instid1(VALU_DEP_2)
	v_cmp_eq_u32_e32 vcc_lo, 0, v21
	v_min_u32_e32 v19, 32, v19
	s_delay_alu instid0(VALU_DEP_1) | instskip(NEXT) | instid1(VALU_DEP_1)
	v_subrev_nc_u32_e32 v20, 28, v19
	v_dual_lshlrev_b32 v14, v20, v14 :: v_dual_sub_nc_u32 v19, 29, v19
	s_delay_alu instid0(VALU_DEP_1) | instskip(NEXT) | instid1(VALU_DEP_2)
	v_dual_lshlrev_b32 v16, 24, v16 :: v_dual_bitop2_b32 v14, 7, v14 bitop3:0x40
	v_cndmask_b32_e32 v19, v21, v19, vcc_lo
	s_delay_alu instid0(VALU_DEP_2) | instskip(NEXT) | instid1(VALU_DEP_3)
	v_cndmask_b32_e32 v14, v17, v14, vcc_lo
	v_and_b32_e32 v16, 0x80000000, v16
	s_delay_alu instid0(VALU_DEP_3) | instskip(NEXT) | instid1(VALU_DEP_3)
	v_lshl_add_u32 v17, v19, 23, 0x3b800000
	v_lshlrev_b32_e32 v14, 20, v14
	s_delay_alu instid0(VALU_DEP_1)
	v_or3_b32 v14, v16, v17, v14
.LBB14_2811:                            ;   in Loop: Header=BB14_17 Depth=1
	s_or_b32 exec_lo, exec_lo, s60
.LBB14_2812:                            ;   in Loop: Header=BB14_17 Depth=1
	s_delay_alu instid0(SALU_CYCLE_1) | instskip(NEXT) | instid1(SALU_CYCLE_1)
	s_or_b32 exec_lo, exec_lo, s58
	s_or_b32 s56, s56, exec_lo
.LBB14_2813:                            ;   in Loop: Header=BB14_17 Depth=1
	s_or_b32 exec_lo, exec_lo, s57
	s_delay_alu instid0(SALU_CYCLE_1)
	s_and_b32 s56, s56, exec_lo
                                        ; implicit-def: $vgpr19
                                        ; implicit-def: $vgpr16_vgpr17
.LBB14_2814:                            ;   in Loop: Header=BB14_17 Depth=1
	s_and_not1_saveexec_b32 s47, s47
	s_cbranch_execz .LBB14_2840
; %bb.2815:                             ;   in Loop: Header=BB14_17 Depth=1
	s_mov_b32 s58, s56
	s_mov_b32 s57, exec_lo
                                        ; implicit-def: $vgpr14
	v_cmpx_lt_i16_e32 22, v19
	s_xor_b32 s57, exec_lo, s57
	s_cbranch_execz .LBB14_2829
; %bb.2816:                             ;   in Loop: Header=BB14_17 Depth=1
	s_mov_b32 s58, exec_lo
                                        ; implicit-def: $vgpr14
	v_cmpx_lt_i16_e32 23, v19
	s_xor_b32 s58, exec_lo, s58
	s_cbranch_execz .LBB14_2826
; %bb.2817:                             ;   in Loop: Header=BB14_17 Depth=1
	;; [unrolled: 6-line block ×3, first 2 shown]
	flat_load_u8 v16, v[16:17]
	s_mov_b32 s60, 0
	s_mov_b32 s61, exec_lo
	s_wait_loadcnt_dscnt 0x0
	v_cmpx_lt_i16_e32 0x7f, v16
	s_xor_b32 s61, exec_lo, s61
	s_cbranch_execnz .LBB14_3462
; %bb.2819:                             ;   in Loop: Header=BB14_17 Depth=1
	s_or_saveexec_b32 s61, s61
	v_mov_b32_e32 v14, 0x7f800001
	s_xor_b32 exec_lo, exec_lo, s61
	s_cbranch_execnz .LBB14_3465
.LBB14_2820:                            ;   in Loop: Header=BB14_17 Depth=1
	s_or_b32 exec_lo, exec_lo, s61
	s_and_saveexec_b32 s61, s60
	s_cbranch_execz .LBB14_2822
.LBB14_2821:                            ;   in Loop: Header=BB14_17 Depth=1
	v_and_b32_e32 v14, 0xffff, v16
	s_delay_alu instid0(VALU_DEP_1) | instskip(SKIP_1) | instid1(VALU_DEP_2)
	v_and_b32_e32 v17, 3, v14
	v_bfe_u32 v21, v14, 2, 5
	v_clz_i32_u32_e32 v19, v17
	s_delay_alu instid0(VALU_DEP_2) | instskip(NEXT) | instid1(VALU_DEP_2)
	v_cmp_eq_u32_e32 vcc_lo, 0, v21
	v_min_u32_e32 v19, 32, v19
	s_delay_alu instid0(VALU_DEP_1) | instskip(NEXT) | instid1(VALU_DEP_1)
	v_subrev_nc_u32_e32 v20, 29, v19
	v_dual_lshlrev_b32 v14, v20, v14 :: v_dual_sub_nc_u32 v19, 30, v19
	s_delay_alu instid0(VALU_DEP_1) | instskip(NEXT) | instid1(VALU_DEP_2)
	v_dual_lshlrev_b32 v16, 24, v16 :: v_dual_bitop2_b32 v14, 3, v14 bitop3:0x40
	v_cndmask_b32_e32 v19, v21, v19, vcc_lo
	s_delay_alu instid0(VALU_DEP_2) | instskip(NEXT) | instid1(VALU_DEP_3)
	v_cndmask_b32_e32 v14, v17, v14, vcc_lo
	v_and_b32_e32 v16, 0x80000000, v16
	s_delay_alu instid0(VALU_DEP_3) | instskip(NEXT) | instid1(VALU_DEP_3)
	v_lshl_add_u32 v17, v19, 23, 0x37800000
	v_lshlrev_b32_e32 v14, 21, v14
	s_delay_alu instid0(VALU_DEP_1)
	v_or3_b32 v14, v16, v17, v14
.LBB14_2822:                            ;   in Loop: Header=BB14_17 Depth=1
	s_or_b32 exec_lo, exec_lo, s61
                                        ; implicit-def: $vgpr16_vgpr17
.LBB14_2823:                            ;   in Loop: Header=BB14_17 Depth=1
	s_and_not1_saveexec_b32 s59, s59
	s_cbranch_execz .LBB14_2825
; %bb.2824:                             ;   in Loop: Header=BB14_17 Depth=1
	flat_load_u8 v14, v[16:17]
	s_wait_loadcnt_dscnt 0x0
	v_lshlrev_b32_e32 v14, 24, v14
	s_wait_xcnt 0x0
	s_delay_alu instid0(VALU_DEP_1) | instskip(NEXT) | instid1(VALU_DEP_1)
	v_and_b32_e32 v16, 0x7f000000, v14
	v_clz_i32_u32_e32 v17, v16
	v_add_nc_u32_e32 v20, 0x1000000, v16
	v_cmp_ne_u32_e32 vcc_lo, 0, v16
	s_delay_alu instid0(VALU_DEP_3) | instskip(NEXT) | instid1(VALU_DEP_1)
	v_min_u32_e32 v17, 32, v17
	v_sub_nc_u32_e64 v17, v17, 4 clamp
	s_delay_alu instid0(VALU_DEP_1) | instskip(NEXT) | instid1(VALU_DEP_1)
	v_dual_lshlrev_b32 v19, v17, v16 :: v_dual_lshlrev_b32 v17, 23, v17
	v_lshrrev_b32_e32 v19, 4, v19
	s_delay_alu instid0(VALU_DEP_1) | instskip(NEXT) | instid1(VALU_DEP_1)
	v_dual_sub_nc_u32 v17, v19, v17 :: v_dual_ashrrev_i32 v19, 8, v20
	v_add_nc_u32_e32 v17, 0x3c000000, v17
	s_delay_alu instid0(VALU_DEP_1) | instskip(NEXT) | instid1(VALU_DEP_1)
	v_and_or_b32 v17, 0x7f800000, v19, v17
	v_cndmask_b32_e32 v16, 0, v17, vcc_lo
	s_delay_alu instid0(VALU_DEP_1)
	v_and_or_b32 v14, 0x80000000, v14, v16
.LBB14_2825:                            ;   in Loop: Header=BB14_17 Depth=1
	s_or_b32 exec_lo, exec_lo, s59
                                        ; implicit-def: $vgpr16_vgpr17
.LBB14_2826:                            ;   in Loop: Header=BB14_17 Depth=1
	s_and_not1_saveexec_b32 s58, s58
	s_cbranch_execz .LBB14_2828
; %bb.2827:                             ;   in Loop: Header=BB14_17 Depth=1
	flat_load_u8 v14, v[16:17]
	s_wait_loadcnt_dscnt 0x0
	v_lshlrev_b32_e32 v16, 25, v14
	v_lshlrev_b16 v14, 8, v14
	s_delay_alu instid0(VALU_DEP_1) | instskip(SKIP_1) | instid1(VALU_DEP_2)
	v_and_or_b32 v19, 0x7f00, v14, 0.5
	v_bfe_i32 v14, v14, 0, 16
	v_dual_add_f32 v19, -0.5, v19 :: v_dual_lshrrev_b32 v17, 4, v16
	v_cmp_gt_u32_e32 vcc_lo, 0x8000000, v16
	s_delay_alu instid0(VALU_DEP_2) | instskip(NEXT) | instid1(VALU_DEP_1)
	v_or_b32_e32 v17, 0x70000000, v17
	v_mul_f32_e32 v17, 0x7800000, v17
	s_delay_alu instid0(VALU_DEP_1) | instskip(NEXT) | instid1(VALU_DEP_1)
	v_cndmask_b32_e32 v16, v17, v19, vcc_lo
	v_and_or_b32 v14, 0x80000000, v14, v16
.LBB14_2828:                            ;   in Loop: Header=BB14_17 Depth=1
	s_or_b32 exec_lo, exec_lo, s58
	s_delay_alu instid0(SALU_CYCLE_1)
	s_or_b32 s58, s56, exec_lo
                                        ; implicit-def: $vgpr19
                                        ; implicit-def: $vgpr16_vgpr17
.LBB14_2829:                            ;   in Loop: Header=BB14_17 Depth=1
	s_and_not1_saveexec_b32 s57, s57
	s_cbranch_execz .LBB14_2839
; %bb.2830:                             ;   in Loop: Header=BB14_17 Depth=1
	s_mov_b32 s59, s58
	s_mov_b32 s60, exec_lo
                                        ; implicit-def: $vgpr14
	v_cmpx_lt_i16_e32 14, v19
	s_xor_b32 s60, exec_lo, s60
	s_cbranch_execz .LBB14_2834
; %bb.2831:                             ;   in Loop: Header=BB14_17 Depth=1
	s_mov_b32 s59, s58
	s_mov_b32 s61, exec_lo
                                        ; implicit-def: $vgpr14
	v_cmpx_eq_u16_e32 15, v19
	s_cbranch_execz .LBB14_2833
; %bb.2832:                             ;   in Loop: Header=BB14_17 Depth=1
	flat_load_u16 v14, v[16:17]
	s_or_b32 s59, s58, exec_lo
	s_wait_loadcnt_dscnt 0x0
	v_lshlrev_b32_e32 v14, 16, v14
.LBB14_2833:                            ;   in Loop: Header=BB14_17 Depth=1
	s_wait_xcnt 0x0
	s_or_b32 exec_lo, exec_lo, s61
	s_delay_alu instid0(SALU_CYCLE_1) | instskip(SKIP_1) | instid1(SALU_CYCLE_1)
	s_and_not1_b32 s61, s58, exec_lo
	s_and_b32 s59, s59, exec_lo
                                        ; implicit-def: $vgpr19
                                        ; implicit-def: $vgpr16_vgpr17
	s_or_b32 s59, s61, s59
.LBB14_2834:                            ;   in Loop: Header=BB14_17 Depth=1
	s_and_not1_saveexec_b32 s60, s60
	s_cbranch_execz .LBB14_2838
; %bb.2835:                             ;   in Loop: Header=BB14_17 Depth=1
	s_mov_b32 s61, s59
	s_mov_b32 s62, exec_lo
                                        ; implicit-def: $vgpr14
	v_cmpx_eq_u16_e32 11, v19
	s_cbranch_execz .LBB14_2837
; %bb.2836:                             ;   in Loop: Header=BB14_17 Depth=1
	flat_load_u8 v14, v[16:17]
	s_or_b32 s61, s59, exec_lo
	s_wait_loadcnt_dscnt 0x0
	v_cmp_ne_u16_e32 vcc_lo, 0, v14
	v_cndmask_b32_e64 v14, 0, 1.0, vcc_lo
.LBB14_2837:                            ;   in Loop: Header=BB14_17 Depth=1
	s_wait_xcnt 0x0
	s_or_b32 exec_lo, exec_lo, s62
	s_delay_alu instid0(SALU_CYCLE_1) | instskip(SKIP_1) | instid1(SALU_CYCLE_1)
	s_and_not1_b32 s59, s59, exec_lo
	s_and_b32 s61, s61, exec_lo
	s_or_b32 s59, s59, s61
.LBB14_2838:                            ;   in Loop: Header=BB14_17 Depth=1
	s_or_b32 exec_lo, exec_lo, s60
	s_delay_alu instid0(SALU_CYCLE_1) | instskip(SKIP_1) | instid1(SALU_CYCLE_1)
	s_and_not1_b32 s58, s58, exec_lo
	s_and_b32 s59, s59, exec_lo
	s_or_b32 s58, s58, s59
.LBB14_2839:                            ;   in Loop: Header=BB14_17 Depth=1
	s_or_b32 exec_lo, exec_lo, s57
	s_delay_alu instid0(SALU_CYCLE_1) | instskip(SKIP_1) | instid1(SALU_CYCLE_1)
	s_and_not1_b32 s56, s56, exec_lo
	s_and_b32 s57, s58, exec_lo
	s_or_b32 s56, s56, s57
.LBB14_2840:                            ;   in Loop: Header=BB14_17 Depth=1
	s_or_b32 exec_lo, exec_lo, s47
	s_delay_alu instid0(SALU_CYCLE_1)
	s_and_b32 s47, s56, exec_lo
                                        ; implicit-def: $vgpr19
                                        ; implicit-def: $vgpr16_vgpr17
	s_and_not1_saveexec_b32 s43, s43
	s_cbranch_execz .LBB14_1122
.LBB14_2841:                            ;   in Loop: Header=BB14_17 Depth=1
	s_mov_b32 s56, exec_lo
                                        ; implicit-def: $vgpr14
	v_cmpx_lt_i16_e32 4, v19
	s_xor_b32 s56, exec_lo, s56
	s_cbranch_execz .LBB14_2863
; %bb.2842:                             ;   in Loop: Header=BB14_17 Depth=1
	s_mov_b32 s57, exec_lo
                                        ; implicit-def: $vgpr14
	v_cmpx_lt_i16_e32 7, v19
	s_xor_b32 s57, exec_lo, s57
	s_cbranch_execz .LBB14_2852
; %bb.2843:                             ;   in Loop: Header=BB14_17 Depth=1
	;; [unrolled: 6-line block ×4, first 2 shown]
	flat_load_b64 v[16:17], v[16:17]
	s_wait_loadcnt_dscnt 0x0
	v_cvt_f32_f64_e32 v14, v[16:17]
                                        ; implicit-def: $vgpr16_vgpr17
.LBB14_2846:                            ;   in Loop: Header=BB14_17 Depth=1
	s_wait_xcnt 0x0
	s_and_not1_saveexec_b32 s59, s59
	s_cbranch_execz .LBB14_2848
; %bb.2847:                             ;   in Loop: Header=BB14_17 Depth=1
	flat_load_b32 v14, v[16:17]
.LBB14_2848:                            ;   in Loop: Header=BB14_17 Depth=1
	s_wait_xcnt 0x0
	s_or_b32 exec_lo, exec_lo, s59
                                        ; implicit-def: $vgpr16_vgpr17
.LBB14_2849:                            ;   in Loop: Header=BB14_17 Depth=1
	s_and_not1_saveexec_b32 s58, s58
	s_cbranch_execz .LBB14_2851
; %bb.2850:                             ;   in Loop: Header=BB14_17 Depth=1
	s_wait_loadcnt_dscnt 0x0
	flat_load_b32 v14, v[16:17]
	s_wait_loadcnt_dscnt 0x0
	v_cvt_f32_f16_e32 v14, v14
.LBB14_2851:                            ;   in Loop: Header=BB14_17 Depth=1
	s_wait_xcnt 0x0
	s_or_b32 exec_lo, exec_lo, s58
                                        ; implicit-def: $vgpr16_vgpr17
                                        ; implicit-def: $vgpr19
.LBB14_2852:                            ;   in Loop: Header=BB14_17 Depth=1
	s_and_not1_saveexec_b32 s57, s57
	s_cbranch_execz .LBB14_2862
; %bb.2853:                             ;   in Loop: Header=BB14_17 Depth=1
	s_mov_b32 s58, exec_lo
                                        ; implicit-def: $vgpr14
	v_cmpx_lt_i16_e32 5, v19
	s_xor_b32 s58, exec_lo, s58
	s_cbranch_execz .LBB14_2859
; %bb.2854:                             ;   in Loop: Header=BB14_17 Depth=1
	s_mov_b32 s59, exec_lo
                                        ; implicit-def: $vgpr14
	v_cmpx_lt_i16_e32 6, v19
	s_xor_b32 s59, exec_lo, s59
	s_cbranch_execz .LBB14_2856
; %bb.2855:                             ;   in Loop: Header=BB14_17 Depth=1
	flat_load_b64 v[16:17], v[16:17]
	s_wait_loadcnt_dscnt 0x0
	v_cvt_f32_f64_e32 v14, v[16:17]
                                        ; implicit-def: $vgpr16_vgpr17
.LBB14_2856:                            ;   in Loop: Header=BB14_17 Depth=1
	s_wait_xcnt 0x0
	s_and_not1_saveexec_b32 s59, s59
	s_cbranch_execz .LBB14_2858
; %bb.2857:                             ;   in Loop: Header=BB14_17 Depth=1
	s_wait_loadcnt_dscnt 0x0
	flat_load_b32 v14, v[16:17]
.LBB14_2858:                            ;   in Loop: Header=BB14_17 Depth=1
	s_wait_xcnt 0x0
	s_or_b32 exec_lo, exec_lo, s59
                                        ; implicit-def: $vgpr16_vgpr17
.LBB14_2859:                            ;   in Loop: Header=BB14_17 Depth=1
	s_and_not1_saveexec_b32 s58, s58
	s_cbranch_execz .LBB14_2861
; %bb.2860:                             ;   in Loop: Header=BB14_17 Depth=1
	s_wait_loadcnt_dscnt 0x0
	flat_load_u16 v14, v[16:17]
	s_wait_loadcnt_dscnt 0x0
	v_cvt_f32_f16_e32 v14, v14
.LBB14_2861:                            ;   in Loop: Header=BB14_17 Depth=1
	s_wait_xcnt 0x0
	s_or_b32 exec_lo, exec_lo, s58
.LBB14_2862:                            ;   in Loop: Header=BB14_17 Depth=1
	s_delay_alu instid0(SALU_CYCLE_1)
	s_or_b32 exec_lo, exec_lo, s57
                                        ; implicit-def: $vgpr19
                                        ; implicit-def: $vgpr16_vgpr17
.LBB14_2863:                            ;   in Loop: Header=BB14_17 Depth=1
	s_and_not1_saveexec_b32 s56, s56
	s_cbranch_execz .LBB14_2881
; %bb.2864:                             ;   in Loop: Header=BB14_17 Depth=1
	s_mov_b32 s57, exec_lo
                                        ; implicit-def: $vgpr14
	v_cmpx_lt_i16_e32 1, v19
	s_xor_b32 s57, exec_lo, s57
	s_cbranch_execz .LBB14_2874
; %bb.2865:                             ;   in Loop: Header=BB14_17 Depth=1
	s_mov_b32 s58, exec_lo
                                        ; implicit-def: $vgpr14
	v_cmpx_lt_i16_e32 2, v19
	s_xor_b32 s58, exec_lo, s58
	;; [unrolled: 6-line block ×3, first 2 shown]
	s_cbranch_execz .LBB14_2868
; %bb.2867:                             ;   in Loop: Header=BB14_17 Depth=1
	flat_load_b64 v[16:17], v[16:17]
	s_wait_loadcnt_dscnt 0x0
	v_xor_b32_e32 v14, v16, v17
	v_cls_i32_e32 v19, v17
	s_delay_alu instid0(VALU_DEP_2) | instskip(NEXT) | instid1(VALU_DEP_1)
	v_ashrrev_i32_e32 v14, 31, v14
	v_add_nc_u32_e32 v14, 32, v14
	s_delay_alu instid0(VALU_DEP_1) | instskip(SKIP_1) | instid1(VALU_DEP_1)
	v_add_min_u32_e64 v14, v19, -1, v14
	s_wait_xcnt 0x0
	v_lshlrev_b64_e32 v[16:17], v14, v[16:17]
	v_sub_nc_u32_e32 v14, 32, v14
	s_delay_alu instid0(VALU_DEP_2) | instskip(NEXT) | instid1(VALU_DEP_1)
	v_min_u32_e32 v16, 1, v16
	v_or_b32_e32 v16, v17, v16
	s_delay_alu instid0(VALU_DEP_1) | instskip(NEXT) | instid1(VALU_DEP_1)
	v_cvt_f32_i32_e32 v16, v16
	v_ldexp_f32 v14, v16, v14
                                        ; implicit-def: $vgpr16_vgpr17
.LBB14_2868:                            ;   in Loop: Header=BB14_17 Depth=1
	s_and_not1_saveexec_b32 s59, s59
	s_cbranch_execz .LBB14_2870
; %bb.2869:                             ;   in Loop: Header=BB14_17 Depth=1
	s_wait_loadcnt_dscnt 0x0
	flat_load_b32 v14, v[16:17]
	s_wait_loadcnt_dscnt 0x0
	v_cvt_f32_i32_e32 v14, v14
.LBB14_2870:                            ;   in Loop: Header=BB14_17 Depth=1
	s_wait_xcnt 0x0
	s_or_b32 exec_lo, exec_lo, s59
                                        ; implicit-def: $vgpr16_vgpr17
.LBB14_2871:                            ;   in Loop: Header=BB14_17 Depth=1
	s_and_not1_saveexec_b32 s58, s58
	s_cbranch_execz .LBB14_2873
; %bb.2872:                             ;   in Loop: Header=BB14_17 Depth=1
	s_wait_loadcnt_dscnt 0x0
	flat_load_i16 v14, v[16:17]
	s_wait_loadcnt_dscnt 0x0
	v_cvt_f32_i32_e32 v14, v14
.LBB14_2873:                            ;   in Loop: Header=BB14_17 Depth=1
	s_wait_xcnt 0x0
	s_or_b32 exec_lo, exec_lo, s58
                                        ; implicit-def: $vgpr16_vgpr17
                                        ; implicit-def: $vgpr19
.LBB14_2874:                            ;   in Loop: Header=BB14_17 Depth=1
	s_and_not1_saveexec_b32 s57, s57
	s_cbranch_execz .LBB14_2880
; %bb.2875:                             ;   in Loop: Header=BB14_17 Depth=1
	s_mov_b32 s58, exec_lo
                                        ; implicit-def: $vgpr14
	v_cmpx_lt_i16_e32 0, v19
	s_xor_b32 s58, exec_lo, s58
	s_cbranch_execz .LBB14_2877
; %bb.2876:                             ;   in Loop: Header=BB14_17 Depth=1
	s_wait_loadcnt_dscnt 0x0
	flat_load_i8 v14, v[16:17]
                                        ; implicit-def: $vgpr16_vgpr17
	s_wait_loadcnt_dscnt 0x0
	v_cvt_f32_i32_e32 v14, v14
.LBB14_2877:                            ;   in Loop: Header=BB14_17 Depth=1
	s_wait_xcnt 0x0
	s_and_not1_saveexec_b32 s58, s58
	s_cbranch_execz .LBB14_2879
; %bb.2878:                             ;   in Loop: Header=BB14_17 Depth=1
	s_wait_loadcnt_dscnt 0x0
	flat_load_u8 v14, v[16:17]
	s_wait_loadcnt_dscnt 0x0
	v_cvt_f32_ubyte0_e32 v14, v14
.LBB14_2879:                            ;   in Loop: Header=BB14_17 Depth=1
	s_wait_xcnt 0x0
	s_or_b32 exec_lo, exec_lo, s58
.LBB14_2880:                            ;   in Loop: Header=BB14_17 Depth=1
	s_delay_alu instid0(SALU_CYCLE_1)
	s_or_b32 exec_lo, exec_lo, s57
.LBB14_2881:                            ;   in Loop: Header=BB14_17 Depth=1
	s_delay_alu instid0(SALU_CYCLE_1) | instskip(NEXT) | instid1(SALU_CYCLE_1)
	s_or_b32 exec_lo, exec_lo, s56
	s_or_b32 s47, s47, exec_lo
	s_or_b32 exec_lo, exec_lo, s43
	s_mov_b32 s56, 0
	s_and_saveexec_b32 s43, s47
	s_cbranch_execnz .LBB14_1123
	s_branch .LBB14_1124
.LBB14_2882:                            ;   in Loop: Header=BB14_17 Depth=1
	s_mov_b32 s27, -1
	s_mov_b32 s29, exec_lo
	v_cmpx_eq_u16_e32 0x80, v16
; %bb.2883:                             ;   in Loop: Header=BB14_17 Depth=1
	s_xor_b32 s27, exec_lo, -1
; %bb.2884:                             ;   in Loop: Header=BB14_17 Depth=1
	s_or_b32 exec_lo, exec_lo, s29
	s_delay_alu instid0(SALU_CYCLE_1)
	s_and_b32 s27, s27, exec_lo
	s_or_saveexec_b32 s28, s28
	v_mov_b32_e32 v14, 0x7f800001
	s_xor_b32 exec_lo, exec_lo, s28
	s_cbranch_execz .LBB14_2244
.LBB14_2885:                            ;   in Loop: Header=BB14_17 Depth=1
	v_cmp_ne_u16_e32 vcc_lo, 0, v16
	v_mov_b32_e32 v14, 0
	s_and_not1_b32 s27, s27, exec_lo
	s_and_b32 s29, vcc_lo, exec_lo
	s_delay_alu instid0(SALU_CYCLE_1)
	s_or_b32 s27, s27, s29
	s_or_b32 exec_lo, exec_lo, s28
	s_and_saveexec_b32 s28, s27
	s_cbranch_execnz .LBB14_2245
	s_branch .LBB14_2246
.LBB14_2886:                            ;   in Loop: Header=BB14_17 Depth=1
	s_mov_b32 s29, -1
	s_mov_b32 s41, exec_lo
	v_cmpx_eq_u16_e32 0x80, v16
; %bb.2887:                             ;   in Loop: Header=BB14_17 Depth=1
	s_xor_b32 s29, exec_lo, -1
; %bb.2888:                             ;   in Loop: Header=BB14_17 Depth=1
	s_or_b32 exec_lo, exec_lo, s41
	s_delay_alu instid0(SALU_CYCLE_1)
	s_and_b32 s29, s29, exec_lo
	s_or_saveexec_b32 s40, s40
	v_mov_b32_e32 v14, 0x7f800001
	s_xor_b32 exec_lo, exec_lo, s40
	s_cbranch_execz .LBB14_2345
.LBB14_2889:                            ;   in Loop: Header=BB14_17 Depth=1
	v_cmp_ne_u16_e32 vcc_lo, 0, v16
	v_mov_b32_e32 v14, 0
	s_and_not1_b32 s29, s29, exec_lo
	s_and_b32 s41, vcc_lo, exec_lo
	s_delay_alu instid0(SALU_CYCLE_1)
	s_or_b32 s29, s29, s41
	s_or_b32 exec_lo, exec_lo, s40
	s_and_saveexec_b32 s40, s29
	s_cbranch_execnz .LBB14_2346
	s_branch .LBB14_2347
.LBB14_2890:                            ;   in Loop: Header=BB14_17 Depth=1
	s_mov_b32 s41, -1
	s_mov_b32 s43, exec_lo
	v_cmpx_eq_u16_e32 0x80, v16
; %bb.2891:                             ;   in Loop: Header=BB14_17 Depth=1
	s_xor_b32 s41, exec_lo, -1
; %bb.2892:                             ;   in Loop: Header=BB14_17 Depth=1
	s_or_b32 exec_lo, exec_lo, s43
	s_delay_alu instid0(SALU_CYCLE_1)
	s_and_b32 s41, s41, exec_lo
	s_or_saveexec_b32 s42, s42
	v_mov_b32_e32 v14, 0x7f800001
	s_xor_b32 exec_lo, exec_lo, s42
	s_cbranch_execz .LBB14_723
.LBB14_2893:                            ;   in Loop: Header=BB14_17 Depth=1
	v_cmp_ne_u16_e32 vcc_lo, 0, v16
	v_mov_b32_e32 v14, 0
	s_and_not1_b32 s41, s41, exec_lo
	s_and_b32 s43, vcc_lo, exec_lo
	s_delay_alu instid0(SALU_CYCLE_1)
	s_or_b32 s41, s41, s43
	s_or_b32 exec_lo, exec_lo, s42
	s_and_saveexec_b32 s42, s41
	s_cbranch_execnz .LBB14_724
	s_branch .LBB14_725
.LBB14_2894:                            ;   in Loop: Header=BB14_17 Depth=1
	s_mov_b32 s43, -1
	s_mov_b32 s45, exec_lo
	v_cmpx_eq_u16_e32 0x80, v16
; %bb.2895:                             ;   in Loop: Header=BB14_17 Depth=1
	s_xor_b32 s43, exec_lo, -1
; %bb.2896:                             ;   in Loop: Header=BB14_17 Depth=1
	s_or_b32 exec_lo, exec_lo, s45
	s_delay_alu instid0(SALU_CYCLE_1)
	s_and_b32 s43, s43, exec_lo
	s_or_saveexec_b32 s44, s44
	v_mov_b32_e32 v14, 0x7f800001
	s_xor_b32 exec_lo, exec_lo, s44
	s_cbranch_execz .LBB14_823
.LBB14_2897:                            ;   in Loop: Header=BB14_17 Depth=1
	v_cmp_ne_u16_e32 vcc_lo, 0, v16
	v_mov_b32_e32 v14, 0
	s_and_not1_b32 s43, s43, exec_lo
	s_and_b32 s45, vcc_lo, exec_lo
	s_delay_alu instid0(SALU_CYCLE_1)
	s_or_b32 s43, s43, s45
	s_or_b32 exec_lo, exec_lo, s44
	s_and_saveexec_b32 s44, s43
	s_cbranch_execnz .LBB14_824
	s_branch .LBB14_825
.LBB14_2898:                            ;   in Loop: Header=BB14_17 Depth=1
	s_mov_b32 s58, exec_lo
                                        ; implicit-def: $vgpr14
	v_cmpx_lt_i16_e32 25, v19
	s_xor_b32 s58, exec_lo, s58
	s_cbranch_execz .LBB14_2930
; %bb.2899:                             ;   in Loop: Header=BB14_17 Depth=1
	s_mov_b32 s60, exec_lo
                                        ; implicit-def: $vgpr14
	v_cmpx_lt_i16_e32 28, v19
	s_xor_b32 s60, exec_lo, s60
	s_cbranch_execz .LBB14_2915
; %bb.2900:                             ;   in Loop: Header=BB14_17 Depth=1
	s_mov_b32 s61, 0
	s_mov_b32 s59, exec_lo
                                        ; implicit-def: $vgpr14
	v_cmpx_lt_i16_e32 43, v19
	s_xor_b32 s59, exec_lo, s59
	s_cbranch_execz .LBB14_2910
; %bb.2901:                             ;   in Loop: Header=BB14_17 Depth=1
	s_mov_b32 s62, exec_lo
                                        ; implicit-def: $vgpr14
	v_cmpx_lt_i16_e32 45, v19
	s_xor_b32 s62, exec_lo, s62
	s_cbranch_execz .LBB14_2905
; %bb.2902:                             ;   in Loop: Header=BB14_17 Depth=1
	s_mov_b32 s63, exec_lo
                                        ; implicit-def: $vgpr14
	v_cmpx_eq_u16_e32 46, v19
	s_cbranch_execz .LBB14_2904
; %bb.2903:                             ;   in Loop: Header=BB14_17 Depth=1
	flat_load_b32 v14, v[16:17]
	s_mov_b32 s61, exec_lo
	s_wait_loadcnt_dscnt 0x0
	v_lshlrev_b32_e32 v14, 16, v14
.LBB14_2904:                            ;   in Loop: Header=BB14_17 Depth=1
	s_wait_xcnt 0x0
	s_or_b32 exec_lo, exec_lo, s63
	s_delay_alu instid0(SALU_CYCLE_1)
	s_and_b32 s61, s61, exec_lo
                                        ; implicit-def: $vgpr19
                                        ; implicit-def: $vgpr16_vgpr17
.LBB14_2905:                            ;   in Loop: Header=BB14_17 Depth=1
	s_and_not1_saveexec_b32 s62, s62
	s_cbranch_execz .LBB14_2909
; %bb.2906:                             ;   in Loop: Header=BB14_17 Depth=1
	s_mov_b32 s72, s61
	s_mov_b32 s63, exec_lo
                                        ; implicit-def: $vgpr14
	v_cmpx_eq_u16_e32 44, v19
	s_cbranch_execz .LBB14_2908
; %bb.2907:                             ;   in Loop: Header=BB14_17 Depth=1
	flat_load_u8 v14, v[16:17]
	s_or_b32 s72, s61, exec_lo
	s_wait_loadcnt_dscnt 0x0
	v_lshlrev_b32_e32 v16, 23, v14
	v_cmp_ne_u32_e32 vcc_lo, 0xff, v14
	s_delay_alu instid0(VALU_DEP_2) | instskip(SKIP_1) | instid1(VALU_DEP_2)
	v_cndmask_b32_e32 v16, 0x7f800001, v16, vcc_lo
	v_cmp_ne_u32_e32 vcc_lo, 0, v14
	v_cndmask_b32_e32 v14, 0x400000, v16, vcc_lo
.LBB14_2908:                            ;   in Loop: Header=BB14_17 Depth=1
	s_or_b32 exec_lo, exec_lo, s63
	s_delay_alu instid0(SALU_CYCLE_1) | instskip(SKIP_1) | instid1(SALU_CYCLE_1)
	s_and_not1_b32 s61, s61, exec_lo
	s_and_b32 s63, s72, exec_lo
	s_or_b32 s61, s61, s63
.LBB14_2909:                            ;   in Loop: Header=BB14_17 Depth=1
	s_or_b32 exec_lo, exec_lo, s62
	s_delay_alu instid0(SALU_CYCLE_1)
	s_and_b32 s61, s61, exec_lo
                                        ; implicit-def: $vgpr19
                                        ; implicit-def: $vgpr16_vgpr17
.LBB14_2910:                            ;   in Loop: Header=BB14_17 Depth=1
	s_and_not1_saveexec_b32 s59, s59
	s_cbranch_execz .LBB14_2914
; %bb.2911:                             ;   in Loop: Header=BB14_17 Depth=1
	s_mov_b32 s63, s61
	s_mov_b32 s62, exec_lo
                                        ; implicit-def: $vgpr14
	v_cmpx_eq_u16_e32 29, v19
	s_cbranch_execz .LBB14_2913
; %bb.2912:                             ;   in Loop: Header=BB14_17 Depth=1
	flat_load_b64 v[16:17], v[16:17]
	s_or_b32 s63, s61, exec_lo
	s_wait_loadcnt_dscnt 0x0
	v_clz_i32_u32_e32 v14, v17
	s_delay_alu instid0(VALU_DEP_1) | instskip(SKIP_1) | instid1(VALU_DEP_1)
	v_min_u32_e32 v14, 32, v14
	s_wait_xcnt 0x0
	v_lshlrev_b64_e32 v[16:17], v14, v[16:17]
	v_sub_nc_u32_e32 v14, 32, v14
	s_delay_alu instid0(VALU_DEP_2) | instskip(NEXT) | instid1(VALU_DEP_1)
	v_min_u32_e32 v16, 1, v16
	v_or_b32_e32 v16, v17, v16
	s_delay_alu instid0(VALU_DEP_1) | instskip(NEXT) | instid1(VALU_DEP_1)
	v_cvt_f32_u32_e32 v16, v16
	v_ldexp_f32 v14, v16, v14
.LBB14_2913:                            ;   in Loop: Header=BB14_17 Depth=1
	s_or_b32 exec_lo, exec_lo, s62
	s_delay_alu instid0(SALU_CYCLE_1) | instskip(SKIP_1) | instid1(SALU_CYCLE_1)
	s_and_not1_b32 s61, s61, exec_lo
	s_and_b32 s62, s63, exec_lo
	s_or_b32 s61, s61, s62
.LBB14_2914:                            ;   in Loop: Header=BB14_17 Depth=1
	s_or_b32 exec_lo, exec_lo, s59
	s_delay_alu instid0(SALU_CYCLE_1)
	s_and_b32 s59, s61, exec_lo
                                        ; implicit-def: $vgpr19
                                        ; implicit-def: $vgpr16_vgpr17
.LBB14_2915:                            ;   in Loop: Header=BB14_17 Depth=1
	s_and_not1_saveexec_b32 s60, s60
	s_cbranch_execz .LBB14_2929
; %bb.2916:                             ;   in Loop: Header=BB14_17 Depth=1
	s_mov_b32 s61, exec_lo
                                        ; implicit-def: $vgpr14
	v_cmpx_lt_i16_e32 26, v19
	s_xor_b32 s61, exec_lo, s61
	s_cbranch_execz .LBB14_2922
; %bb.2917:                             ;   in Loop: Header=BB14_17 Depth=1
	s_mov_b32 s62, exec_lo
                                        ; implicit-def: $vgpr14
	v_cmpx_lt_i16_e32 27, v19
	s_xor_b32 s62, exec_lo, s62
	s_cbranch_execz .LBB14_2919
; %bb.2918:                             ;   in Loop: Header=BB14_17 Depth=1
	flat_load_b32 v14, v[16:17]
                                        ; implicit-def: $vgpr16_vgpr17
	s_wait_loadcnt_dscnt 0x0
	v_cvt_f32_u32_e32 v14, v14
.LBB14_2919:                            ;   in Loop: Header=BB14_17 Depth=1
	s_wait_xcnt 0x0
	s_and_not1_saveexec_b32 s62, s62
	s_cbranch_execz .LBB14_2921
; %bb.2920:                             ;   in Loop: Header=BB14_17 Depth=1
	flat_load_u16 v14, v[16:17]
	s_wait_loadcnt_dscnt 0x0
	v_cvt_f32_u32_e32 v14, v14
.LBB14_2921:                            ;   in Loop: Header=BB14_17 Depth=1
	s_wait_xcnt 0x0
	s_or_b32 exec_lo, exec_lo, s62
                                        ; implicit-def: $vgpr16_vgpr17
.LBB14_2922:                            ;   in Loop: Header=BB14_17 Depth=1
	s_and_not1_saveexec_b32 s61, s61
	s_cbranch_execz .LBB14_2928
; %bb.2923:                             ;   in Loop: Header=BB14_17 Depth=1
	flat_load_u8 v16, v[16:17]
	s_mov_b32 s62, 0
	s_mov_b32 s63, exec_lo
	s_wait_loadcnt_dscnt 0x0
	v_cmpx_lt_i16_e32 0x7f, v16
	s_xor_b32 s63, exec_lo, s63
	s_cbranch_execnz .LBB14_3466
; %bb.2924:                             ;   in Loop: Header=BB14_17 Depth=1
	s_or_saveexec_b32 s63, s63
	v_mov_b32_e32 v14, 0x7f800001
	s_xor_b32 exec_lo, exec_lo, s63
	s_cbranch_execnz .LBB14_3469
.LBB14_2925:                            ;   in Loop: Header=BB14_17 Depth=1
	s_or_b32 exec_lo, exec_lo, s63
	s_and_saveexec_b32 s63, s62
	s_cbranch_execz .LBB14_2927
.LBB14_2926:                            ;   in Loop: Header=BB14_17 Depth=1
	v_and_b32_e32 v14, 0xffff, v16
	s_delay_alu instid0(VALU_DEP_1) | instskip(SKIP_1) | instid1(VALU_DEP_2)
	v_and_b32_e32 v17, 7, v14
	v_bfe_u32 v21, v14, 3, 4
	v_clz_i32_u32_e32 v19, v17
	s_delay_alu instid0(VALU_DEP_2) | instskip(NEXT) | instid1(VALU_DEP_2)
	v_cmp_eq_u32_e32 vcc_lo, 0, v21
	v_min_u32_e32 v19, 32, v19
	s_delay_alu instid0(VALU_DEP_1) | instskip(NEXT) | instid1(VALU_DEP_1)
	v_subrev_nc_u32_e32 v20, 28, v19
	v_dual_lshlrev_b32 v14, v20, v14 :: v_dual_sub_nc_u32 v19, 29, v19
	s_delay_alu instid0(VALU_DEP_1) | instskip(NEXT) | instid1(VALU_DEP_2)
	v_dual_lshlrev_b32 v16, 24, v16 :: v_dual_bitop2_b32 v14, 7, v14 bitop3:0x40
	v_cndmask_b32_e32 v19, v21, v19, vcc_lo
	s_delay_alu instid0(VALU_DEP_2) | instskip(NEXT) | instid1(VALU_DEP_3)
	v_cndmask_b32_e32 v14, v17, v14, vcc_lo
	v_and_b32_e32 v16, 0x80000000, v16
	s_delay_alu instid0(VALU_DEP_3) | instskip(NEXT) | instid1(VALU_DEP_3)
	v_lshl_add_u32 v17, v19, 23, 0x3b800000
	v_lshlrev_b32_e32 v14, 20, v14
	s_delay_alu instid0(VALU_DEP_1)
	v_or3_b32 v14, v16, v17, v14
.LBB14_2927:                            ;   in Loop: Header=BB14_17 Depth=1
	s_or_b32 exec_lo, exec_lo, s63
.LBB14_2928:                            ;   in Loop: Header=BB14_17 Depth=1
	s_delay_alu instid0(SALU_CYCLE_1) | instskip(NEXT) | instid1(SALU_CYCLE_1)
	s_or_b32 exec_lo, exec_lo, s61
	s_or_b32 s59, s59, exec_lo
.LBB14_2929:                            ;   in Loop: Header=BB14_17 Depth=1
	s_or_b32 exec_lo, exec_lo, s60
	s_delay_alu instid0(SALU_CYCLE_1)
	s_and_b32 s59, s59, exec_lo
                                        ; implicit-def: $vgpr19
                                        ; implicit-def: $vgpr16_vgpr17
.LBB14_2930:                            ;   in Loop: Header=BB14_17 Depth=1
	s_and_not1_saveexec_b32 s58, s58
	s_cbranch_execz .LBB14_2956
; %bb.2931:                             ;   in Loop: Header=BB14_17 Depth=1
	s_mov_b32 s61, s59
	s_mov_b32 s60, exec_lo
                                        ; implicit-def: $vgpr14
	v_cmpx_lt_i16_e32 22, v19
	s_xor_b32 s60, exec_lo, s60
	s_cbranch_execz .LBB14_2945
; %bb.2932:                             ;   in Loop: Header=BB14_17 Depth=1
	s_mov_b32 s61, exec_lo
                                        ; implicit-def: $vgpr14
	v_cmpx_lt_i16_e32 23, v19
	s_xor_b32 s61, exec_lo, s61
	s_cbranch_execz .LBB14_2942
; %bb.2933:                             ;   in Loop: Header=BB14_17 Depth=1
	;; [unrolled: 6-line block ×3, first 2 shown]
	flat_load_u8 v16, v[16:17]
	s_mov_b32 s63, 0
	s_mov_b32 s72, exec_lo
	s_wait_loadcnt_dscnt 0x0
	v_cmpx_lt_i16_e32 0x7f, v16
	s_xor_b32 s72, exec_lo, s72
	s_cbranch_execnz .LBB14_3578
; %bb.2935:                             ;   in Loop: Header=BB14_17 Depth=1
	s_or_saveexec_b32 s72, s72
	v_mov_b32_e32 v14, 0x7f800001
	s_xor_b32 exec_lo, exec_lo, s72
	s_cbranch_execnz .LBB14_3581
.LBB14_2936:                            ;   in Loop: Header=BB14_17 Depth=1
	s_or_b32 exec_lo, exec_lo, s72
	s_and_saveexec_b32 s72, s63
	s_cbranch_execz .LBB14_2938
.LBB14_2937:                            ;   in Loop: Header=BB14_17 Depth=1
	v_and_b32_e32 v14, 0xffff, v16
	s_delay_alu instid0(VALU_DEP_1) | instskip(SKIP_1) | instid1(VALU_DEP_2)
	v_and_b32_e32 v17, 3, v14
	v_bfe_u32 v21, v14, 2, 5
	v_clz_i32_u32_e32 v19, v17
	s_delay_alu instid0(VALU_DEP_2) | instskip(NEXT) | instid1(VALU_DEP_2)
	v_cmp_eq_u32_e32 vcc_lo, 0, v21
	v_min_u32_e32 v19, 32, v19
	s_delay_alu instid0(VALU_DEP_1) | instskip(NEXT) | instid1(VALU_DEP_1)
	v_subrev_nc_u32_e32 v20, 29, v19
	v_dual_lshlrev_b32 v14, v20, v14 :: v_dual_sub_nc_u32 v19, 30, v19
	s_delay_alu instid0(VALU_DEP_1) | instskip(NEXT) | instid1(VALU_DEP_2)
	v_dual_lshlrev_b32 v16, 24, v16 :: v_dual_bitop2_b32 v14, 3, v14 bitop3:0x40
	v_cndmask_b32_e32 v19, v21, v19, vcc_lo
	s_delay_alu instid0(VALU_DEP_2) | instskip(NEXT) | instid1(VALU_DEP_3)
	v_cndmask_b32_e32 v14, v17, v14, vcc_lo
	v_and_b32_e32 v16, 0x80000000, v16
	s_delay_alu instid0(VALU_DEP_3) | instskip(NEXT) | instid1(VALU_DEP_3)
	v_lshl_add_u32 v17, v19, 23, 0x37800000
	v_lshlrev_b32_e32 v14, 21, v14
	s_delay_alu instid0(VALU_DEP_1)
	v_or3_b32 v14, v16, v17, v14
.LBB14_2938:                            ;   in Loop: Header=BB14_17 Depth=1
	s_or_b32 exec_lo, exec_lo, s72
                                        ; implicit-def: $vgpr16_vgpr17
.LBB14_2939:                            ;   in Loop: Header=BB14_17 Depth=1
	s_and_not1_saveexec_b32 s62, s62
	s_cbranch_execz .LBB14_2941
; %bb.2940:                             ;   in Loop: Header=BB14_17 Depth=1
	flat_load_u8 v14, v[16:17]
	s_wait_loadcnt_dscnt 0x0
	v_lshlrev_b32_e32 v14, 24, v14
	s_wait_xcnt 0x0
	s_delay_alu instid0(VALU_DEP_1) | instskip(NEXT) | instid1(VALU_DEP_1)
	v_and_b32_e32 v16, 0x7f000000, v14
	v_clz_i32_u32_e32 v17, v16
	v_add_nc_u32_e32 v20, 0x1000000, v16
	v_cmp_ne_u32_e32 vcc_lo, 0, v16
	s_delay_alu instid0(VALU_DEP_3) | instskip(NEXT) | instid1(VALU_DEP_1)
	v_min_u32_e32 v17, 32, v17
	v_sub_nc_u32_e64 v17, v17, 4 clamp
	s_delay_alu instid0(VALU_DEP_1) | instskip(NEXT) | instid1(VALU_DEP_1)
	v_dual_lshlrev_b32 v19, v17, v16 :: v_dual_lshlrev_b32 v17, 23, v17
	v_lshrrev_b32_e32 v19, 4, v19
	s_delay_alu instid0(VALU_DEP_1) | instskip(NEXT) | instid1(VALU_DEP_1)
	v_dual_sub_nc_u32 v17, v19, v17 :: v_dual_ashrrev_i32 v19, 8, v20
	v_add_nc_u32_e32 v17, 0x3c000000, v17
	s_delay_alu instid0(VALU_DEP_1) | instskip(NEXT) | instid1(VALU_DEP_1)
	v_and_or_b32 v17, 0x7f800000, v19, v17
	v_cndmask_b32_e32 v16, 0, v17, vcc_lo
	s_delay_alu instid0(VALU_DEP_1)
	v_and_or_b32 v14, 0x80000000, v14, v16
.LBB14_2941:                            ;   in Loop: Header=BB14_17 Depth=1
	s_or_b32 exec_lo, exec_lo, s62
                                        ; implicit-def: $vgpr16_vgpr17
.LBB14_2942:                            ;   in Loop: Header=BB14_17 Depth=1
	s_and_not1_saveexec_b32 s61, s61
	s_cbranch_execz .LBB14_2944
; %bb.2943:                             ;   in Loop: Header=BB14_17 Depth=1
	flat_load_u8 v14, v[16:17]
	s_wait_loadcnt_dscnt 0x0
	v_lshlrev_b32_e32 v16, 25, v14
	v_lshlrev_b16 v14, 8, v14
	s_delay_alu instid0(VALU_DEP_1) | instskip(SKIP_1) | instid1(VALU_DEP_2)
	v_and_or_b32 v19, 0x7f00, v14, 0.5
	v_bfe_i32 v14, v14, 0, 16
	v_dual_add_f32 v19, -0.5, v19 :: v_dual_lshrrev_b32 v17, 4, v16
	v_cmp_gt_u32_e32 vcc_lo, 0x8000000, v16
	s_delay_alu instid0(VALU_DEP_2) | instskip(NEXT) | instid1(VALU_DEP_1)
	v_or_b32_e32 v17, 0x70000000, v17
	v_mul_f32_e32 v17, 0x7800000, v17
	s_delay_alu instid0(VALU_DEP_1) | instskip(NEXT) | instid1(VALU_DEP_1)
	v_cndmask_b32_e32 v16, v17, v19, vcc_lo
	v_and_or_b32 v14, 0x80000000, v14, v16
.LBB14_2944:                            ;   in Loop: Header=BB14_17 Depth=1
	s_or_b32 exec_lo, exec_lo, s61
	s_delay_alu instid0(SALU_CYCLE_1)
	s_or_b32 s61, s59, exec_lo
                                        ; implicit-def: $vgpr19
                                        ; implicit-def: $vgpr16_vgpr17
.LBB14_2945:                            ;   in Loop: Header=BB14_17 Depth=1
	s_and_not1_saveexec_b32 s60, s60
	s_cbranch_execz .LBB14_2955
; %bb.2946:                             ;   in Loop: Header=BB14_17 Depth=1
	s_mov_b32 s62, s61
	s_mov_b32 s63, exec_lo
                                        ; implicit-def: $vgpr14
	v_cmpx_lt_i16_e32 14, v19
	s_xor_b32 s63, exec_lo, s63
	s_cbranch_execz .LBB14_2950
; %bb.2947:                             ;   in Loop: Header=BB14_17 Depth=1
	s_mov_b32 s62, s61
	s_mov_b32 s72, exec_lo
                                        ; implicit-def: $vgpr14
	v_cmpx_eq_u16_e32 15, v19
	s_cbranch_execz .LBB14_2949
; %bb.2948:                             ;   in Loop: Header=BB14_17 Depth=1
	flat_load_u16 v14, v[16:17]
	s_or_b32 s62, s61, exec_lo
	s_wait_loadcnt_dscnt 0x0
	v_lshlrev_b32_e32 v14, 16, v14
.LBB14_2949:                            ;   in Loop: Header=BB14_17 Depth=1
	s_wait_xcnt 0x0
	s_or_b32 exec_lo, exec_lo, s72
	s_delay_alu instid0(SALU_CYCLE_1) | instskip(SKIP_1) | instid1(SALU_CYCLE_1)
	s_and_not1_b32 s72, s61, exec_lo
	s_and_b32 s62, s62, exec_lo
                                        ; implicit-def: $vgpr19
                                        ; implicit-def: $vgpr16_vgpr17
	s_or_b32 s62, s72, s62
.LBB14_2950:                            ;   in Loop: Header=BB14_17 Depth=1
	s_and_not1_saveexec_b32 s63, s63
	s_cbranch_execz .LBB14_2954
; %bb.2951:                             ;   in Loop: Header=BB14_17 Depth=1
	s_mov_b32 s72, s62
	s_mov_b32 s73, exec_lo
                                        ; implicit-def: $vgpr14
	v_cmpx_eq_u16_e32 11, v19
	s_cbranch_execz .LBB14_2953
; %bb.2952:                             ;   in Loop: Header=BB14_17 Depth=1
	flat_load_u8 v14, v[16:17]
	s_or_b32 s72, s62, exec_lo
	s_wait_loadcnt_dscnt 0x0
	v_cmp_ne_u16_e32 vcc_lo, 0, v14
	v_cndmask_b32_e64 v14, 0, 1.0, vcc_lo
.LBB14_2953:                            ;   in Loop: Header=BB14_17 Depth=1
	s_wait_xcnt 0x0
	s_or_b32 exec_lo, exec_lo, s73
	s_delay_alu instid0(SALU_CYCLE_1) | instskip(SKIP_1) | instid1(SALU_CYCLE_1)
	s_and_not1_b32 s62, s62, exec_lo
	s_and_b32 s72, s72, exec_lo
	s_or_b32 s62, s62, s72
.LBB14_2954:                            ;   in Loop: Header=BB14_17 Depth=1
	s_or_b32 exec_lo, exec_lo, s63
	s_delay_alu instid0(SALU_CYCLE_1) | instskip(SKIP_1) | instid1(SALU_CYCLE_1)
	s_and_not1_b32 s61, s61, exec_lo
	s_and_b32 s62, s62, exec_lo
	s_or_b32 s61, s61, s62
.LBB14_2955:                            ;   in Loop: Header=BB14_17 Depth=1
	s_or_b32 exec_lo, exec_lo, s60
	s_delay_alu instid0(SALU_CYCLE_1) | instskip(SKIP_1) | instid1(SALU_CYCLE_1)
	s_and_not1_b32 s59, s59, exec_lo
	s_and_b32 s60, s61, exec_lo
	s_or_b32 s59, s59, s60
.LBB14_2956:                            ;   in Loop: Header=BB14_17 Depth=1
	s_or_b32 exec_lo, exec_lo, s58
	s_delay_alu instid0(SALU_CYCLE_1)
	s_and_b32 s58, s59, exec_lo
                                        ; implicit-def: $vgpr19
                                        ; implicit-def: $vgpr16_vgpr17
	s_and_not1_saveexec_b32 s46, s46
	s_cbranch_execz .LBB14_1233
.LBB14_2957:                            ;   in Loop: Header=BB14_17 Depth=1
	s_mov_b32 s59, exec_lo
                                        ; implicit-def: $vgpr14
	v_cmpx_lt_i16_e32 4, v19
	s_xor_b32 s59, exec_lo, s59
	s_cbranch_execz .LBB14_2979
; %bb.2958:                             ;   in Loop: Header=BB14_17 Depth=1
	s_mov_b32 s60, exec_lo
                                        ; implicit-def: $vgpr14
	v_cmpx_lt_i16_e32 7, v19
	s_xor_b32 s60, exec_lo, s60
	s_cbranch_execz .LBB14_2968
; %bb.2959:                             ;   in Loop: Header=BB14_17 Depth=1
	;; [unrolled: 6-line block ×4, first 2 shown]
	flat_load_b64 v[16:17], v[16:17]
	s_wait_loadcnt_dscnt 0x0
	v_cvt_f32_f64_e32 v14, v[16:17]
                                        ; implicit-def: $vgpr16_vgpr17
.LBB14_2962:                            ;   in Loop: Header=BB14_17 Depth=1
	s_wait_xcnt 0x0
	s_and_not1_saveexec_b32 s62, s62
	s_cbranch_execz .LBB14_2964
; %bb.2963:                             ;   in Loop: Header=BB14_17 Depth=1
	flat_load_b32 v14, v[16:17]
.LBB14_2964:                            ;   in Loop: Header=BB14_17 Depth=1
	s_wait_xcnt 0x0
	s_or_b32 exec_lo, exec_lo, s62
                                        ; implicit-def: $vgpr16_vgpr17
.LBB14_2965:                            ;   in Loop: Header=BB14_17 Depth=1
	s_and_not1_saveexec_b32 s61, s61
	s_cbranch_execz .LBB14_2967
; %bb.2966:                             ;   in Loop: Header=BB14_17 Depth=1
	s_wait_loadcnt_dscnt 0x0
	flat_load_b32 v14, v[16:17]
	s_wait_loadcnt_dscnt 0x0
	v_cvt_f32_f16_e32 v14, v14
.LBB14_2967:                            ;   in Loop: Header=BB14_17 Depth=1
	s_wait_xcnt 0x0
	s_or_b32 exec_lo, exec_lo, s61
                                        ; implicit-def: $vgpr16_vgpr17
                                        ; implicit-def: $vgpr19
.LBB14_2968:                            ;   in Loop: Header=BB14_17 Depth=1
	s_and_not1_saveexec_b32 s60, s60
	s_cbranch_execz .LBB14_2978
; %bb.2969:                             ;   in Loop: Header=BB14_17 Depth=1
	s_mov_b32 s61, exec_lo
                                        ; implicit-def: $vgpr14
	v_cmpx_lt_i16_e32 5, v19
	s_xor_b32 s61, exec_lo, s61
	s_cbranch_execz .LBB14_2975
; %bb.2970:                             ;   in Loop: Header=BB14_17 Depth=1
	s_mov_b32 s62, exec_lo
                                        ; implicit-def: $vgpr14
	v_cmpx_lt_i16_e32 6, v19
	s_xor_b32 s62, exec_lo, s62
	s_cbranch_execz .LBB14_2972
; %bb.2971:                             ;   in Loop: Header=BB14_17 Depth=1
	flat_load_b64 v[16:17], v[16:17]
	s_wait_loadcnt_dscnt 0x0
	v_cvt_f32_f64_e32 v14, v[16:17]
                                        ; implicit-def: $vgpr16_vgpr17
.LBB14_2972:                            ;   in Loop: Header=BB14_17 Depth=1
	s_wait_xcnt 0x0
	s_and_not1_saveexec_b32 s62, s62
	s_cbranch_execz .LBB14_2974
; %bb.2973:                             ;   in Loop: Header=BB14_17 Depth=1
	s_wait_loadcnt_dscnt 0x0
	flat_load_b32 v14, v[16:17]
.LBB14_2974:                            ;   in Loop: Header=BB14_17 Depth=1
	s_wait_xcnt 0x0
	s_or_b32 exec_lo, exec_lo, s62
                                        ; implicit-def: $vgpr16_vgpr17
.LBB14_2975:                            ;   in Loop: Header=BB14_17 Depth=1
	s_and_not1_saveexec_b32 s61, s61
	s_cbranch_execz .LBB14_2977
; %bb.2976:                             ;   in Loop: Header=BB14_17 Depth=1
	s_wait_loadcnt_dscnt 0x0
	flat_load_u16 v14, v[16:17]
	s_wait_loadcnt_dscnt 0x0
	v_cvt_f32_f16_e32 v14, v14
.LBB14_2977:                            ;   in Loop: Header=BB14_17 Depth=1
	s_wait_xcnt 0x0
	s_or_b32 exec_lo, exec_lo, s61
.LBB14_2978:                            ;   in Loop: Header=BB14_17 Depth=1
	s_delay_alu instid0(SALU_CYCLE_1)
	s_or_b32 exec_lo, exec_lo, s60
                                        ; implicit-def: $vgpr19
                                        ; implicit-def: $vgpr16_vgpr17
.LBB14_2979:                            ;   in Loop: Header=BB14_17 Depth=1
	s_and_not1_saveexec_b32 s59, s59
	s_cbranch_execz .LBB14_2997
; %bb.2980:                             ;   in Loop: Header=BB14_17 Depth=1
	s_mov_b32 s60, exec_lo
                                        ; implicit-def: $vgpr14
	v_cmpx_lt_i16_e32 1, v19
	s_xor_b32 s60, exec_lo, s60
	s_cbranch_execz .LBB14_2990
; %bb.2981:                             ;   in Loop: Header=BB14_17 Depth=1
	s_mov_b32 s61, exec_lo
                                        ; implicit-def: $vgpr14
	v_cmpx_lt_i16_e32 2, v19
	s_xor_b32 s61, exec_lo, s61
	;; [unrolled: 6-line block ×3, first 2 shown]
	s_cbranch_execz .LBB14_2984
; %bb.2983:                             ;   in Loop: Header=BB14_17 Depth=1
	flat_load_b64 v[16:17], v[16:17]
	s_wait_loadcnt_dscnt 0x0
	v_xor_b32_e32 v14, v16, v17
	v_cls_i32_e32 v19, v17
	s_delay_alu instid0(VALU_DEP_2) | instskip(NEXT) | instid1(VALU_DEP_1)
	v_ashrrev_i32_e32 v14, 31, v14
	v_add_nc_u32_e32 v14, 32, v14
	s_delay_alu instid0(VALU_DEP_1) | instskip(SKIP_1) | instid1(VALU_DEP_1)
	v_add_min_u32_e64 v14, v19, -1, v14
	s_wait_xcnt 0x0
	v_lshlrev_b64_e32 v[16:17], v14, v[16:17]
	v_sub_nc_u32_e32 v14, 32, v14
	s_delay_alu instid0(VALU_DEP_2) | instskip(NEXT) | instid1(VALU_DEP_1)
	v_min_u32_e32 v16, 1, v16
	v_or_b32_e32 v16, v17, v16
	s_delay_alu instid0(VALU_DEP_1) | instskip(NEXT) | instid1(VALU_DEP_1)
	v_cvt_f32_i32_e32 v16, v16
	v_ldexp_f32 v14, v16, v14
                                        ; implicit-def: $vgpr16_vgpr17
.LBB14_2984:                            ;   in Loop: Header=BB14_17 Depth=1
	s_and_not1_saveexec_b32 s62, s62
	s_cbranch_execz .LBB14_2986
; %bb.2985:                             ;   in Loop: Header=BB14_17 Depth=1
	s_wait_loadcnt_dscnt 0x0
	flat_load_b32 v14, v[16:17]
	s_wait_loadcnt_dscnt 0x0
	v_cvt_f32_i32_e32 v14, v14
.LBB14_2986:                            ;   in Loop: Header=BB14_17 Depth=1
	s_wait_xcnt 0x0
	s_or_b32 exec_lo, exec_lo, s62
                                        ; implicit-def: $vgpr16_vgpr17
.LBB14_2987:                            ;   in Loop: Header=BB14_17 Depth=1
	s_and_not1_saveexec_b32 s61, s61
	s_cbranch_execz .LBB14_2989
; %bb.2988:                             ;   in Loop: Header=BB14_17 Depth=1
	s_wait_loadcnt_dscnt 0x0
	flat_load_i16 v14, v[16:17]
	s_wait_loadcnt_dscnt 0x0
	v_cvt_f32_i32_e32 v14, v14
.LBB14_2989:                            ;   in Loop: Header=BB14_17 Depth=1
	s_wait_xcnt 0x0
	s_or_b32 exec_lo, exec_lo, s61
                                        ; implicit-def: $vgpr16_vgpr17
                                        ; implicit-def: $vgpr19
.LBB14_2990:                            ;   in Loop: Header=BB14_17 Depth=1
	s_and_not1_saveexec_b32 s60, s60
	s_cbranch_execz .LBB14_2996
; %bb.2991:                             ;   in Loop: Header=BB14_17 Depth=1
	s_mov_b32 s61, exec_lo
                                        ; implicit-def: $vgpr14
	v_cmpx_lt_i16_e32 0, v19
	s_xor_b32 s61, exec_lo, s61
	s_cbranch_execz .LBB14_2993
; %bb.2992:                             ;   in Loop: Header=BB14_17 Depth=1
	s_wait_loadcnt_dscnt 0x0
	flat_load_i8 v14, v[16:17]
                                        ; implicit-def: $vgpr16_vgpr17
	s_wait_loadcnt_dscnt 0x0
	v_cvt_f32_i32_e32 v14, v14
.LBB14_2993:                            ;   in Loop: Header=BB14_17 Depth=1
	s_wait_xcnt 0x0
	s_and_not1_saveexec_b32 s61, s61
	s_cbranch_execz .LBB14_2995
; %bb.2994:                             ;   in Loop: Header=BB14_17 Depth=1
	s_wait_loadcnt_dscnt 0x0
	flat_load_u8 v14, v[16:17]
	s_wait_loadcnt_dscnt 0x0
	v_cvt_f32_ubyte0_e32 v14, v14
.LBB14_2995:                            ;   in Loop: Header=BB14_17 Depth=1
	s_wait_xcnt 0x0
	s_or_b32 exec_lo, exec_lo, s61
.LBB14_2996:                            ;   in Loop: Header=BB14_17 Depth=1
	s_delay_alu instid0(SALU_CYCLE_1)
	s_or_b32 exec_lo, exec_lo, s60
.LBB14_2997:                            ;   in Loop: Header=BB14_17 Depth=1
	s_delay_alu instid0(SALU_CYCLE_1) | instskip(NEXT) | instid1(SALU_CYCLE_1)
	s_or_b32 exec_lo, exec_lo, s59
	s_or_b32 s58, s58, exec_lo
	s_or_b32 exec_lo, exec_lo, s46
	s_mov_b32 s59, 0
	s_and_saveexec_b32 s46, s58
	s_cbranch_execnz .LBB14_1234
	s_branch .LBB14_1235
.LBB14_2998:                            ;   in Loop: Header=BB14_17 Depth=1
	s_mov_b32 s40, -1
	s_mov_b32 s42, exec_lo
	v_cmpx_eq_u16_e32 0x80, v16
; %bb.2999:                             ;   in Loop: Header=BB14_17 Depth=1
	s_xor_b32 s40, exec_lo, -1
; %bb.3000:                             ;   in Loop: Header=BB14_17 Depth=1
	s_or_b32 exec_lo, exec_lo, s42
	s_delay_alu instid0(SALU_CYCLE_1)
	s_and_b32 s40, s40, exec_lo
	s_or_saveexec_b32 s41, s41
	v_mov_b32_e32 v14, 0x7f800001
	s_xor_b32 exec_lo, exec_lo, s41
	s_cbranch_execz .LBB14_2356
.LBB14_3001:                            ;   in Loop: Header=BB14_17 Depth=1
	v_cmp_ne_u16_e32 vcc_lo, 0, v16
	v_mov_b32_e32 v14, 0
	s_and_not1_b32 s40, s40, exec_lo
	s_and_b32 s42, vcc_lo, exec_lo
	s_delay_alu instid0(SALU_CYCLE_1)
	s_or_b32 s40, s40, s42
	s_or_b32 exec_lo, exec_lo, s41
	s_and_saveexec_b32 s41, s40
	s_cbranch_execnz .LBB14_2357
	s_branch .LBB14_2358
.LBB14_3002:                            ;   in Loop: Header=BB14_17 Depth=1
	s_mov_b32 s42, -1
	s_mov_b32 s44, exec_lo
	v_cmpx_eq_u16_e32 0x80, v16
; %bb.3003:                             ;   in Loop: Header=BB14_17 Depth=1
	s_xor_b32 s42, exec_lo, -1
; %bb.3004:                             ;   in Loop: Header=BB14_17 Depth=1
	s_or_b32 exec_lo, exec_lo, s44
	s_delay_alu instid0(SALU_CYCLE_1)
	s_and_b32 s42, s42, exec_lo
	s_or_saveexec_b32 s43, s43
	v_mov_b32_e32 v14, 0x7f800001
	s_xor_b32 exec_lo, exec_lo, s43
	s_cbranch_execz .LBB14_2461
.LBB14_3005:                            ;   in Loop: Header=BB14_17 Depth=1
	v_cmp_ne_u16_e32 vcc_lo, 0, v16
	v_mov_b32_e32 v14, 0
	s_and_not1_b32 s42, s42, exec_lo
	s_and_b32 s44, vcc_lo, exec_lo
	s_delay_alu instid0(SALU_CYCLE_1)
	s_or_b32 s42, s42, s44
	s_or_b32 exec_lo, exec_lo, s43
	s_and_saveexec_b32 s43, s42
	s_cbranch_execnz .LBB14_2462
	s_branch .LBB14_2463
.LBB14_3006:                            ;   in Loop: Header=BB14_17 Depth=1
	s_mov_b32 s44, -1
	s_mov_b32 s46, exec_lo
	v_cmpx_eq_u16_e32 0x80, v16
; %bb.3007:                             ;   in Loop: Header=BB14_17 Depth=1
	s_xor_b32 s44, exec_lo, -1
; %bb.3008:                             ;   in Loop: Header=BB14_17 Depth=1
	s_or_b32 exec_lo, exec_lo, s46
	s_delay_alu instid0(SALU_CYCLE_1)
	s_and_b32 s44, s44, exec_lo
	s_or_saveexec_b32 s45, s45
	v_mov_b32_e32 v14, 0x7f800001
	s_xor_b32 exec_lo, exec_lo, s45
	s_cbranch_execz .LBB14_834
.LBB14_3009:                            ;   in Loop: Header=BB14_17 Depth=1
	v_cmp_ne_u16_e32 vcc_lo, 0, v16
	v_mov_b32_e32 v14, 0
	s_and_not1_b32 s44, s44, exec_lo
	s_and_b32 s46, vcc_lo, exec_lo
	s_delay_alu instid0(SALU_CYCLE_1)
	s_or_b32 s44, s44, s46
	s_or_b32 exec_lo, exec_lo, s45
	s_and_saveexec_b32 s45, s44
	s_cbranch_execnz .LBB14_835
	s_branch .LBB14_836
.LBB14_3010:                            ;   in Loop: Header=BB14_17 Depth=1
	s_mov_b32 s46, -1
	s_mov_b32 s56, exec_lo
	v_cmpx_eq_u16_e32 0x80, v16
; %bb.3011:                             ;   in Loop: Header=BB14_17 Depth=1
	s_xor_b32 s46, exec_lo, -1
; %bb.3012:                             ;   in Loop: Header=BB14_17 Depth=1
	s_or_b32 exec_lo, exec_lo, s56
	s_delay_alu instid0(SALU_CYCLE_1)
	s_and_b32 s46, s46, exec_lo
	s_or_saveexec_b32 s47, s47
	v_mov_b32_e32 v14, 0x7f800001
	s_xor_b32 exec_lo, exec_lo, s47
	s_cbranch_execz .LBB14_934
.LBB14_3013:                            ;   in Loop: Header=BB14_17 Depth=1
	v_cmp_ne_u16_e32 vcc_lo, 0, v16
	v_mov_b32_e32 v14, 0
	s_and_not1_b32 s46, s46, exec_lo
	s_and_b32 s56, vcc_lo, exec_lo
	s_delay_alu instid0(SALU_CYCLE_1)
	s_or_b32 s46, s46, s56
	s_or_b32 exec_lo, exec_lo, s47
	s_and_saveexec_b32 s47, s46
	s_cbranch_execnz .LBB14_935
	s_branch .LBB14_936
.LBB14_3014:                            ;   in Loop: Header=BB14_17 Depth=1
	s_mov_b32 s61, exec_lo
                                        ; implicit-def: $vgpr14
	v_cmpx_lt_i16_e32 25, v19
	s_xor_b32 s61, exec_lo, s61
	s_cbranch_execz .LBB14_3046
; %bb.3015:                             ;   in Loop: Header=BB14_17 Depth=1
	s_mov_b32 s63, exec_lo
                                        ; implicit-def: $vgpr14
	v_cmpx_lt_i16_e32 28, v19
	s_xor_b32 s63, exec_lo, s63
	s_cbranch_execz .LBB14_3031
; %bb.3016:                             ;   in Loop: Header=BB14_17 Depth=1
	s_mov_b32 s72, 0
	s_mov_b32 s62, exec_lo
                                        ; implicit-def: $vgpr14
	v_cmpx_lt_i16_e32 43, v19
	s_xor_b32 s62, exec_lo, s62
	s_cbranch_execz .LBB14_3026
; %bb.3017:                             ;   in Loop: Header=BB14_17 Depth=1
	s_mov_b32 s73, exec_lo
                                        ; implicit-def: $vgpr14
	v_cmpx_lt_i16_e32 45, v19
	s_xor_b32 s73, exec_lo, s73
	s_cbranch_execz .LBB14_3021
; %bb.3018:                             ;   in Loop: Header=BB14_17 Depth=1
	s_mov_b32 s74, exec_lo
                                        ; implicit-def: $vgpr14
	v_cmpx_eq_u16_e32 46, v19
	s_cbranch_execz .LBB14_3020
; %bb.3019:                             ;   in Loop: Header=BB14_17 Depth=1
	flat_load_b32 v14, v[16:17]
	s_mov_b32 s72, exec_lo
	s_wait_loadcnt_dscnt 0x0
	v_lshlrev_b32_e32 v14, 16, v14
.LBB14_3020:                            ;   in Loop: Header=BB14_17 Depth=1
	s_wait_xcnt 0x0
	s_or_b32 exec_lo, exec_lo, s74
	s_delay_alu instid0(SALU_CYCLE_1)
	s_and_b32 s72, s72, exec_lo
                                        ; implicit-def: $vgpr19
                                        ; implicit-def: $vgpr16_vgpr17
.LBB14_3021:                            ;   in Loop: Header=BB14_17 Depth=1
	s_and_not1_saveexec_b32 s73, s73
	s_cbranch_execz .LBB14_3025
; %bb.3022:                             ;   in Loop: Header=BB14_17 Depth=1
	s_mov_b32 s75, s72
	s_mov_b32 s74, exec_lo
                                        ; implicit-def: $vgpr14
	v_cmpx_eq_u16_e32 44, v19
	s_cbranch_execz .LBB14_3024
; %bb.3023:                             ;   in Loop: Header=BB14_17 Depth=1
	flat_load_u8 v14, v[16:17]
	s_or_b32 s75, s72, exec_lo
	s_wait_loadcnt_dscnt 0x0
	v_lshlrev_b32_e32 v16, 23, v14
	v_cmp_ne_u32_e32 vcc_lo, 0xff, v14
	s_delay_alu instid0(VALU_DEP_2) | instskip(SKIP_1) | instid1(VALU_DEP_2)
	v_cndmask_b32_e32 v16, 0x7f800001, v16, vcc_lo
	v_cmp_ne_u32_e32 vcc_lo, 0, v14
	v_cndmask_b32_e32 v14, 0x400000, v16, vcc_lo
.LBB14_3024:                            ;   in Loop: Header=BB14_17 Depth=1
	s_or_b32 exec_lo, exec_lo, s74
	s_delay_alu instid0(SALU_CYCLE_1) | instskip(SKIP_1) | instid1(SALU_CYCLE_1)
	s_and_not1_b32 s72, s72, exec_lo
	s_and_b32 s74, s75, exec_lo
	s_or_b32 s72, s72, s74
.LBB14_3025:                            ;   in Loop: Header=BB14_17 Depth=1
	s_or_b32 exec_lo, exec_lo, s73
	s_delay_alu instid0(SALU_CYCLE_1)
	s_and_b32 s72, s72, exec_lo
                                        ; implicit-def: $vgpr19
                                        ; implicit-def: $vgpr16_vgpr17
.LBB14_3026:                            ;   in Loop: Header=BB14_17 Depth=1
	s_and_not1_saveexec_b32 s62, s62
	s_cbranch_execz .LBB14_3030
; %bb.3027:                             ;   in Loop: Header=BB14_17 Depth=1
	s_mov_b32 s74, s72
	s_mov_b32 s73, exec_lo
                                        ; implicit-def: $vgpr14
	v_cmpx_eq_u16_e32 29, v19
	s_cbranch_execz .LBB14_3029
; %bb.3028:                             ;   in Loop: Header=BB14_17 Depth=1
	flat_load_b64 v[16:17], v[16:17]
	s_or_b32 s74, s72, exec_lo
	s_wait_loadcnt_dscnt 0x0
	v_clz_i32_u32_e32 v14, v17
	s_delay_alu instid0(VALU_DEP_1) | instskip(SKIP_1) | instid1(VALU_DEP_1)
	v_min_u32_e32 v14, 32, v14
	s_wait_xcnt 0x0
	v_lshlrev_b64_e32 v[16:17], v14, v[16:17]
	v_sub_nc_u32_e32 v14, 32, v14
	s_delay_alu instid0(VALU_DEP_2) | instskip(NEXT) | instid1(VALU_DEP_1)
	v_min_u32_e32 v16, 1, v16
	v_or_b32_e32 v16, v17, v16
	s_delay_alu instid0(VALU_DEP_1) | instskip(NEXT) | instid1(VALU_DEP_1)
	v_cvt_f32_u32_e32 v16, v16
	v_ldexp_f32 v14, v16, v14
.LBB14_3029:                            ;   in Loop: Header=BB14_17 Depth=1
	s_or_b32 exec_lo, exec_lo, s73
	s_delay_alu instid0(SALU_CYCLE_1) | instskip(SKIP_1) | instid1(SALU_CYCLE_1)
	s_and_not1_b32 s72, s72, exec_lo
	s_and_b32 s73, s74, exec_lo
	s_or_b32 s72, s72, s73
.LBB14_3030:                            ;   in Loop: Header=BB14_17 Depth=1
	s_or_b32 exec_lo, exec_lo, s62
	s_delay_alu instid0(SALU_CYCLE_1)
	s_and_b32 s62, s72, exec_lo
                                        ; implicit-def: $vgpr19
                                        ; implicit-def: $vgpr16_vgpr17
.LBB14_3031:                            ;   in Loop: Header=BB14_17 Depth=1
	s_and_not1_saveexec_b32 s63, s63
	s_cbranch_execz .LBB14_3045
; %bb.3032:                             ;   in Loop: Header=BB14_17 Depth=1
	s_mov_b32 s72, exec_lo
                                        ; implicit-def: $vgpr14
	v_cmpx_lt_i16_e32 26, v19
	s_xor_b32 s72, exec_lo, s72
	s_cbranch_execz .LBB14_3038
; %bb.3033:                             ;   in Loop: Header=BB14_17 Depth=1
	s_mov_b32 s73, exec_lo
                                        ; implicit-def: $vgpr14
	v_cmpx_lt_i16_e32 27, v19
	s_xor_b32 s73, exec_lo, s73
	s_cbranch_execz .LBB14_3035
; %bb.3034:                             ;   in Loop: Header=BB14_17 Depth=1
	flat_load_b32 v14, v[16:17]
                                        ; implicit-def: $vgpr16_vgpr17
	s_wait_loadcnt_dscnt 0x0
	v_cvt_f32_u32_e32 v14, v14
.LBB14_3035:                            ;   in Loop: Header=BB14_17 Depth=1
	s_wait_xcnt 0x0
	s_and_not1_saveexec_b32 s73, s73
	s_cbranch_execz .LBB14_3037
; %bb.3036:                             ;   in Loop: Header=BB14_17 Depth=1
	flat_load_u16 v14, v[16:17]
	s_wait_loadcnt_dscnt 0x0
	v_cvt_f32_u32_e32 v14, v14
.LBB14_3037:                            ;   in Loop: Header=BB14_17 Depth=1
	s_wait_xcnt 0x0
	s_or_b32 exec_lo, exec_lo, s73
                                        ; implicit-def: $vgpr16_vgpr17
.LBB14_3038:                            ;   in Loop: Header=BB14_17 Depth=1
	s_and_not1_saveexec_b32 s72, s72
	s_cbranch_execz .LBB14_3044
; %bb.3039:                             ;   in Loop: Header=BB14_17 Depth=1
	flat_load_u8 v16, v[16:17]
	s_mov_b32 s73, 0
	s_mov_b32 s74, exec_lo
	s_wait_loadcnt_dscnt 0x0
	v_cmpx_lt_i16_e32 0x7f, v16
	s_xor_b32 s74, exec_lo, s74
	s_cbranch_execnz .LBB14_3582
; %bb.3040:                             ;   in Loop: Header=BB14_17 Depth=1
	s_or_saveexec_b32 s74, s74
	v_mov_b32_e32 v14, 0x7f800001
	s_xor_b32 exec_lo, exec_lo, s74
	s_cbranch_execnz .LBB14_3585
.LBB14_3041:                            ;   in Loop: Header=BB14_17 Depth=1
	s_or_b32 exec_lo, exec_lo, s74
	s_and_saveexec_b32 s74, s73
	s_cbranch_execz .LBB14_3043
.LBB14_3042:                            ;   in Loop: Header=BB14_17 Depth=1
	v_and_b32_e32 v14, 0xffff, v16
	s_delay_alu instid0(VALU_DEP_1) | instskip(SKIP_1) | instid1(VALU_DEP_2)
	v_and_b32_e32 v17, 7, v14
	v_bfe_u32 v21, v14, 3, 4
	v_clz_i32_u32_e32 v19, v17
	s_delay_alu instid0(VALU_DEP_2) | instskip(NEXT) | instid1(VALU_DEP_2)
	v_cmp_eq_u32_e32 vcc_lo, 0, v21
	v_min_u32_e32 v19, 32, v19
	s_delay_alu instid0(VALU_DEP_1) | instskip(NEXT) | instid1(VALU_DEP_1)
	v_subrev_nc_u32_e32 v20, 28, v19
	v_dual_lshlrev_b32 v14, v20, v14 :: v_dual_sub_nc_u32 v19, 29, v19
	s_delay_alu instid0(VALU_DEP_1) | instskip(NEXT) | instid1(VALU_DEP_2)
	v_dual_lshlrev_b32 v16, 24, v16 :: v_dual_bitop2_b32 v14, 7, v14 bitop3:0x40
	v_cndmask_b32_e32 v19, v21, v19, vcc_lo
	s_delay_alu instid0(VALU_DEP_2) | instskip(NEXT) | instid1(VALU_DEP_3)
	v_cndmask_b32_e32 v14, v17, v14, vcc_lo
	v_and_b32_e32 v16, 0x80000000, v16
	s_delay_alu instid0(VALU_DEP_3) | instskip(NEXT) | instid1(VALU_DEP_3)
	v_lshl_add_u32 v17, v19, 23, 0x3b800000
	v_lshlrev_b32_e32 v14, 20, v14
	s_delay_alu instid0(VALU_DEP_1)
	v_or3_b32 v14, v16, v17, v14
.LBB14_3043:                            ;   in Loop: Header=BB14_17 Depth=1
	s_or_b32 exec_lo, exec_lo, s74
.LBB14_3044:                            ;   in Loop: Header=BB14_17 Depth=1
	s_delay_alu instid0(SALU_CYCLE_1) | instskip(NEXT) | instid1(SALU_CYCLE_1)
	s_or_b32 exec_lo, exec_lo, s72
	s_or_b32 s62, s62, exec_lo
.LBB14_3045:                            ;   in Loop: Header=BB14_17 Depth=1
	s_or_b32 exec_lo, exec_lo, s63
	s_delay_alu instid0(SALU_CYCLE_1)
	s_and_b32 s62, s62, exec_lo
                                        ; implicit-def: $vgpr19
                                        ; implicit-def: $vgpr16_vgpr17
.LBB14_3046:                            ;   in Loop: Header=BB14_17 Depth=1
	s_and_not1_saveexec_b32 s61, s61
	s_cbranch_execz .LBB14_3072
; %bb.3047:                             ;   in Loop: Header=BB14_17 Depth=1
	s_mov_b32 s72, s62
	s_mov_b32 s63, exec_lo
                                        ; implicit-def: $vgpr14
	v_cmpx_lt_i16_e32 22, v19
	s_xor_b32 s63, exec_lo, s63
	s_cbranch_execz .LBB14_3061
; %bb.3048:                             ;   in Loop: Header=BB14_17 Depth=1
	s_mov_b32 s72, exec_lo
                                        ; implicit-def: $vgpr14
	v_cmpx_lt_i16_e32 23, v19
	s_xor_b32 s72, exec_lo, s72
	s_cbranch_execz .LBB14_3058
; %bb.3049:                             ;   in Loop: Header=BB14_17 Depth=1
	;; [unrolled: 6-line block ×3, first 2 shown]
	flat_load_u8 v16, v[16:17]
	s_mov_b32 s74, 0
	s_mov_b32 s75, exec_lo
	s_wait_loadcnt_dscnt 0x0
	v_cmpx_lt_i16_e32 0x7f, v16
	s_xor_b32 s75, exec_lo, s75
	s_cbranch_execnz .LBB14_3594
; %bb.3051:                             ;   in Loop: Header=BB14_17 Depth=1
	s_or_saveexec_b32 s75, s75
	v_mov_b32_e32 v14, 0x7f800001
	s_xor_b32 exec_lo, exec_lo, s75
	s_cbranch_execnz .LBB14_3597
.LBB14_3052:                            ;   in Loop: Header=BB14_17 Depth=1
	s_or_b32 exec_lo, exec_lo, s75
	s_and_saveexec_b32 s75, s74
	s_cbranch_execz .LBB14_3054
.LBB14_3053:                            ;   in Loop: Header=BB14_17 Depth=1
	v_and_b32_e32 v14, 0xffff, v16
	s_delay_alu instid0(VALU_DEP_1) | instskip(SKIP_1) | instid1(VALU_DEP_2)
	v_and_b32_e32 v17, 3, v14
	v_bfe_u32 v21, v14, 2, 5
	v_clz_i32_u32_e32 v19, v17
	s_delay_alu instid0(VALU_DEP_2) | instskip(NEXT) | instid1(VALU_DEP_2)
	v_cmp_eq_u32_e32 vcc_lo, 0, v21
	v_min_u32_e32 v19, 32, v19
	s_delay_alu instid0(VALU_DEP_1) | instskip(NEXT) | instid1(VALU_DEP_1)
	v_subrev_nc_u32_e32 v20, 29, v19
	v_dual_lshlrev_b32 v14, v20, v14 :: v_dual_sub_nc_u32 v19, 30, v19
	s_delay_alu instid0(VALU_DEP_1) | instskip(NEXT) | instid1(VALU_DEP_2)
	v_dual_lshlrev_b32 v16, 24, v16 :: v_dual_bitop2_b32 v14, 3, v14 bitop3:0x40
	v_cndmask_b32_e32 v19, v21, v19, vcc_lo
	s_delay_alu instid0(VALU_DEP_2) | instskip(NEXT) | instid1(VALU_DEP_3)
	v_cndmask_b32_e32 v14, v17, v14, vcc_lo
	v_and_b32_e32 v16, 0x80000000, v16
	s_delay_alu instid0(VALU_DEP_3) | instskip(NEXT) | instid1(VALU_DEP_3)
	v_lshl_add_u32 v17, v19, 23, 0x37800000
	v_lshlrev_b32_e32 v14, 21, v14
	s_delay_alu instid0(VALU_DEP_1)
	v_or3_b32 v14, v16, v17, v14
.LBB14_3054:                            ;   in Loop: Header=BB14_17 Depth=1
	s_or_b32 exec_lo, exec_lo, s75
                                        ; implicit-def: $vgpr16_vgpr17
.LBB14_3055:                            ;   in Loop: Header=BB14_17 Depth=1
	s_and_not1_saveexec_b32 s73, s73
	s_cbranch_execz .LBB14_3057
; %bb.3056:                             ;   in Loop: Header=BB14_17 Depth=1
	flat_load_u8 v14, v[16:17]
	s_wait_loadcnt_dscnt 0x0
	v_lshlrev_b32_e32 v14, 24, v14
	s_wait_xcnt 0x0
	s_delay_alu instid0(VALU_DEP_1) | instskip(NEXT) | instid1(VALU_DEP_1)
	v_and_b32_e32 v16, 0x7f000000, v14
	v_clz_i32_u32_e32 v17, v16
	v_add_nc_u32_e32 v20, 0x1000000, v16
	v_cmp_ne_u32_e32 vcc_lo, 0, v16
	s_delay_alu instid0(VALU_DEP_3) | instskip(NEXT) | instid1(VALU_DEP_1)
	v_min_u32_e32 v17, 32, v17
	v_sub_nc_u32_e64 v17, v17, 4 clamp
	s_delay_alu instid0(VALU_DEP_1) | instskip(NEXT) | instid1(VALU_DEP_1)
	v_dual_lshlrev_b32 v19, v17, v16 :: v_dual_lshlrev_b32 v17, 23, v17
	v_lshrrev_b32_e32 v19, 4, v19
	s_delay_alu instid0(VALU_DEP_1) | instskip(NEXT) | instid1(VALU_DEP_1)
	v_dual_sub_nc_u32 v17, v19, v17 :: v_dual_ashrrev_i32 v19, 8, v20
	v_add_nc_u32_e32 v17, 0x3c000000, v17
	s_delay_alu instid0(VALU_DEP_1) | instskip(NEXT) | instid1(VALU_DEP_1)
	v_and_or_b32 v17, 0x7f800000, v19, v17
	v_cndmask_b32_e32 v16, 0, v17, vcc_lo
	s_delay_alu instid0(VALU_DEP_1)
	v_and_or_b32 v14, 0x80000000, v14, v16
.LBB14_3057:                            ;   in Loop: Header=BB14_17 Depth=1
	s_or_b32 exec_lo, exec_lo, s73
                                        ; implicit-def: $vgpr16_vgpr17
.LBB14_3058:                            ;   in Loop: Header=BB14_17 Depth=1
	s_and_not1_saveexec_b32 s72, s72
	s_cbranch_execz .LBB14_3060
; %bb.3059:                             ;   in Loop: Header=BB14_17 Depth=1
	flat_load_u8 v14, v[16:17]
	s_wait_loadcnt_dscnt 0x0
	v_lshlrev_b32_e32 v16, 25, v14
	v_lshlrev_b16 v14, 8, v14
	s_delay_alu instid0(VALU_DEP_1) | instskip(SKIP_1) | instid1(VALU_DEP_2)
	v_and_or_b32 v19, 0x7f00, v14, 0.5
	v_bfe_i32 v14, v14, 0, 16
	v_dual_add_f32 v19, -0.5, v19 :: v_dual_lshrrev_b32 v17, 4, v16
	v_cmp_gt_u32_e32 vcc_lo, 0x8000000, v16
	s_delay_alu instid0(VALU_DEP_2) | instskip(NEXT) | instid1(VALU_DEP_1)
	v_or_b32_e32 v17, 0x70000000, v17
	v_mul_f32_e32 v17, 0x7800000, v17
	s_delay_alu instid0(VALU_DEP_1) | instskip(NEXT) | instid1(VALU_DEP_1)
	v_cndmask_b32_e32 v16, v17, v19, vcc_lo
	v_and_or_b32 v14, 0x80000000, v14, v16
.LBB14_3060:                            ;   in Loop: Header=BB14_17 Depth=1
	s_or_b32 exec_lo, exec_lo, s72
	s_delay_alu instid0(SALU_CYCLE_1)
	s_or_b32 s72, s62, exec_lo
                                        ; implicit-def: $vgpr19
                                        ; implicit-def: $vgpr16_vgpr17
.LBB14_3061:                            ;   in Loop: Header=BB14_17 Depth=1
	s_and_not1_saveexec_b32 s63, s63
	s_cbranch_execz .LBB14_3071
; %bb.3062:                             ;   in Loop: Header=BB14_17 Depth=1
	s_mov_b32 s73, s72
	s_mov_b32 s74, exec_lo
                                        ; implicit-def: $vgpr14
	v_cmpx_lt_i16_e32 14, v19
	s_xor_b32 s74, exec_lo, s74
	s_cbranch_execz .LBB14_3066
; %bb.3063:                             ;   in Loop: Header=BB14_17 Depth=1
	s_mov_b32 s73, s72
	s_mov_b32 s75, exec_lo
                                        ; implicit-def: $vgpr14
	v_cmpx_eq_u16_e32 15, v19
	s_cbranch_execz .LBB14_3065
; %bb.3064:                             ;   in Loop: Header=BB14_17 Depth=1
	flat_load_u16 v14, v[16:17]
	s_or_b32 s73, s72, exec_lo
	s_wait_loadcnt_dscnt 0x0
	v_lshlrev_b32_e32 v14, 16, v14
.LBB14_3065:                            ;   in Loop: Header=BB14_17 Depth=1
	s_wait_xcnt 0x0
	s_or_b32 exec_lo, exec_lo, s75
	s_delay_alu instid0(SALU_CYCLE_1) | instskip(SKIP_1) | instid1(SALU_CYCLE_1)
	s_and_not1_b32 s75, s72, exec_lo
	s_and_b32 s73, s73, exec_lo
                                        ; implicit-def: $vgpr19
                                        ; implicit-def: $vgpr16_vgpr17
	s_or_b32 s73, s75, s73
.LBB14_3066:                            ;   in Loop: Header=BB14_17 Depth=1
	s_and_not1_saveexec_b32 s74, s74
	s_cbranch_execz .LBB14_3070
; %bb.3067:                             ;   in Loop: Header=BB14_17 Depth=1
	s_mov_b32 s75, s73
	s_mov_b32 s76, exec_lo
                                        ; implicit-def: $vgpr14
	v_cmpx_eq_u16_e32 11, v19
	s_cbranch_execz .LBB14_3069
; %bb.3068:                             ;   in Loop: Header=BB14_17 Depth=1
	flat_load_u8 v14, v[16:17]
	s_or_b32 s75, s73, exec_lo
	s_wait_loadcnt_dscnt 0x0
	v_cmp_ne_u16_e32 vcc_lo, 0, v14
	v_cndmask_b32_e64 v14, 0, 1.0, vcc_lo
.LBB14_3069:                            ;   in Loop: Header=BB14_17 Depth=1
	s_wait_xcnt 0x0
	s_or_b32 exec_lo, exec_lo, s76
	s_delay_alu instid0(SALU_CYCLE_1) | instskip(SKIP_1) | instid1(SALU_CYCLE_1)
	s_and_not1_b32 s73, s73, exec_lo
	s_and_b32 s75, s75, exec_lo
	s_or_b32 s73, s73, s75
.LBB14_3070:                            ;   in Loop: Header=BB14_17 Depth=1
	s_or_b32 exec_lo, exec_lo, s74
	s_delay_alu instid0(SALU_CYCLE_1) | instskip(SKIP_1) | instid1(SALU_CYCLE_1)
	s_and_not1_b32 s72, s72, exec_lo
	s_and_b32 s73, s73, exec_lo
	s_or_b32 s72, s72, s73
.LBB14_3071:                            ;   in Loop: Header=BB14_17 Depth=1
	s_or_b32 exec_lo, exec_lo, s63
	s_delay_alu instid0(SALU_CYCLE_1) | instskip(SKIP_1) | instid1(SALU_CYCLE_1)
	s_and_not1_b32 s62, s62, exec_lo
	s_and_b32 s63, s72, exec_lo
	s_or_b32 s62, s62, s63
.LBB14_3072:                            ;   in Loop: Header=BB14_17 Depth=1
	s_or_b32 exec_lo, exec_lo, s61
	s_delay_alu instid0(SALU_CYCLE_1)
	s_and_b32 s61, s62, exec_lo
                                        ; implicit-def: $vgpr19
                                        ; implicit-def: $vgpr16_vgpr17
	s_and_not1_saveexec_b32 s57, s57
	s_cbranch_execz .LBB14_1344
.LBB14_3073:                            ;   in Loop: Header=BB14_17 Depth=1
	s_mov_b32 s62, exec_lo
                                        ; implicit-def: $vgpr14
	v_cmpx_lt_i16_e32 4, v19
	s_xor_b32 s62, exec_lo, s62
	s_cbranch_execz .LBB14_3095
; %bb.3074:                             ;   in Loop: Header=BB14_17 Depth=1
	s_mov_b32 s63, exec_lo
                                        ; implicit-def: $vgpr14
	v_cmpx_lt_i16_e32 7, v19
	s_xor_b32 s63, exec_lo, s63
	s_cbranch_execz .LBB14_3084
; %bb.3075:                             ;   in Loop: Header=BB14_17 Depth=1
	;; [unrolled: 6-line block ×4, first 2 shown]
	flat_load_b64 v[16:17], v[16:17]
	s_wait_loadcnt_dscnt 0x0
	v_cvt_f32_f64_e32 v14, v[16:17]
                                        ; implicit-def: $vgpr16_vgpr17
.LBB14_3078:                            ;   in Loop: Header=BB14_17 Depth=1
	s_wait_xcnt 0x0
	s_and_not1_saveexec_b32 s73, s73
	s_cbranch_execz .LBB14_3080
; %bb.3079:                             ;   in Loop: Header=BB14_17 Depth=1
	flat_load_b32 v14, v[16:17]
.LBB14_3080:                            ;   in Loop: Header=BB14_17 Depth=1
	s_wait_xcnt 0x0
	s_or_b32 exec_lo, exec_lo, s73
                                        ; implicit-def: $vgpr16_vgpr17
.LBB14_3081:                            ;   in Loop: Header=BB14_17 Depth=1
	s_and_not1_saveexec_b32 s72, s72
	s_cbranch_execz .LBB14_3083
; %bb.3082:                             ;   in Loop: Header=BB14_17 Depth=1
	s_wait_loadcnt_dscnt 0x0
	flat_load_b32 v14, v[16:17]
	s_wait_loadcnt_dscnt 0x0
	v_cvt_f32_f16_e32 v14, v14
.LBB14_3083:                            ;   in Loop: Header=BB14_17 Depth=1
	s_wait_xcnt 0x0
	s_or_b32 exec_lo, exec_lo, s72
                                        ; implicit-def: $vgpr16_vgpr17
                                        ; implicit-def: $vgpr19
.LBB14_3084:                            ;   in Loop: Header=BB14_17 Depth=1
	s_and_not1_saveexec_b32 s63, s63
	s_cbranch_execz .LBB14_3094
; %bb.3085:                             ;   in Loop: Header=BB14_17 Depth=1
	s_mov_b32 s72, exec_lo
                                        ; implicit-def: $vgpr14
	v_cmpx_lt_i16_e32 5, v19
	s_xor_b32 s72, exec_lo, s72
	s_cbranch_execz .LBB14_3091
; %bb.3086:                             ;   in Loop: Header=BB14_17 Depth=1
	s_mov_b32 s73, exec_lo
                                        ; implicit-def: $vgpr14
	v_cmpx_lt_i16_e32 6, v19
	s_xor_b32 s73, exec_lo, s73
	s_cbranch_execz .LBB14_3088
; %bb.3087:                             ;   in Loop: Header=BB14_17 Depth=1
	flat_load_b64 v[16:17], v[16:17]
	s_wait_loadcnt_dscnt 0x0
	v_cvt_f32_f64_e32 v14, v[16:17]
                                        ; implicit-def: $vgpr16_vgpr17
.LBB14_3088:                            ;   in Loop: Header=BB14_17 Depth=1
	s_wait_xcnt 0x0
	s_and_not1_saveexec_b32 s73, s73
	s_cbranch_execz .LBB14_3090
; %bb.3089:                             ;   in Loop: Header=BB14_17 Depth=1
	s_wait_loadcnt_dscnt 0x0
	flat_load_b32 v14, v[16:17]
.LBB14_3090:                            ;   in Loop: Header=BB14_17 Depth=1
	s_wait_xcnt 0x0
	s_or_b32 exec_lo, exec_lo, s73
                                        ; implicit-def: $vgpr16_vgpr17
.LBB14_3091:                            ;   in Loop: Header=BB14_17 Depth=1
	s_and_not1_saveexec_b32 s72, s72
	s_cbranch_execz .LBB14_3093
; %bb.3092:                             ;   in Loop: Header=BB14_17 Depth=1
	s_wait_loadcnt_dscnt 0x0
	flat_load_u16 v14, v[16:17]
	s_wait_loadcnt_dscnt 0x0
	v_cvt_f32_f16_e32 v14, v14
.LBB14_3093:                            ;   in Loop: Header=BB14_17 Depth=1
	s_wait_xcnt 0x0
	s_or_b32 exec_lo, exec_lo, s72
.LBB14_3094:                            ;   in Loop: Header=BB14_17 Depth=1
	s_delay_alu instid0(SALU_CYCLE_1)
	s_or_b32 exec_lo, exec_lo, s63
                                        ; implicit-def: $vgpr19
                                        ; implicit-def: $vgpr16_vgpr17
.LBB14_3095:                            ;   in Loop: Header=BB14_17 Depth=1
	s_and_not1_saveexec_b32 s62, s62
	s_cbranch_execz .LBB14_3113
; %bb.3096:                             ;   in Loop: Header=BB14_17 Depth=1
	s_mov_b32 s63, exec_lo
                                        ; implicit-def: $vgpr14
	v_cmpx_lt_i16_e32 1, v19
	s_xor_b32 s63, exec_lo, s63
	s_cbranch_execz .LBB14_3106
; %bb.3097:                             ;   in Loop: Header=BB14_17 Depth=1
	s_mov_b32 s72, exec_lo
                                        ; implicit-def: $vgpr14
	v_cmpx_lt_i16_e32 2, v19
	s_xor_b32 s72, exec_lo, s72
	;; [unrolled: 6-line block ×3, first 2 shown]
	s_cbranch_execz .LBB14_3100
; %bb.3099:                             ;   in Loop: Header=BB14_17 Depth=1
	flat_load_b64 v[16:17], v[16:17]
	s_wait_loadcnt_dscnt 0x0
	v_xor_b32_e32 v14, v16, v17
	v_cls_i32_e32 v19, v17
	s_delay_alu instid0(VALU_DEP_2) | instskip(NEXT) | instid1(VALU_DEP_1)
	v_ashrrev_i32_e32 v14, 31, v14
	v_add_nc_u32_e32 v14, 32, v14
	s_delay_alu instid0(VALU_DEP_1) | instskip(SKIP_1) | instid1(VALU_DEP_1)
	v_add_min_u32_e64 v14, v19, -1, v14
	s_wait_xcnt 0x0
	v_lshlrev_b64_e32 v[16:17], v14, v[16:17]
	v_sub_nc_u32_e32 v14, 32, v14
	s_delay_alu instid0(VALU_DEP_2) | instskip(NEXT) | instid1(VALU_DEP_1)
	v_min_u32_e32 v16, 1, v16
	v_or_b32_e32 v16, v17, v16
	s_delay_alu instid0(VALU_DEP_1) | instskip(NEXT) | instid1(VALU_DEP_1)
	v_cvt_f32_i32_e32 v16, v16
	v_ldexp_f32 v14, v16, v14
                                        ; implicit-def: $vgpr16_vgpr17
.LBB14_3100:                            ;   in Loop: Header=BB14_17 Depth=1
	s_and_not1_saveexec_b32 s73, s73
	s_cbranch_execz .LBB14_3102
; %bb.3101:                             ;   in Loop: Header=BB14_17 Depth=1
	s_wait_loadcnt_dscnt 0x0
	flat_load_b32 v14, v[16:17]
	s_wait_loadcnt_dscnt 0x0
	v_cvt_f32_i32_e32 v14, v14
.LBB14_3102:                            ;   in Loop: Header=BB14_17 Depth=1
	s_wait_xcnt 0x0
	s_or_b32 exec_lo, exec_lo, s73
                                        ; implicit-def: $vgpr16_vgpr17
.LBB14_3103:                            ;   in Loop: Header=BB14_17 Depth=1
	s_and_not1_saveexec_b32 s72, s72
	s_cbranch_execz .LBB14_3105
; %bb.3104:                             ;   in Loop: Header=BB14_17 Depth=1
	s_wait_loadcnt_dscnt 0x0
	flat_load_i16 v14, v[16:17]
	s_wait_loadcnt_dscnt 0x0
	v_cvt_f32_i32_e32 v14, v14
.LBB14_3105:                            ;   in Loop: Header=BB14_17 Depth=1
	s_wait_xcnt 0x0
	s_or_b32 exec_lo, exec_lo, s72
                                        ; implicit-def: $vgpr16_vgpr17
                                        ; implicit-def: $vgpr19
.LBB14_3106:                            ;   in Loop: Header=BB14_17 Depth=1
	s_and_not1_saveexec_b32 s63, s63
	s_cbranch_execz .LBB14_3112
; %bb.3107:                             ;   in Loop: Header=BB14_17 Depth=1
	s_mov_b32 s72, exec_lo
                                        ; implicit-def: $vgpr14
	v_cmpx_lt_i16_e32 0, v19
	s_xor_b32 s72, exec_lo, s72
	s_cbranch_execz .LBB14_3109
; %bb.3108:                             ;   in Loop: Header=BB14_17 Depth=1
	s_wait_loadcnt_dscnt 0x0
	flat_load_i8 v14, v[16:17]
                                        ; implicit-def: $vgpr16_vgpr17
	s_wait_loadcnt_dscnt 0x0
	v_cvt_f32_i32_e32 v14, v14
.LBB14_3109:                            ;   in Loop: Header=BB14_17 Depth=1
	s_wait_xcnt 0x0
	s_and_not1_saveexec_b32 s72, s72
	s_cbranch_execz .LBB14_3111
; %bb.3110:                             ;   in Loop: Header=BB14_17 Depth=1
	s_wait_loadcnt_dscnt 0x0
	flat_load_u8 v14, v[16:17]
	s_wait_loadcnt_dscnt 0x0
	v_cvt_f32_ubyte0_e32 v14, v14
.LBB14_3111:                            ;   in Loop: Header=BB14_17 Depth=1
	s_wait_xcnt 0x0
	s_or_b32 exec_lo, exec_lo, s72
.LBB14_3112:                            ;   in Loop: Header=BB14_17 Depth=1
	s_delay_alu instid0(SALU_CYCLE_1)
	s_or_b32 exec_lo, exec_lo, s63
.LBB14_3113:                            ;   in Loop: Header=BB14_17 Depth=1
	s_delay_alu instid0(SALU_CYCLE_1) | instskip(NEXT) | instid1(SALU_CYCLE_1)
	s_or_b32 exec_lo, exec_lo, s62
	s_or_b32 s61, s61, exec_lo
	s_or_b32 exec_lo, exec_lo, s57
	s_mov_b32 s62, 0
	s_and_saveexec_b32 s57, s61
	s_cbranch_execnz .LBB14_1345
	s_branch .LBB14_1346
.LBB14_3114:                            ;   in Loop: Header=BB14_17 Depth=1
	s_mov_b32 s43, -1
	s_mov_b32 s45, exec_lo
	v_cmpx_eq_u16_e32 0x80, v16
; %bb.3115:                             ;   in Loop: Header=BB14_17 Depth=1
	s_xor_b32 s43, exec_lo, -1
; %bb.3116:                             ;   in Loop: Header=BB14_17 Depth=1
	s_or_b32 exec_lo, exec_lo, s45
	s_delay_alu instid0(SALU_CYCLE_1)
	s_and_b32 s43, s43, exec_lo
	s_or_saveexec_b32 s44, s44
	v_mov_b32_e32 v14, 0x7f800001
	s_xor_b32 exec_lo, exec_lo, s44
	s_cbranch_execz .LBB14_2472
.LBB14_3117:                            ;   in Loop: Header=BB14_17 Depth=1
	v_cmp_ne_u16_e32 vcc_lo, 0, v16
	v_mov_b32_e32 v14, 0
	s_and_not1_b32 s43, s43, exec_lo
	s_and_b32 s45, vcc_lo, exec_lo
	s_delay_alu instid0(SALU_CYCLE_1)
	s_or_b32 s43, s43, s45
	s_or_b32 exec_lo, exec_lo, s44
	s_and_saveexec_b32 s44, s43
	s_cbranch_execnz .LBB14_2473
	s_branch .LBB14_2474
.LBB14_3118:                            ;   in Loop: Header=BB14_17 Depth=1
	s_mov_b32 s45, -1
	s_mov_b32 s47, exec_lo
	v_cmpx_eq_u16_e32 0x80, v16
; %bb.3119:                             ;   in Loop: Header=BB14_17 Depth=1
	s_xor_b32 s45, exec_lo, -1
; %bb.3120:                             ;   in Loop: Header=BB14_17 Depth=1
	s_or_b32 exec_lo, exec_lo, s47
	s_delay_alu instid0(SALU_CYCLE_1)
	s_and_b32 s45, s45, exec_lo
	s_or_saveexec_b32 s46, s46
	v_mov_b32_e32 v14, 0x7f800001
	s_xor_b32 exec_lo, exec_lo, s46
	s_cbranch_execz .LBB14_2577
.LBB14_3121:                            ;   in Loop: Header=BB14_17 Depth=1
	v_cmp_ne_u16_e32 vcc_lo, 0, v16
	v_mov_b32_e32 v14, 0
	s_and_not1_b32 s45, s45, exec_lo
	s_and_b32 s47, vcc_lo, exec_lo
	s_delay_alu instid0(SALU_CYCLE_1)
	s_or_b32 s45, s45, s47
	s_or_b32 exec_lo, exec_lo, s46
	s_and_saveexec_b32 s46, s45
	s_cbranch_execnz .LBB14_2578
	s_branch .LBB14_2579
.LBB14_3122:                            ;   in Loop: Header=BB14_17 Depth=1
	s_mov_b32 s47, -1
	s_mov_b32 s57, exec_lo
	v_cmpx_eq_u16_e32 0x80, v16
; %bb.3123:                             ;   in Loop: Header=BB14_17 Depth=1
	s_xor_b32 s47, exec_lo, -1
; %bb.3124:                             ;   in Loop: Header=BB14_17 Depth=1
	s_or_b32 exec_lo, exec_lo, s57
	s_delay_alu instid0(SALU_CYCLE_1)
	s_and_b32 s47, s47, exec_lo
	s_or_saveexec_b32 s56, s56
	v_mov_b32_e32 v14, 0x7f800001
	s_xor_b32 exec_lo, exec_lo, s56
	s_cbranch_execz .LBB14_945
.LBB14_3125:                            ;   in Loop: Header=BB14_17 Depth=1
	v_cmp_ne_u16_e32 vcc_lo, 0, v16
	v_mov_b32_e32 v14, 0
	s_and_not1_b32 s47, s47, exec_lo
	s_and_b32 s57, vcc_lo, exec_lo
	s_delay_alu instid0(SALU_CYCLE_1)
	s_or_b32 s47, s47, s57
	s_or_b32 exec_lo, exec_lo, s56
	s_and_saveexec_b32 s56, s47
	s_cbranch_execnz .LBB14_946
	s_branch .LBB14_947
.LBB14_3126:                            ;   in Loop: Header=BB14_17 Depth=1
	s_mov_b32 s57, -1
	s_mov_b32 s59, exec_lo
	v_cmpx_eq_u16_e32 0x80, v16
; %bb.3127:                             ;   in Loop: Header=BB14_17 Depth=1
	s_xor_b32 s57, exec_lo, -1
; %bb.3128:                             ;   in Loop: Header=BB14_17 Depth=1
	s_or_b32 exec_lo, exec_lo, s59
	s_delay_alu instid0(SALU_CYCLE_1)
	s_and_b32 s57, s57, exec_lo
	s_or_saveexec_b32 s58, s58
	v_mov_b32_e32 v14, 0x7f800001
	s_xor_b32 exec_lo, exec_lo, s58
	s_cbranch_execz .LBB14_1045
.LBB14_3129:                            ;   in Loop: Header=BB14_17 Depth=1
	v_cmp_ne_u16_e32 vcc_lo, 0, v16
	v_mov_b32_e32 v14, 0
	s_and_not1_b32 s57, s57, exec_lo
	s_and_b32 s59, vcc_lo, exec_lo
	s_delay_alu instid0(SALU_CYCLE_1)
	s_or_b32 s57, s57, s59
	s_or_b32 exec_lo, exec_lo, s58
	s_and_saveexec_b32 s58, s57
	s_cbranch_execnz .LBB14_1046
	s_branch .LBB14_1047
.LBB14_3130:                            ;   in Loop: Header=BB14_17 Depth=1
	s_mov_b32 s72, exec_lo
                                        ; implicit-def: $vgpr14
	v_cmpx_lt_i16_e32 25, v19
	s_xor_b32 s72, exec_lo, s72
	s_cbranch_execz .LBB14_3162
; %bb.3131:                             ;   in Loop: Header=BB14_17 Depth=1
	s_mov_b32 s74, exec_lo
                                        ; implicit-def: $vgpr14
	v_cmpx_lt_i16_e32 28, v19
	s_xor_b32 s74, exec_lo, s74
	s_cbranch_execz .LBB14_3147
; %bb.3132:                             ;   in Loop: Header=BB14_17 Depth=1
	s_mov_b32 s75, 0
	s_mov_b32 s73, exec_lo
                                        ; implicit-def: $vgpr14
	v_cmpx_lt_i16_e32 43, v19
	s_xor_b32 s73, exec_lo, s73
	s_cbranch_execz .LBB14_3142
; %bb.3133:                             ;   in Loop: Header=BB14_17 Depth=1
	s_mov_b32 s76, exec_lo
                                        ; implicit-def: $vgpr14
	v_cmpx_lt_i16_e32 45, v19
	s_xor_b32 s76, exec_lo, s76
	s_cbranch_execz .LBB14_3137
; %bb.3134:                             ;   in Loop: Header=BB14_17 Depth=1
	s_mov_b32 s77, exec_lo
                                        ; implicit-def: $vgpr14
	v_cmpx_eq_u16_e32 46, v19
	s_cbranch_execz .LBB14_3136
; %bb.3135:                             ;   in Loop: Header=BB14_17 Depth=1
	flat_load_b32 v14, v[16:17]
	s_mov_b32 s75, exec_lo
	s_wait_loadcnt_dscnt 0x0
	v_lshlrev_b32_e32 v14, 16, v14
.LBB14_3136:                            ;   in Loop: Header=BB14_17 Depth=1
	s_wait_xcnt 0x0
	s_or_b32 exec_lo, exec_lo, s77
	s_delay_alu instid0(SALU_CYCLE_1)
	s_and_b32 s75, s75, exec_lo
                                        ; implicit-def: $vgpr19
                                        ; implicit-def: $vgpr16_vgpr17
.LBB14_3137:                            ;   in Loop: Header=BB14_17 Depth=1
	s_and_not1_saveexec_b32 s76, s76
	s_cbranch_execz .LBB14_3141
; %bb.3138:                             ;   in Loop: Header=BB14_17 Depth=1
	s_mov_b32 s78, s75
	s_mov_b32 s77, exec_lo
                                        ; implicit-def: $vgpr14
	v_cmpx_eq_u16_e32 44, v19
	s_cbranch_execz .LBB14_3140
; %bb.3139:                             ;   in Loop: Header=BB14_17 Depth=1
	flat_load_u8 v14, v[16:17]
	s_or_b32 s78, s75, exec_lo
	s_wait_loadcnt_dscnt 0x0
	v_lshlrev_b32_e32 v16, 23, v14
	v_cmp_ne_u32_e32 vcc_lo, 0xff, v14
	s_delay_alu instid0(VALU_DEP_2) | instskip(SKIP_1) | instid1(VALU_DEP_2)
	v_cndmask_b32_e32 v16, 0x7f800001, v16, vcc_lo
	v_cmp_ne_u32_e32 vcc_lo, 0, v14
	v_cndmask_b32_e32 v14, 0x400000, v16, vcc_lo
.LBB14_3140:                            ;   in Loop: Header=BB14_17 Depth=1
	s_or_b32 exec_lo, exec_lo, s77
	s_delay_alu instid0(SALU_CYCLE_1) | instskip(SKIP_1) | instid1(SALU_CYCLE_1)
	s_and_not1_b32 s75, s75, exec_lo
	s_and_b32 s77, s78, exec_lo
	s_or_b32 s75, s75, s77
.LBB14_3141:                            ;   in Loop: Header=BB14_17 Depth=1
	s_or_b32 exec_lo, exec_lo, s76
	s_delay_alu instid0(SALU_CYCLE_1)
	s_and_b32 s75, s75, exec_lo
                                        ; implicit-def: $vgpr19
                                        ; implicit-def: $vgpr16_vgpr17
.LBB14_3142:                            ;   in Loop: Header=BB14_17 Depth=1
	s_and_not1_saveexec_b32 s73, s73
	s_cbranch_execz .LBB14_3146
; %bb.3143:                             ;   in Loop: Header=BB14_17 Depth=1
	s_mov_b32 s77, s75
	s_mov_b32 s76, exec_lo
                                        ; implicit-def: $vgpr14
	v_cmpx_eq_u16_e32 29, v19
	s_cbranch_execz .LBB14_3145
; %bb.3144:                             ;   in Loop: Header=BB14_17 Depth=1
	flat_load_b64 v[16:17], v[16:17]
	s_or_b32 s77, s75, exec_lo
	s_wait_loadcnt_dscnt 0x0
	v_clz_i32_u32_e32 v14, v17
	s_delay_alu instid0(VALU_DEP_1) | instskip(SKIP_1) | instid1(VALU_DEP_1)
	v_min_u32_e32 v14, 32, v14
	s_wait_xcnt 0x0
	v_lshlrev_b64_e32 v[16:17], v14, v[16:17]
	v_sub_nc_u32_e32 v14, 32, v14
	s_delay_alu instid0(VALU_DEP_2) | instskip(NEXT) | instid1(VALU_DEP_1)
	v_min_u32_e32 v16, 1, v16
	v_or_b32_e32 v16, v17, v16
	s_delay_alu instid0(VALU_DEP_1) | instskip(NEXT) | instid1(VALU_DEP_1)
	v_cvt_f32_u32_e32 v16, v16
	v_ldexp_f32 v14, v16, v14
.LBB14_3145:                            ;   in Loop: Header=BB14_17 Depth=1
	s_or_b32 exec_lo, exec_lo, s76
	s_delay_alu instid0(SALU_CYCLE_1) | instskip(SKIP_1) | instid1(SALU_CYCLE_1)
	s_and_not1_b32 s75, s75, exec_lo
	s_and_b32 s76, s77, exec_lo
	s_or_b32 s75, s75, s76
.LBB14_3146:                            ;   in Loop: Header=BB14_17 Depth=1
	s_or_b32 exec_lo, exec_lo, s73
	s_delay_alu instid0(SALU_CYCLE_1)
	s_and_b32 s73, s75, exec_lo
                                        ; implicit-def: $vgpr19
                                        ; implicit-def: $vgpr16_vgpr17
.LBB14_3147:                            ;   in Loop: Header=BB14_17 Depth=1
	s_and_not1_saveexec_b32 s74, s74
	s_cbranch_execz .LBB14_3161
; %bb.3148:                             ;   in Loop: Header=BB14_17 Depth=1
	s_mov_b32 s75, exec_lo
                                        ; implicit-def: $vgpr14
	v_cmpx_lt_i16_e32 26, v19
	s_xor_b32 s75, exec_lo, s75
	s_cbranch_execz .LBB14_3154
; %bb.3149:                             ;   in Loop: Header=BB14_17 Depth=1
	s_mov_b32 s76, exec_lo
                                        ; implicit-def: $vgpr14
	v_cmpx_lt_i16_e32 27, v19
	s_xor_b32 s76, exec_lo, s76
	s_cbranch_execz .LBB14_3151
; %bb.3150:                             ;   in Loop: Header=BB14_17 Depth=1
	flat_load_b32 v14, v[16:17]
                                        ; implicit-def: $vgpr16_vgpr17
	s_wait_loadcnt_dscnt 0x0
	v_cvt_f32_u32_e32 v14, v14
.LBB14_3151:                            ;   in Loop: Header=BB14_17 Depth=1
	s_wait_xcnt 0x0
	s_and_not1_saveexec_b32 s76, s76
	s_cbranch_execz .LBB14_3153
; %bb.3152:                             ;   in Loop: Header=BB14_17 Depth=1
	flat_load_u16 v14, v[16:17]
	s_wait_loadcnt_dscnt 0x0
	v_cvt_f32_u32_e32 v14, v14
.LBB14_3153:                            ;   in Loop: Header=BB14_17 Depth=1
	s_wait_xcnt 0x0
	s_or_b32 exec_lo, exec_lo, s76
                                        ; implicit-def: $vgpr16_vgpr17
.LBB14_3154:                            ;   in Loop: Header=BB14_17 Depth=1
	s_and_not1_saveexec_b32 s75, s75
	s_cbranch_execz .LBB14_3160
; %bb.3155:                             ;   in Loop: Header=BB14_17 Depth=1
	flat_load_u8 v16, v[16:17]
	s_mov_b32 s76, 0
	s_mov_b32 s77, exec_lo
	s_wait_loadcnt_dscnt 0x0
	v_cmpx_lt_i16_e32 0x7f, v16
	s_xor_b32 s77, exec_lo, s77
	s_cbranch_execnz .LBB14_3598
; %bb.3156:                             ;   in Loop: Header=BB14_17 Depth=1
	s_or_saveexec_b32 s77, s77
	v_mov_b32_e32 v14, 0x7f800001
	s_xor_b32 exec_lo, exec_lo, s77
	s_cbranch_execnz .LBB14_3601
.LBB14_3157:                            ;   in Loop: Header=BB14_17 Depth=1
	s_or_b32 exec_lo, exec_lo, s77
	s_and_saveexec_b32 s77, s76
	s_cbranch_execz .LBB14_3159
.LBB14_3158:                            ;   in Loop: Header=BB14_17 Depth=1
	v_and_b32_e32 v14, 0xffff, v16
	s_delay_alu instid0(VALU_DEP_1) | instskip(SKIP_1) | instid1(VALU_DEP_2)
	v_and_b32_e32 v17, 7, v14
	v_bfe_u32 v21, v14, 3, 4
	v_clz_i32_u32_e32 v19, v17
	s_delay_alu instid0(VALU_DEP_2) | instskip(NEXT) | instid1(VALU_DEP_2)
	v_cmp_eq_u32_e32 vcc_lo, 0, v21
	v_min_u32_e32 v19, 32, v19
	s_delay_alu instid0(VALU_DEP_1) | instskip(NEXT) | instid1(VALU_DEP_1)
	v_subrev_nc_u32_e32 v20, 28, v19
	v_dual_lshlrev_b32 v14, v20, v14 :: v_dual_sub_nc_u32 v19, 29, v19
	s_delay_alu instid0(VALU_DEP_1) | instskip(NEXT) | instid1(VALU_DEP_2)
	v_dual_lshlrev_b32 v16, 24, v16 :: v_dual_bitop2_b32 v14, 7, v14 bitop3:0x40
	v_cndmask_b32_e32 v19, v21, v19, vcc_lo
	s_delay_alu instid0(VALU_DEP_2) | instskip(NEXT) | instid1(VALU_DEP_3)
	v_cndmask_b32_e32 v14, v17, v14, vcc_lo
	v_and_b32_e32 v16, 0x80000000, v16
	s_delay_alu instid0(VALU_DEP_3) | instskip(NEXT) | instid1(VALU_DEP_3)
	v_lshl_add_u32 v17, v19, 23, 0x3b800000
	v_lshlrev_b32_e32 v14, 20, v14
	s_delay_alu instid0(VALU_DEP_1)
	v_or3_b32 v14, v16, v17, v14
.LBB14_3159:                            ;   in Loop: Header=BB14_17 Depth=1
	s_or_b32 exec_lo, exec_lo, s77
.LBB14_3160:                            ;   in Loop: Header=BB14_17 Depth=1
	s_delay_alu instid0(SALU_CYCLE_1) | instskip(NEXT) | instid1(SALU_CYCLE_1)
	s_or_b32 exec_lo, exec_lo, s75
	s_or_b32 s73, s73, exec_lo
.LBB14_3161:                            ;   in Loop: Header=BB14_17 Depth=1
	s_or_b32 exec_lo, exec_lo, s74
	s_delay_alu instid0(SALU_CYCLE_1)
	s_and_b32 s73, s73, exec_lo
                                        ; implicit-def: $vgpr19
                                        ; implicit-def: $vgpr16_vgpr17
.LBB14_3162:                            ;   in Loop: Header=BB14_17 Depth=1
	s_and_not1_saveexec_b32 s72, s72
	s_cbranch_execz .LBB14_3188
; %bb.3163:                             ;   in Loop: Header=BB14_17 Depth=1
	s_mov_b32 s75, s73
	s_mov_b32 s74, exec_lo
                                        ; implicit-def: $vgpr14
	v_cmpx_lt_i16_e32 22, v19
	s_xor_b32 s74, exec_lo, s74
	s_cbranch_execz .LBB14_3177
; %bb.3164:                             ;   in Loop: Header=BB14_17 Depth=1
	s_mov_b32 s75, exec_lo
                                        ; implicit-def: $vgpr14
	v_cmpx_lt_i16_e32 23, v19
	s_xor_b32 s75, exec_lo, s75
	s_cbranch_execz .LBB14_3174
; %bb.3165:                             ;   in Loop: Header=BB14_17 Depth=1
	;; [unrolled: 6-line block ×3, first 2 shown]
	flat_load_u8 v16, v[16:17]
	s_mov_b32 s77, 0
	s_mov_b32 s78, exec_lo
	s_wait_loadcnt_dscnt 0x0
	v_cmpx_lt_i16_e32 0x7f, v16
	s_xor_b32 s78, exec_lo, s78
	s_cbranch_execnz .LBB14_3610
; %bb.3167:                             ;   in Loop: Header=BB14_17 Depth=1
	s_or_saveexec_b32 s78, s78
	v_mov_b32_e32 v14, 0x7f800001
	s_xor_b32 exec_lo, exec_lo, s78
	s_cbranch_execnz .LBB14_3613
.LBB14_3168:                            ;   in Loop: Header=BB14_17 Depth=1
	s_or_b32 exec_lo, exec_lo, s78
	s_and_saveexec_b32 s78, s77
	s_cbranch_execz .LBB14_3170
.LBB14_3169:                            ;   in Loop: Header=BB14_17 Depth=1
	v_and_b32_e32 v14, 0xffff, v16
	s_delay_alu instid0(VALU_DEP_1) | instskip(SKIP_1) | instid1(VALU_DEP_2)
	v_and_b32_e32 v17, 3, v14
	v_bfe_u32 v21, v14, 2, 5
	v_clz_i32_u32_e32 v19, v17
	s_delay_alu instid0(VALU_DEP_2) | instskip(NEXT) | instid1(VALU_DEP_2)
	v_cmp_eq_u32_e32 vcc_lo, 0, v21
	v_min_u32_e32 v19, 32, v19
	s_delay_alu instid0(VALU_DEP_1) | instskip(NEXT) | instid1(VALU_DEP_1)
	v_subrev_nc_u32_e32 v20, 29, v19
	v_dual_lshlrev_b32 v14, v20, v14 :: v_dual_sub_nc_u32 v19, 30, v19
	s_delay_alu instid0(VALU_DEP_1) | instskip(NEXT) | instid1(VALU_DEP_2)
	v_dual_lshlrev_b32 v16, 24, v16 :: v_dual_bitop2_b32 v14, 3, v14 bitop3:0x40
	v_cndmask_b32_e32 v19, v21, v19, vcc_lo
	s_delay_alu instid0(VALU_DEP_2) | instskip(NEXT) | instid1(VALU_DEP_3)
	v_cndmask_b32_e32 v14, v17, v14, vcc_lo
	v_and_b32_e32 v16, 0x80000000, v16
	s_delay_alu instid0(VALU_DEP_3) | instskip(NEXT) | instid1(VALU_DEP_3)
	v_lshl_add_u32 v17, v19, 23, 0x37800000
	v_lshlrev_b32_e32 v14, 21, v14
	s_delay_alu instid0(VALU_DEP_1)
	v_or3_b32 v14, v16, v17, v14
.LBB14_3170:                            ;   in Loop: Header=BB14_17 Depth=1
	s_or_b32 exec_lo, exec_lo, s78
                                        ; implicit-def: $vgpr16_vgpr17
.LBB14_3171:                            ;   in Loop: Header=BB14_17 Depth=1
	s_and_not1_saveexec_b32 s76, s76
	s_cbranch_execz .LBB14_3173
; %bb.3172:                             ;   in Loop: Header=BB14_17 Depth=1
	flat_load_u8 v14, v[16:17]
	s_wait_loadcnt_dscnt 0x0
	v_lshlrev_b32_e32 v14, 24, v14
	s_wait_xcnt 0x0
	s_delay_alu instid0(VALU_DEP_1) | instskip(NEXT) | instid1(VALU_DEP_1)
	v_and_b32_e32 v16, 0x7f000000, v14
	v_clz_i32_u32_e32 v17, v16
	v_add_nc_u32_e32 v20, 0x1000000, v16
	v_cmp_ne_u32_e32 vcc_lo, 0, v16
	s_delay_alu instid0(VALU_DEP_3) | instskip(NEXT) | instid1(VALU_DEP_1)
	v_min_u32_e32 v17, 32, v17
	v_sub_nc_u32_e64 v17, v17, 4 clamp
	s_delay_alu instid0(VALU_DEP_1) | instskip(NEXT) | instid1(VALU_DEP_1)
	v_dual_lshlrev_b32 v19, v17, v16 :: v_dual_lshlrev_b32 v17, 23, v17
	v_lshrrev_b32_e32 v19, 4, v19
	s_delay_alu instid0(VALU_DEP_1) | instskip(NEXT) | instid1(VALU_DEP_1)
	v_dual_sub_nc_u32 v17, v19, v17 :: v_dual_ashrrev_i32 v19, 8, v20
	v_add_nc_u32_e32 v17, 0x3c000000, v17
	s_delay_alu instid0(VALU_DEP_1) | instskip(NEXT) | instid1(VALU_DEP_1)
	v_and_or_b32 v17, 0x7f800000, v19, v17
	v_cndmask_b32_e32 v16, 0, v17, vcc_lo
	s_delay_alu instid0(VALU_DEP_1)
	v_and_or_b32 v14, 0x80000000, v14, v16
.LBB14_3173:                            ;   in Loop: Header=BB14_17 Depth=1
	s_or_b32 exec_lo, exec_lo, s76
                                        ; implicit-def: $vgpr16_vgpr17
.LBB14_3174:                            ;   in Loop: Header=BB14_17 Depth=1
	s_and_not1_saveexec_b32 s75, s75
	s_cbranch_execz .LBB14_3176
; %bb.3175:                             ;   in Loop: Header=BB14_17 Depth=1
	flat_load_u8 v14, v[16:17]
	s_wait_loadcnt_dscnt 0x0
	v_lshlrev_b32_e32 v16, 25, v14
	v_lshlrev_b16 v14, 8, v14
	s_delay_alu instid0(VALU_DEP_1) | instskip(SKIP_1) | instid1(VALU_DEP_2)
	v_and_or_b32 v19, 0x7f00, v14, 0.5
	v_bfe_i32 v14, v14, 0, 16
	v_dual_add_f32 v19, -0.5, v19 :: v_dual_lshrrev_b32 v17, 4, v16
	v_cmp_gt_u32_e32 vcc_lo, 0x8000000, v16
	s_delay_alu instid0(VALU_DEP_2) | instskip(NEXT) | instid1(VALU_DEP_1)
	v_or_b32_e32 v17, 0x70000000, v17
	v_mul_f32_e32 v17, 0x7800000, v17
	s_delay_alu instid0(VALU_DEP_1) | instskip(NEXT) | instid1(VALU_DEP_1)
	v_cndmask_b32_e32 v16, v17, v19, vcc_lo
	v_and_or_b32 v14, 0x80000000, v14, v16
.LBB14_3176:                            ;   in Loop: Header=BB14_17 Depth=1
	s_or_b32 exec_lo, exec_lo, s75
	s_delay_alu instid0(SALU_CYCLE_1)
	s_or_b32 s75, s73, exec_lo
                                        ; implicit-def: $vgpr19
                                        ; implicit-def: $vgpr16_vgpr17
.LBB14_3177:                            ;   in Loop: Header=BB14_17 Depth=1
	s_and_not1_saveexec_b32 s74, s74
	s_cbranch_execz .LBB14_3187
; %bb.3178:                             ;   in Loop: Header=BB14_17 Depth=1
	s_mov_b32 s76, s75
	s_mov_b32 s77, exec_lo
                                        ; implicit-def: $vgpr14
	v_cmpx_lt_i16_e32 14, v19
	s_xor_b32 s77, exec_lo, s77
	s_cbranch_execz .LBB14_3182
; %bb.3179:                             ;   in Loop: Header=BB14_17 Depth=1
	s_mov_b32 s76, s75
	s_mov_b32 s78, exec_lo
                                        ; implicit-def: $vgpr14
	v_cmpx_eq_u16_e32 15, v19
	s_cbranch_execz .LBB14_3181
; %bb.3180:                             ;   in Loop: Header=BB14_17 Depth=1
	flat_load_u16 v14, v[16:17]
	s_or_b32 s76, s75, exec_lo
	s_wait_loadcnt_dscnt 0x0
	v_lshlrev_b32_e32 v14, 16, v14
.LBB14_3181:                            ;   in Loop: Header=BB14_17 Depth=1
	s_wait_xcnt 0x0
	s_or_b32 exec_lo, exec_lo, s78
	s_delay_alu instid0(SALU_CYCLE_1) | instskip(SKIP_1) | instid1(SALU_CYCLE_1)
	s_and_not1_b32 s78, s75, exec_lo
	s_and_b32 s76, s76, exec_lo
                                        ; implicit-def: $vgpr19
                                        ; implicit-def: $vgpr16_vgpr17
	s_or_b32 s76, s78, s76
.LBB14_3182:                            ;   in Loop: Header=BB14_17 Depth=1
	s_and_not1_saveexec_b32 s77, s77
	s_cbranch_execz .LBB14_3186
; %bb.3183:                             ;   in Loop: Header=BB14_17 Depth=1
	s_mov_b32 s78, s76
	s_mov_b32 s79, exec_lo
                                        ; implicit-def: $vgpr14
	v_cmpx_eq_u16_e32 11, v19
	s_cbranch_execz .LBB14_3185
; %bb.3184:                             ;   in Loop: Header=BB14_17 Depth=1
	flat_load_u8 v14, v[16:17]
	s_or_b32 s78, s76, exec_lo
	s_wait_loadcnt_dscnt 0x0
	v_cmp_ne_u16_e32 vcc_lo, 0, v14
	v_cndmask_b32_e64 v14, 0, 1.0, vcc_lo
.LBB14_3185:                            ;   in Loop: Header=BB14_17 Depth=1
	s_wait_xcnt 0x0
	s_or_b32 exec_lo, exec_lo, s79
	s_delay_alu instid0(SALU_CYCLE_1) | instskip(SKIP_1) | instid1(SALU_CYCLE_1)
	s_and_not1_b32 s76, s76, exec_lo
	s_and_b32 s78, s78, exec_lo
	s_or_b32 s76, s76, s78
.LBB14_3186:                            ;   in Loop: Header=BB14_17 Depth=1
	s_or_b32 exec_lo, exec_lo, s77
	s_delay_alu instid0(SALU_CYCLE_1) | instskip(SKIP_1) | instid1(SALU_CYCLE_1)
	s_and_not1_b32 s75, s75, exec_lo
	s_and_b32 s76, s76, exec_lo
	s_or_b32 s75, s75, s76
.LBB14_3187:                            ;   in Loop: Header=BB14_17 Depth=1
	s_or_b32 exec_lo, exec_lo, s74
	s_delay_alu instid0(SALU_CYCLE_1) | instskip(SKIP_1) | instid1(SALU_CYCLE_1)
	s_and_not1_b32 s73, s73, exec_lo
	s_and_b32 s74, s75, exec_lo
	s_or_b32 s73, s73, s74
.LBB14_3188:                            ;   in Loop: Header=BB14_17 Depth=1
	s_or_b32 exec_lo, exec_lo, s72
	s_delay_alu instid0(SALU_CYCLE_1)
	s_and_b32 s72, s73, exec_lo
                                        ; implicit-def: $vgpr19
                                        ; implicit-def: $vgpr16_vgpr17
	s_and_not1_saveexec_b32 s60, s60
	s_cbranch_execz .LBB14_1455
.LBB14_3189:                            ;   in Loop: Header=BB14_17 Depth=1
	s_mov_b32 s73, exec_lo
                                        ; implicit-def: $vgpr14
	v_cmpx_lt_i16_e32 4, v19
	s_xor_b32 s73, exec_lo, s73
	s_cbranch_execz .LBB14_3211
; %bb.3190:                             ;   in Loop: Header=BB14_17 Depth=1
	s_mov_b32 s74, exec_lo
                                        ; implicit-def: $vgpr14
	v_cmpx_lt_i16_e32 7, v19
	s_xor_b32 s74, exec_lo, s74
	s_cbranch_execz .LBB14_3200
; %bb.3191:                             ;   in Loop: Header=BB14_17 Depth=1
	;; [unrolled: 6-line block ×4, first 2 shown]
	flat_load_b64 v[16:17], v[16:17]
	s_wait_loadcnt_dscnt 0x0
	v_cvt_f32_f64_e32 v14, v[16:17]
                                        ; implicit-def: $vgpr16_vgpr17
.LBB14_3194:                            ;   in Loop: Header=BB14_17 Depth=1
	s_wait_xcnt 0x0
	s_and_not1_saveexec_b32 s76, s76
	s_cbranch_execz .LBB14_3196
; %bb.3195:                             ;   in Loop: Header=BB14_17 Depth=1
	flat_load_b32 v14, v[16:17]
.LBB14_3196:                            ;   in Loop: Header=BB14_17 Depth=1
	s_wait_xcnt 0x0
	s_or_b32 exec_lo, exec_lo, s76
                                        ; implicit-def: $vgpr16_vgpr17
.LBB14_3197:                            ;   in Loop: Header=BB14_17 Depth=1
	s_and_not1_saveexec_b32 s75, s75
	s_cbranch_execz .LBB14_3199
; %bb.3198:                             ;   in Loop: Header=BB14_17 Depth=1
	s_wait_loadcnt_dscnt 0x0
	flat_load_b32 v14, v[16:17]
	s_wait_loadcnt_dscnt 0x0
	v_cvt_f32_f16_e32 v14, v14
.LBB14_3199:                            ;   in Loop: Header=BB14_17 Depth=1
	s_wait_xcnt 0x0
	s_or_b32 exec_lo, exec_lo, s75
                                        ; implicit-def: $vgpr16_vgpr17
                                        ; implicit-def: $vgpr19
.LBB14_3200:                            ;   in Loop: Header=BB14_17 Depth=1
	s_and_not1_saveexec_b32 s74, s74
	s_cbranch_execz .LBB14_3210
; %bb.3201:                             ;   in Loop: Header=BB14_17 Depth=1
	s_mov_b32 s75, exec_lo
                                        ; implicit-def: $vgpr14
	v_cmpx_lt_i16_e32 5, v19
	s_xor_b32 s75, exec_lo, s75
	s_cbranch_execz .LBB14_3207
; %bb.3202:                             ;   in Loop: Header=BB14_17 Depth=1
	s_mov_b32 s76, exec_lo
                                        ; implicit-def: $vgpr14
	v_cmpx_lt_i16_e32 6, v19
	s_xor_b32 s76, exec_lo, s76
	s_cbranch_execz .LBB14_3204
; %bb.3203:                             ;   in Loop: Header=BB14_17 Depth=1
	flat_load_b64 v[16:17], v[16:17]
	s_wait_loadcnt_dscnt 0x0
	v_cvt_f32_f64_e32 v14, v[16:17]
                                        ; implicit-def: $vgpr16_vgpr17
.LBB14_3204:                            ;   in Loop: Header=BB14_17 Depth=1
	s_wait_xcnt 0x0
	s_and_not1_saveexec_b32 s76, s76
	s_cbranch_execz .LBB14_3206
; %bb.3205:                             ;   in Loop: Header=BB14_17 Depth=1
	s_wait_loadcnt_dscnt 0x0
	flat_load_b32 v14, v[16:17]
.LBB14_3206:                            ;   in Loop: Header=BB14_17 Depth=1
	s_wait_xcnt 0x0
	s_or_b32 exec_lo, exec_lo, s76
                                        ; implicit-def: $vgpr16_vgpr17
.LBB14_3207:                            ;   in Loop: Header=BB14_17 Depth=1
	s_and_not1_saveexec_b32 s75, s75
	s_cbranch_execz .LBB14_3209
; %bb.3208:                             ;   in Loop: Header=BB14_17 Depth=1
	s_wait_loadcnt_dscnt 0x0
	flat_load_u16 v14, v[16:17]
	s_wait_loadcnt_dscnt 0x0
	v_cvt_f32_f16_e32 v14, v14
.LBB14_3209:                            ;   in Loop: Header=BB14_17 Depth=1
	s_wait_xcnt 0x0
	s_or_b32 exec_lo, exec_lo, s75
.LBB14_3210:                            ;   in Loop: Header=BB14_17 Depth=1
	s_delay_alu instid0(SALU_CYCLE_1)
	s_or_b32 exec_lo, exec_lo, s74
                                        ; implicit-def: $vgpr19
                                        ; implicit-def: $vgpr16_vgpr17
.LBB14_3211:                            ;   in Loop: Header=BB14_17 Depth=1
	s_and_not1_saveexec_b32 s73, s73
	s_cbranch_execz .LBB14_3229
; %bb.3212:                             ;   in Loop: Header=BB14_17 Depth=1
	s_mov_b32 s74, exec_lo
                                        ; implicit-def: $vgpr14
	v_cmpx_lt_i16_e32 1, v19
	s_xor_b32 s74, exec_lo, s74
	s_cbranch_execz .LBB14_3222
; %bb.3213:                             ;   in Loop: Header=BB14_17 Depth=1
	s_mov_b32 s75, exec_lo
                                        ; implicit-def: $vgpr14
	v_cmpx_lt_i16_e32 2, v19
	s_xor_b32 s75, exec_lo, s75
	;; [unrolled: 6-line block ×3, first 2 shown]
	s_cbranch_execz .LBB14_3216
; %bb.3215:                             ;   in Loop: Header=BB14_17 Depth=1
	flat_load_b64 v[16:17], v[16:17]
	s_wait_loadcnt_dscnt 0x0
	v_xor_b32_e32 v14, v16, v17
	v_cls_i32_e32 v19, v17
	s_delay_alu instid0(VALU_DEP_2) | instskip(NEXT) | instid1(VALU_DEP_1)
	v_ashrrev_i32_e32 v14, 31, v14
	v_add_nc_u32_e32 v14, 32, v14
	s_delay_alu instid0(VALU_DEP_1) | instskip(SKIP_1) | instid1(VALU_DEP_1)
	v_add_min_u32_e64 v14, v19, -1, v14
	s_wait_xcnt 0x0
	v_lshlrev_b64_e32 v[16:17], v14, v[16:17]
	v_sub_nc_u32_e32 v14, 32, v14
	s_delay_alu instid0(VALU_DEP_2) | instskip(NEXT) | instid1(VALU_DEP_1)
	v_min_u32_e32 v16, 1, v16
	v_or_b32_e32 v16, v17, v16
	s_delay_alu instid0(VALU_DEP_1) | instskip(NEXT) | instid1(VALU_DEP_1)
	v_cvt_f32_i32_e32 v16, v16
	v_ldexp_f32 v14, v16, v14
                                        ; implicit-def: $vgpr16_vgpr17
.LBB14_3216:                            ;   in Loop: Header=BB14_17 Depth=1
	s_and_not1_saveexec_b32 s76, s76
	s_cbranch_execz .LBB14_3218
; %bb.3217:                             ;   in Loop: Header=BB14_17 Depth=1
	s_wait_loadcnt_dscnt 0x0
	flat_load_b32 v14, v[16:17]
	s_wait_loadcnt_dscnt 0x0
	v_cvt_f32_i32_e32 v14, v14
.LBB14_3218:                            ;   in Loop: Header=BB14_17 Depth=1
	s_wait_xcnt 0x0
	s_or_b32 exec_lo, exec_lo, s76
                                        ; implicit-def: $vgpr16_vgpr17
.LBB14_3219:                            ;   in Loop: Header=BB14_17 Depth=1
	s_and_not1_saveexec_b32 s75, s75
	s_cbranch_execz .LBB14_3221
; %bb.3220:                             ;   in Loop: Header=BB14_17 Depth=1
	s_wait_loadcnt_dscnt 0x0
	flat_load_i16 v14, v[16:17]
	s_wait_loadcnt_dscnt 0x0
	v_cvt_f32_i32_e32 v14, v14
.LBB14_3221:                            ;   in Loop: Header=BB14_17 Depth=1
	s_wait_xcnt 0x0
	s_or_b32 exec_lo, exec_lo, s75
                                        ; implicit-def: $vgpr16_vgpr17
                                        ; implicit-def: $vgpr19
.LBB14_3222:                            ;   in Loop: Header=BB14_17 Depth=1
	s_and_not1_saveexec_b32 s74, s74
	s_cbranch_execz .LBB14_3228
; %bb.3223:                             ;   in Loop: Header=BB14_17 Depth=1
	s_mov_b32 s75, exec_lo
                                        ; implicit-def: $vgpr14
	v_cmpx_lt_i16_e32 0, v19
	s_xor_b32 s75, exec_lo, s75
	s_cbranch_execz .LBB14_3225
; %bb.3224:                             ;   in Loop: Header=BB14_17 Depth=1
	s_wait_loadcnt_dscnt 0x0
	flat_load_i8 v14, v[16:17]
                                        ; implicit-def: $vgpr16_vgpr17
	s_wait_loadcnt_dscnt 0x0
	v_cvt_f32_i32_e32 v14, v14
.LBB14_3225:                            ;   in Loop: Header=BB14_17 Depth=1
	s_wait_xcnt 0x0
	s_and_not1_saveexec_b32 s75, s75
	s_cbranch_execz .LBB14_3227
; %bb.3226:                             ;   in Loop: Header=BB14_17 Depth=1
	s_wait_loadcnt_dscnt 0x0
	flat_load_u8 v14, v[16:17]
	s_wait_loadcnt_dscnt 0x0
	v_cvt_f32_ubyte0_e32 v14, v14
.LBB14_3227:                            ;   in Loop: Header=BB14_17 Depth=1
	s_wait_xcnt 0x0
	s_or_b32 exec_lo, exec_lo, s75
.LBB14_3228:                            ;   in Loop: Header=BB14_17 Depth=1
	s_delay_alu instid0(SALU_CYCLE_1)
	s_or_b32 exec_lo, exec_lo, s74
.LBB14_3229:                            ;   in Loop: Header=BB14_17 Depth=1
	s_delay_alu instid0(SALU_CYCLE_1) | instskip(NEXT) | instid1(SALU_CYCLE_1)
	s_or_b32 exec_lo, exec_lo, s73
	s_or_b32 s72, s72, exec_lo
	s_or_b32 exec_lo, exec_lo, s60
	s_mov_b32 s73, 0
	s_and_saveexec_b32 s60, s72
	s_cbranch_execnz .LBB14_1456
	s_branch .LBB14_1457
.LBB14_3230:                            ;   in Loop: Header=BB14_17 Depth=1
	s_mov_b32 s46, -1
	s_mov_b32 s56, exec_lo
	v_cmpx_eq_u16_e32 0x80, v16
; %bb.3231:                             ;   in Loop: Header=BB14_17 Depth=1
	s_xor_b32 s46, exec_lo, -1
; %bb.3232:                             ;   in Loop: Header=BB14_17 Depth=1
	s_or_b32 exec_lo, exec_lo, s56
	s_delay_alu instid0(SALU_CYCLE_1)
	s_and_b32 s46, s46, exec_lo
	s_or_saveexec_b32 s47, s47
	v_mov_b32_e32 v14, 0x7f800001
	s_xor_b32 exec_lo, exec_lo, s47
	s_cbranch_execz .LBB14_2588
.LBB14_3233:                            ;   in Loop: Header=BB14_17 Depth=1
	v_cmp_ne_u16_e32 vcc_lo, 0, v16
	v_mov_b32_e32 v14, 0
	s_and_not1_b32 s46, s46, exec_lo
	s_and_b32 s56, vcc_lo, exec_lo
	s_delay_alu instid0(SALU_CYCLE_1)
	s_or_b32 s46, s46, s56
	s_or_b32 exec_lo, exec_lo, s47
	s_and_saveexec_b32 s47, s46
	s_cbranch_execnz .LBB14_2589
	s_branch .LBB14_2590
.LBB14_3234:                            ;   in Loop: Header=BB14_17 Depth=1
	s_mov_b32 s56, -1
	s_mov_b32 s58, exec_lo
	v_cmpx_eq_u16_e32 0x80, v16
; %bb.3235:                             ;   in Loop: Header=BB14_17 Depth=1
	s_xor_b32 s56, exec_lo, -1
; %bb.3236:                             ;   in Loop: Header=BB14_17 Depth=1
	s_or_b32 exec_lo, exec_lo, s58
	s_delay_alu instid0(SALU_CYCLE_1)
	s_and_b32 s56, s56, exec_lo
	s_or_saveexec_b32 s57, s57
	v_mov_b32_e32 v14, 0x7f800001
	s_xor_b32 exec_lo, exec_lo, s57
	s_cbranch_execz .LBB14_2693
.LBB14_3237:                            ;   in Loop: Header=BB14_17 Depth=1
	v_cmp_ne_u16_e32 vcc_lo, 0, v16
	v_mov_b32_e32 v14, 0
	s_and_not1_b32 s56, s56, exec_lo
	s_and_b32 s58, vcc_lo, exec_lo
	s_delay_alu instid0(SALU_CYCLE_1)
	s_or_b32 s56, s56, s58
	s_or_b32 exec_lo, exec_lo, s57
	s_and_saveexec_b32 s57, s56
	s_cbranch_execnz .LBB14_2694
	s_branch .LBB14_2695
.LBB14_3238:                            ;   in Loop: Header=BB14_17 Depth=1
	s_mov_b32 s58, -1
	s_mov_b32 s60, exec_lo
	v_cmpx_eq_u16_e32 0x80, v16
; %bb.3239:                             ;   in Loop: Header=BB14_17 Depth=1
	s_xor_b32 s58, exec_lo, -1
; %bb.3240:                             ;   in Loop: Header=BB14_17 Depth=1
	s_or_b32 exec_lo, exec_lo, s60
	s_delay_alu instid0(SALU_CYCLE_1)
	s_and_b32 s58, s58, exec_lo
	s_or_saveexec_b32 s59, s59
	v_mov_b32_e32 v14, 0x7f800001
	s_xor_b32 exec_lo, exec_lo, s59
	s_cbranch_execz .LBB14_1056
.LBB14_3241:                            ;   in Loop: Header=BB14_17 Depth=1
	v_cmp_ne_u16_e32 vcc_lo, 0, v16
	v_mov_b32_e32 v14, 0
	s_and_not1_b32 s58, s58, exec_lo
	s_and_b32 s60, vcc_lo, exec_lo
	s_delay_alu instid0(SALU_CYCLE_1)
	s_or_b32 s58, s58, s60
	s_or_b32 exec_lo, exec_lo, s59
	s_and_saveexec_b32 s59, s58
	s_cbranch_execnz .LBB14_1057
	s_branch .LBB14_1058
.LBB14_3242:                            ;   in Loop: Header=BB14_17 Depth=1
	s_mov_b32 s60, -1
	s_mov_b32 s62, exec_lo
	v_cmpx_eq_u16_e32 0x80, v16
; %bb.3243:                             ;   in Loop: Header=BB14_17 Depth=1
	s_xor_b32 s60, exec_lo, -1
; %bb.3244:                             ;   in Loop: Header=BB14_17 Depth=1
	s_or_b32 exec_lo, exec_lo, s62
	s_delay_alu instid0(SALU_CYCLE_1)
	s_and_b32 s60, s60, exec_lo
	s_or_saveexec_b32 s61, s61
	v_mov_b32_e32 v14, 0x7f800001
	s_xor_b32 exec_lo, exec_lo, s61
	s_cbranch_execz .LBB14_1156
.LBB14_3245:                            ;   in Loop: Header=BB14_17 Depth=1
	v_cmp_ne_u16_e32 vcc_lo, 0, v16
	v_mov_b32_e32 v14, 0
	s_and_not1_b32 s60, s60, exec_lo
	s_and_b32 s62, vcc_lo, exec_lo
	s_delay_alu instid0(SALU_CYCLE_1)
	s_or_b32 s60, s60, s62
	s_or_b32 exec_lo, exec_lo, s61
	s_and_saveexec_b32 s61, s60
	s_cbranch_execnz .LBB14_1157
	s_branch .LBB14_1158
.LBB14_3246:                            ;   in Loop: Header=BB14_17 Depth=1
	s_mov_b32 s75, exec_lo
                                        ; implicit-def: $vgpr14
	v_cmpx_lt_i16_e32 25, v19
	s_xor_b32 s75, exec_lo, s75
	s_cbranch_execz .LBB14_3278
; %bb.3247:                             ;   in Loop: Header=BB14_17 Depth=1
	s_mov_b32 s77, exec_lo
                                        ; implicit-def: $vgpr14
	v_cmpx_lt_i16_e32 28, v19
	s_xor_b32 s77, exec_lo, s77
	s_cbranch_execz .LBB14_3263
; %bb.3248:                             ;   in Loop: Header=BB14_17 Depth=1
	s_mov_b32 s78, 0
	s_mov_b32 s76, exec_lo
                                        ; implicit-def: $vgpr14
	v_cmpx_lt_i16_e32 43, v19
	s_xor_b32 s76, exec_lo, s76
	s_cbranch_execz .LBB14_3258
; %bb.3249:                             ;   in Loop: Header=BB14_17 Depth=1
	s_mov_b32 s79, exec_lo
                                        ; implicit-def: $vgpr14
	v_cmpx_lt_i16_e32 45, v19
	s_xor_b32 s79, exec_lo, s79
	s_cbranch_execz .LBB14_3253
; %bb.3250:                             ;   in Loop: Header=BB14_17 Depth=1
	s_mov_b32 s88, exec_lo
                                        ; implicit-def: $vgpr14
	v_cmpx_eq_u16_e32 46, v19
	s_cbranch_execz .LBB14_3252
; %bb.3251:                             ;   in Loop: Header=BB14_17 Depth=1
	flat_load_b32 v14, v[16:17]
	s_mov_b32 s78, exec_lo
	s_wait_loadcnt_dscnt 0x0
	v_lshlrev_b32_e32 v14, 16, v14
.LBB14_3252:                            ;   in Loop: Header=BB14_17 Depth=1
	s_wait_xcnt 0x0
	s_or_b32 exec_lo, exec_lo, s88
	s_delay_alu instid0(SALU_CYCLE_1)
	s_and_b32 s78, s78, exec_lo
                                        ; implicit-def: $vgpr19
                                        ; implicit-def: $vgpr16_vgpr17
.LBB14_3253:                            ;   in Loop: Header=BB14_17 Depth=1
	s_and_not1_saveexec_b32 s79, s79
	s_cbranch_execz .LBB14_3257
; %bb.3254:                             ;   in Loop: Header=BB14_17 Depth=1
	s_mov_b32 s89, s78
	s_mov_b32 s88, exec_lo
                                        ; implicit-def: $vgpr14
	v_cmpx_eq_u16_e32 44, v19
	s_cbranch_execz .LBB14_3256
; %bb.3255:                             ;   in Loop: Header=BB14_17 Depth=1
	flat_load_u8 v14, v[16:17]
	s_or_b32 s89, s78, exec_lo
	s_wait_loadcnt_dscnt 0x0
	v_lshlrev_b32_e32 v16, 23, v14
	v_cmp_ne_u32_e32 vcc_lo, 0xff, v14
	s_delay_alu instid0(VALU_DEP_2) | instskip(SKIP_1) | instid1(VALU_DEP_2)
	v_cndmask_b32_e32 v16, 0x7f800001, v16, vcc_lo
	v_cmp_ne_u32_e32 vcc_lo, 0, v14
	v_cndmask_b32_e32 v14, 0x400000, v16, vcc_lo
.LBB14_3256:                            ;   in Loop: Header=BB14_17 Depth=1
	s_or_b32 exec_lo, exec_lo, s88
	s_delay_alu instid0(SALU_CYCLE_1) | instskip(SKIP_1) | instid1(SALU_CYCLE_1)
	s_and_not1_b32 s78, s78, exec_lo
	s_and_b32 s88, s89, exec_lo
	s_or_b32 s78, s78, s88
.LBB14_3257:                            ;   in Loop: Header=BB14_17 Depth=1
	s_or_b32 exec_lo, exec_lo, s79
	s_delay_alu instid0(SALU_CYCLE_1)
	s_and_b32 s78, s78, exec_lo
                                        ; implicit-def: $vgpr19
                                        ; implicit-def: $vgpr16_vgpr17
.LBB14_3258:                            ;   in Loop: Header=BB14_17 Depth=1
	s_and_not1_saveexec_b32 s76, s76
	s_cbranch_execz .LBB14_3262
; %bb.3259:                             ;   in Loop: Header=BB14_17 Depth=1
	s_mov_b32 s88, s78
	s_mov_b32 s79, exec_lo
                                        ; implicit-def: $vgpr14
	v_cmpx_eq_u16_e32 29, v19
	s_cbranch_execz .LBB14_3261
; %bb.3260:                             ;   in Loop: Header=BB14_17 Depth=1
	flat_load_b64 v[16:17], v[16:17]
	s_or_b32 s88, s78, exec_lo
	s_wait_loadcnt_dscnt 0x0
	v_clz_i32_u32_e32 v14, v17
	s_delay_alu instid0(VALU_DEP_1) | instskip(SKIP_1) | instid1(VALU_DEP_1)
	v_min_u32_e32 v14, 32, v14
	s_wait_xcnt 0x0
	v_lshlrev_b64_e32 v[16:17], v14, v[16:17]
	v_sub_nc_u32_e32 v14, 32, v14
	s_delay_alu instid0(VALU_DEP_2) | instskip(NEXT) | instid1(VALU_DEP_1)
	v_min_u32_e32 v16, 1, v16
	v_or_b32_e32 v16, v17, v16
	s_delay_alu instid0(VALU_DEP_1) | instskip(NEXT) | instid1(VALU_DEP_1)
	v_cvt_f32_u32_e32 v16, v16
	v_ldexp_f32 v14, v16, v14
.LBB14_3261:                            ;   in Loop: Header=BB14_17 Depth=1
	s_or_b32 exec_lo, exec_lo, s79
	s_delay_alu instid0(SALU_CYCLE_1) | instskip(SKIP_1) | instid1(SALU_CYCLE_1)
	s_and_not1_b32 s78, s78, exec_lo
	s_and_b32 s79, s88, exec_lo
	s_or_b32 s78, s78, s79
.LBB14_3262:                            ;   in Loop: Header=BB14_17 Depth=1
	s_or_b32 exec_lo, exec_lo, s76
	s_delay_alu instid0(SALU_CYCLE_1)
	s_and_b32 s76, s78, exec_lo
                                        ; implicit-def: $vgpr19
                                        ; implicit-def: $vgpr16_vgpr17
.LBB14_3263:                            ;   in Loop: Header=BB14_17 Depth=1
	s_and_not1_saveexec_b32 s77, s77
	s_cbranch_execz .LBB14_3277
; %bb.3264:                             ;   in Loop: Header=BB14_17 Depth=1
	s_mov_b32 s78, exec_lo
                                        ; implicit-def: $vgpr14
	v_cmpx_lt_i16_e32 26, v19
	s_xor_b32 s78, exec_lo, s78
	s_cbranch_execz .LBB14_3270
; %bb.3265:                             ;   in Loop: Header=BB14_17 Depth=1
	s_mov_b32 s79, exec_lo
                                        ; implicit-def: $vgpr14
	v_cmpx_lt_i16_e32 27, v19
	s_xor_b32 s79, exec_lo, s79
	s_cbranch_execz .LBB14_3267
; %bb.3266:                             ;   in Loop: Header=BB14_17 Depth=1
	flat_load_b32 v14, v[16:17]
                                        ; implicit-def: $vgpr16_vgpr17
	s_wait_loadcnt_dscnt 0x0
	v_cvt_f32_u32_e32 v14, v14
.LBB14_3267:                            ;   in Loop: Header=BB14_17 Depth=1
	s_wait_xcnt 0x0
	s_and_not1_saveexec_b32 s79, s79
	s_cbranch_execz .LBB14_3269
; %bb.3268:                             ;   in Loop: Header=BB14_17 Depth=1
	flat_load_u16 v14, v[16:17]
	s_wait_loadcnt_dscnt 0x0
	v_cvt_f32_u32_e32 v14, v14
.LBB14_3269:                            ;   in Loop: Header=BB14_17 Depth=1
	s_wait_xcnt 0x0
	s_or_b32 exec_lo, exec_lo, s79
                                        ; implicit-def: $vgpr16_vgpr17
.LBB14_3270:                            ;   in Loop: Header=BB14_17 Depth=1
	s_and_not1_saveexec_b32 s78, s78
	s_cbranch_execz .LBB14_3276
; %bb.3271:                             ;   in Loop: Header=BB14_17 Depth=1
	flat_load_u8 v16, v[16:17]
	s_mov_b32 s79, 0
	s_mov_b32 s88, exec_lo
	s_wait_loadcnt_dscnt 0x0
	v_cmpx_lt_i16_e32 0x7f, v16
	s_xor_b32 s88, exec_lo, s88
	s_cbranch_execnz .LBB14_3614
; %bb.3272:                             ;   in Loop: Header=BB14_17 Depth=1
	s_or_saveexec_b32 s88, s88
	v_mov_b32_e32 v14, 0x7f800001
	s_xor_b32 exec_lo, exec_lo, s88
	s_cbranch_execnz .LBB14_3617
.LBB14_3273:                            ;   in Loop: Header=BB14_17 Depth=1
	s_or_b32 exec_lo, exec_lo, s88
	s_and_saveexec_b32 s88, s79
	s_cbranch_execz .LBB14_3275
.LBB14_3274:                            ;   in Loop: Header=BB14_17 Depth=1
	v_and_b32_e32 v14, 0xffff, v16
	s_delay_alu instid0(VALU_DEP_1) | instskip(SKIP_1) | instid1(VALU_DEP_2)
	v_and_b32_e32 v17, 7, v14
	v_bfe_u32 v21, v14, 3, 4
	v_clz_i32_u32_e32 v19, v17
	s_delay_alu instid0(VALU_DEP_2) | instskip(NEXT) | instid1(VALU_DEP_2)
	v_cmp_eq_u32_e32 vcc_lo, 0, v21
	v_min_u32_e32 v19, 32, v19
	s_delay_alu instid0(VALU_DEP_1) | instskip(NEXT) | instid1(VALU_DEP_1)
	v_subrev_nc_u32_e32 v20, 28, v19
	v_dual_lshlrev_b32 v14, v20, v14 :: v_dual_sub_nc_u32 v19, 29, v19
	s_delay_alu instid0(VALU_DEP_1) | instskip(NEXT) | instid1(VALU_DEP_2)
	v_dual_lshlrev_b32 v16, 24, v16 :: v_dual_bitop2_b32 v14, 7, v14 bitop3:0x40
	v_cndmask_b32_e32 v19, v21, v19, vcc_lo
	s_delay_alu instid0(VALU_DEP_2) | instskip(NEXT) | instid1(VALU_DEP_3)
	v_cndmask_b32_e32 v14, v17, v14, vcc_lo
	v_and_b32_e32 v16, 0x80000000, v16
	s_delay_alu instid0(VALU_DEP_3) | instskip(NEXT) | instid1(VALU_DEP_3)
	v_lshl_add_u32 v17, v19, 23, 0x3b800000
	v_lshlrev_b32_e32 v14, 20, v14
	s_delay_alu instid0(VALU_DEP_1)
	v_or3_b32 v14, v16, v17, v14
.LBB14_3275:                            ;   in Loop: Header=BB14_17 Depth=1
	s_or_b32 exec_lo, exec_lo, s88
.LBB14_3276:                            ;   in Loop: Header=BB14_17 Depth=1
	s_delay_alu instid0(SALU_CYCLE_1) | instskip(NEXT) | instid1(SALU_CYCLE_1)
	s_or_b32 exec_lo, exec_lo, s78
	s_or_b32 s76, s76, exec_lo
.LBB14_3277:                            ;   in Loop: Header=BB14_17 Depth=1
	s_or_b32 exec_lo, exec_lo, s77
	s_delay_alu instid0(SALU_CYCLE_1)
	s_and_b32 s76, s76, exec_lo
                                        ; implicit-def: $vgpr19
                                        ; implicit-def: $vgpr16_vgpr17
.LBB14_3278:                            ;   in Loop: Header=BB14_17 Depth=1
	s_and_not1_saveexec_b32 s75, s75
	s_cbranch_execz .LBB14_3304
; %bb.3279:                             ;   in Loop: Header=BB14_17 Depth=1
	s_mov_b32 s78, s76
	s_mov_b32 s77, exec_lo
                                        ; implicit-def: $vgpr14
	v_cmpx_lt_i16_e32 22, v19
	s_xor_b32 s77, exec_lo, s77
	s_cbranch_execz .LBB14_3293
; %bb.3280:                             ;   in Loop: Header=BB14_17 Depth=1
	s_mov_b32 s78, exec_lo
                                        ; implicit-def: $vgpr14
	v_cmpx_lt_i16_e32 23, v19
	s_xor_b32 s78, exec_lo, s78
	s_cbranch_execz .LBB14_3290
; %bb.3281:                             ;   in Loop: Header=BB14_17 Depth=1
	;; [unrolled: 6-line block ×3, first 2 shown]
	flat_load_u8 v16, v[16:17]
	s_mov_b32 s88, 0
	s_mov_b32 s89, exec_lo
	s_wait_loadcnt_dscnt 0x0
	v_cmpx_lt_i16_e32 0x7f, v16
	s_xor_b32 s89, exec_lo, s89
	s_cbranch_execnz .LBB14_3626
; %bb.3283:                             ;   in Loop: Header=BB14_17 Depth=1
	s_or_saveexec_b32 s89, s89
	v_mov_b32_e32 v14, 0x7f800001
	s_xor_b32 exec_lo, exec_lo, s89
	s_cbranch_execnz .LBB14_3629
.LBB14_3284:                            ;   in Loop: Header=BB14_17 Depth=1
	s_or_b32 exec_lo, exec_lo, s89
	s_and_saveexec_b32 s89, s88
	s_cbranch_execz .LBB14_3286
.LBB14_3285:                            ;   in Loop: Header=BB14_17 Depth=1
	v_and_b32_e32 v14, 0xffff, v16
	s_delay_alu instid0(VALU_DEP_1) | instskip(SKIP_1) | instid1(VALU_DEP_2)
	v_and_b32_e32 v17, 3, v14
	v_bfe_u32 v21, v14, 2, 5
	v_clz_i32_u32_e32 v19, v17
	s_delay_alu instid0(VALU_DEP_2) | instskip(NEXT) | instid1(VALU_DEP_2)
	v_cmp_eq_u32_e32 vcc_lo, 0, v21
	v_min_u32_e32 v19, 32, v19
	s_delay_alu instid0(VALU_DEP_1) | instskip(NEXT) | instid1(VALU_DEP_1)
	v_subrev_nc_u32_e32 v20, 29, v19
	v_dual_lshlrev_b32 v14, v20, v14 :: v_dual_sub_nc_u32 v19, 30, v19
	s_delay_alu instid0(VALU_DEP_1) | instskip(NEXT) | instid1(VALU_DEP_2)
	v_dual_lshlrev_b32 v16, 24, v16 :: v_dual_bitop2_b32 v14, 3, v14 bitop3:0x40
	v_cndmask_b32_e32 v19, v21, v19, vcc_lo
	s_delay_alu instid0(VALU_DEP_2) | instskip(NEXT) | instid1(VALU_DEP_3)
	v_cndmask_b32_e32 v14, v17, v14, vcc_lo
	v_and_b32_e32 v16, 0x80000000, v16
	s_delay_alu instid0(VALU_DEP_3) | instskip(NEXT) | instid1(VALU_DEP_3)
	v_lshl_add_u32 v17, v19, 23, 0x37800000
	v_lshlrev_b32_e32 v14, 21, v14
	s_delay_alu instid0(VALU_DEP_1)
	v_or3_b32 v14, v16, v17, v14
.LBB14_3286:                            ;   in Loop: Header=BB14_17 Depth=1
	s_or_b32 exec_lo, exec_lo, s89
                                        ; implicit-def: $vgpr16_vgpr17
.LBB14_3287:                            ;   in Loop: Header=BB14_17 Depth=1
	s_and_not1_saveexec_b32 s79, s79
	s_cbranch_execz .LBB14_3289
; %bb.3288:                             ;   in Loop: Header=BB14_17 Depth=1
	flat_load_u8 v14, v[16:17]
	s_wait_loadcnt_dscnt 0x0
	v_lshlrev_b32_e32 v14, 24, v14
	s_wait_xcnt 0x0
	s_delay_alu instid0(VALU_DEP_1) | instskip(NEXT) | instid1(VALU_DEP_1)
	v_and_b32_e32 v16, 0x7f000000, v14
	v_clz_i32_u32_e32 v17, v16
	v_add_nc_u32_e32 v20, 0x1000000, v16
	v_cmp_ne_u32_e32 vcc_lo, 0, v16
	s_delay_alu instid0(VALU_DEP_3) | instskip(NEXT) | instid1(VALU_DEP_1)
	v_min_u32_e32 v17, 32, v17
	v_sub_nc_u32_e64 v17, v17, 4 clamp
	s_delay_alu instid0(VALU_DEP_1) | instskip(NEXT) | instid1(VALU_DEP_1)
	v_dual_lshlrev_b32 v19, v17, v16 :: v_dual_lshlrev_b32 v17, 23, v17
	v_lshrrev_b32_e32 v19, 4, v19
	s_delay_alu instid0(VALU_DEP_1) | instskip(NEXT) | instid1(VALU_DEP_1)
	v_dual_sub_nc_u32 v17, v19, v17 :: v_dual_ashrrev_i32 v19, 8, v20
	v_add_nc_u32_e32 v17, 0x3c000000, v17
	s_delay_alu instid0(VALU_DEP_1) | instskip(NEXT) | instid1(VALU_DEP_1)
	v_and_or_b32 v17, 0x7f800000, v19, v17
	v_cndmask_b32_e32 v16, 0, v17, vcc_lo
	s_delay_alu instid0(VALU_DEP_1)
	v_and_or_b32 v14, 0x80000000, v14, v16
.LBB14_3289:                            ;   in Loop: Header=BB14_17 Depth=1
	s_or_b32 exec_lo, exec_lo, s79
                                        ; implicit-def: $vgpr16_vgpr17
.LBB14_3290:                            ;   in Loop: Header=BB14_17 Depth=1
	s_and_not1_saveexec_b32 s78, s78
	s_cbranch_execz .LBB14_3292
; %bb.3291:                             ;   in Loop: Header=BB14_17 Depth=1
	flat_load_u8 v14, v[16:17]
	s_wait_loadcnt_dscnt 0x0
	v_lshlrev_b32_e32 v16, 25, v14
	v_lshlrev_b16 v14, 8, v14
	s_delay_alu instid0(VALU_DEP_1) | instskip(SKIP_1) | instid1(VALU_DEP_2)
	v_and_or_b32 v19, 0x7f00, v14, 0.5
	v_bfe_i32 v14, v14, 0, 16
	v_dual_add_f32 v19, -0.5, v19 :: v_dual_lshrrev_b32 v17, 4, v16
	v_cmp_gt_u32_e32 vcc_lo, 0x8000000, v16
	s_delay_alu instid0(VALU_DEP_2) | instskip(NEXT) | instid1(VALU_DEP_1)
	v_or_b32_e32 v17, 0x70000000, v17
	v_mul_f32_e32 v17, 0x7800000, v17
	s_delay_alu instid0(VALU_DEP_1) | instskip(NEXT) | instid1(VALU_DEP_1)
	v_cndmask_b32_e32 v16, v17, v19, vcc_lo
	v_and_or_b32 v14, 0x80000000, v14, v16
.LBB14_3292:                            ;   in Loop: Header=BB14_17 Depth=1
	s_or_b32 exec_lo, exec_lo, s78
	s_delay_alu instid0(SALU_CYCLE_1)
	s_or_b32 s78, s76, exec_lo
                                        ; implicit-def: $vgpr19
                                        ; implicit-def: $vgpr16_vgpr17
.LBB14_3293:                            ;   in Loop: Header=BB14_17 Depth=1
	s_and_not1_saveexec_b32 s77, s77
	s_cbranch_execz .LBB14_3303
; %bb.3294:                             ;   in Loop: Header=BB14_17 Depth=1
	s_mov_b32 s79, s78
	s_mov_b32 s88, exec_lo
                                        ; implicit-def: $vgpr14
	v_cmpx_lt_i16_e32 14, v19
	s_xor_b32 s88, exec_lo, s88
	s_cbranch_execz .LBB14_3298
; %bb.3295:                             ;   in Loop: Header=BB14_17 Depth=1
	s_mov_b32 s79, s78
	s_mov_b32 s89, exec_lo
                                        ; implicit-def: $vgpr14
	v_cmpx_eq_u16_e32 15, v19
	s_cbranch_execz .LBB14_3297
; %bb.3296:                             ;   in Loop: Header=BB14_17 Depth=1
	flat_load_u16 v14, v[16:17]
	s_or_b32 s79, s78, exec_lo
	s_wait_loadcnt_dscnt 0x0
	v_lshlrev_b32_e32 v14, 16, v14
.LBB14_3297:                            ;   in Loop: Header=BB14_17 Depth=1
	s_wait_xcnt 0x0
	s_or_b32 exec_lo, exec_lo, s89
	s_delay_alu instid0(SALU_CYCLE_1) | instskip(SKIP_1) | instid1(SALU_CYCLE_1)
	s_and_not1_b32 s89, s78, exec_lo
	s_and_b32 s79, s79, exec_lo
                                        ; implicit-def: $vgpr19
                                        ; implicit-def: $vgpr16_vgpr17
	s_or_b32 s79, s89, s79
.LBB14_3298:                            ;   in Loop: Header=BB14_17 Depth=1
	s_and_not1_saveexec_b32 s88, s88
	s_cbranch_execz .LBB14_3302
; %bb.3299:                             ;   in Loop: Header=BB14_17 Depth=1
	s_mov_b32 s89, s79
	s_mov_b32 s90, exec_lo
                                        ; implicit-def: $vgpr14
	v_cmpx_eq_u16_e32 11, v19
	s_cbranch_execz .LBB14_3301
; %bb.3300:                             ;   in Loop: Header=BB14_17 Depth=1
	flat_load_u8 v14, v[16:17]
	s_or_b32 s89, s79, exec_lo
	s_wait_loadcnt_dscnt 0x0
	v_cmp_ne_u16_e32 vcc_lo, 0, v14
	v_cndmask_b32_e64 v14, 0, 1.0, vcc_lo
.LBB14_3301:                            ;   in Loop: Header=BB14_17 Depth=1
	s_wait_xcnt 0x0
	s_or_b32 exec_lo, exec_lo, s90
	s_delay_alu instid0(SALU_CYCLE_1) | instskip(SKIP_1) | instid1(SALU_CYCLE_1)
	s_and_not1_b32 s79, s79, exec_lo
	s_and_b32 s89, s89, exec_lo
	s_or_b32 s79, s79, s89
.LBB14_3302:                            ;   in Loop: Header=BB14_17 Depth=1
	s_or_b32 exec_lo, exec_lo, s88
	s_delay_alu instid0(SALU_CYCLE_1) | instskip(SKIP_1) | instid1(SALU_CYCLE_1)
	s_and_not1_b32 s78, s78, exec_lo
	s_and_b32 s79, s79, exec_lo
	s_or_b32 s78, s78, s79
.LBB14_3303:                            ;   in Loop: Header=BB14_17 Depth=1
	s_or_b32 exec_lo, exec_lo, s77
	s_delay_alu instid0(SALU_CYCLE_1) | instskip(SKIP_1) | instid1(SALU_CYCLE_1)
	s_and_not1_b32 s76, s76, exec_lo
	s_and_b32 s77, s78, exec_lo
	s_or_b32 s76, s76, s77
.LBB14_3304:                            ;   in Loop: Header=BB14_17 Depth=1
	s_or_b32 exec_lo, exec_lo, s75
	s_delay_alu instid0(SALU_CYCLE_1)
	s_and_b32 s75, s76, exec_lo
                                        ; implicit-def: $vgpr19
                                        ; implicit-def: $vgpr16_vgpr17
	s_and_not1_saveexec_b32 s63, s63
	s_cbranch_execz .LBB14_1566
.LBB14_3305:                            ;   in Loop: Header=BB14_17 Depth=1
	s_mov_b32 s76, exec_lo
                                        ; implicit-def: $vgpr14
	v_cmpx_lt_i16_e32 4, v19
	s_xor_b32 s76, exec_lo, s76
	s_cbranch_execz .LBB14_3327
; %bb.3306:                             ;   in Loop: Header=BB14_17 Depth=1
	s_mov_b32 s77, exec_lo
                                        ; implicit-def: $vgpr14
	v_cmpx_lt_i16_e32 7, v19
	s_xor_b32 s77, exec_lo, s77
	s_cbranch_execz .LBB14_3316
; %bb.3307:                             ;   in Loop: Header=BB14_17 Depth=1
	;; [unrolled: 6-line block ×4, first 2 shown]
	flat_load_b64 v[16:17], v[16:17]
	s_wait_loadcnt_dscnt 0x0
	v_cvt_f32_f64_e32 v14, v[16:17]
                                        ; implicit-def: $vgpr16_vgpr17
.LBB14_3310:                            ;   in Loop: Header=BB14_17 Depth=1
	s_wait_xcnt 0x0
	s_and_not1_saveexec_b32 s79, s79
	s_cbranch_execz .LBB14_3312
; %bb.3311:                             ;   in Loop: Header=BB14_17 Depth=1
	flat_load_b32 v14, v[16:17]
.LBB14_3312:                            ;   in Loop: Header=BB14_17 Depth=1
	s_wait_xcnt 0x0
	s_or_b32 exec_lo, exec_lo, s79
                                        ; implicit-def: $vgpr16_vgpr17
.LBB14_3313:                            ;   in Loop: Header=BB14_17 Depth=1
	s_and_not1_saveexec_b32 s78, s78
	s_cbranch_execz .LBB14_3315
; %bb.3314:                             ;   in Loop: Header=BB14_17 Depth=1
	s_wait_loadcnt_dscnt 0x0
	flat_load_b32 v14, v[16:17]
	s_wait_loadcnt_dscnt 0x0
	v_cvt_f32_f16_e32 v14, v14
.LBB14_3315:                            ;   in Loop: Header=BB14_17 Depth=1
	s_wait_xcnt 0x0
	s_or_b32 exec_lo, exec_lo, s78
                                        ; implicit-def: $vgpr16_vgpr17
                                        ; implicit-def: $vgpr19
.LBB14_3316:                            ;   in Loop: Header=BB14_17 Depth=1
	s_and_not1_saveexec_b32 s77, s77
	s_cbranch_execz .LBB14_3326
; %bb.3317:                             ;   in Loop: Header=BB14_17 Depth=1
	s_mov_b32 s78, exec_lo
                                        ; implicit-def: $vgpr14
	v_cmpx_lt_i16_e32 5, v19
	s_xor_b32 s78, exec_lo, s78
	s_cbranch_execz .LBB14_3323
; %bb.3318:                             ;   in Loop: Header=BB14_17 Depth=1
	s_mov_b32 s79, exec_lo
                                        ; implicit-def: $vgpr14
	v_cmpx_lt_i16_e32 6, v19
	s_xor_b32 s79, exec_lo, s79
	s_cbranch_execz .LBB14_3320
; %bb.3319:                             ;   in Loop: Header=BB14_17 Depth=1
	flat_load_b64 v[16:17], v[16:17]
	s_wait_loadcnt_dscnt 0x0
	v_cvt_f32_f64_e32 v14, v[16:17]
                                        ; implicit-def: $vgpr16_vgpr17
.LBB14_3320:                            ;   in Loop: Header=BB14_17 Depth=1
	s_wait_xcnt 0x0
	s_and_not1_saveexec_b32 s79, s79
	s_cbranch_execz .LBB14_3322
; %bb.3321:                             ;   in Loop: Header=BB14_17 Depth=1
	s_wait_loadcnt_dscnt 0x0
	flat_load_b32 v14, v[16:17]
.LBB14_3322:                            ;   in Loop: Header=BB14_17 Depth=1
	s_wait_xcnt 0x0
	s_or_b32 exec_lo, exec_lo, s79
                                        ; implicit-def: $vgpr16_vgpr17
.LBB14_3323:                            ;   in Loop: Header=BB14_17 Depth=1
	s_and_not1_saveexec_b32 s78, s78
	s_cbranch_execz .LBB14_3325
; %bb.3324:                             ;   in Loop: Header=BB14_17 Depth=1
	s_wait_loadcnt_dscnt 0x0
	flat_load_u16 v14, v[16:17]
	s_wait_loadcnt_dscnt 0x0
	v_cvt_f32_f16_e32 v14, v14
.LBB14_3325:                            ;   in Loop: Header=BB14_17 Depth=1
	s_wait_xcnt 0x0
	s_or_b32 exec_lo, exec_lo, s78
.LBB14_3326:                            ;   in Loop: Header=BB14_17 Depth=1
	s_delay_alu instid0(SALU_CYCLE_1)
	s_or_b32 exec_lo, exec_lo, s77
                                        ; implicit-def: $vgpr19
                                        ; implicit-def: $vgpr16_vgpr17
.LBB14_3327:                            ;   in Loop: Header=BB14_17 Depth=1
	s_and_not1_saveexec_b32 s76, s76
	s_cbranch_execz .LBB14_3345
; %bb.3328:                             ;   in Loop: Header=BB14_17 Depth=1
	s_mov_b32 s77, exec_lo
                                        ; implicit-def: $vgpr14
	v_cmpx_lt_i16_e32 1, v19
	s_xor_b32 s77, exec_lo, s77
	s_cbranch_execz .LBB14_3338
; %bb.3329:                             ;   in Loop: Header=BB14_17 Depth=1
	s_mov_b32 s78, exec_lo
                                        ; implicit-def: $vgpr14
	v_cmpx_lt_i16_e32 2, v19
	s_xor_b32 s78, exec_lo, s78
	;; [unrolled: 6-line block ×3, first 2 shown]
	s_cbranch_execz .LBB14_3332
; %bb.3331:                             ;   in Loop: Header=BB14_17 Depth=1
	flat_load_b64 v[16:17], v[16:17]
	s_wait_loadcnt_dscnt 0x0
	v_xor_b32_e32 v14, v16, v17
	v_cls_i32_e32 v19, v17
	s_delay_alu instid0(VALU_DEP_2) | instskip(NEXT) | instid1(VALU_DEP_1)
	v_ashrrev_i32_e32 v14, 31, v14
	v_add_nc_u32_e32 v14, 32, v14
	s_delay_alu instid0(VALU_DEP_1) | instskip(SKIP_1) | instid1(VALU_DEP_1)
	v_add_min_u32_e64 v14, v19, -1, v14
	s_wait_xcnt 0x0
	v_lshlrev_b64_e32 v[16:17], v14, v[16:17]
	v_sub_nc_u32_e32 v14, 32, v14
	s_delay_alu instid0(VALU_DEP_2) | instskip(NEXT) | instid1(VALU_DEP_1)
	v_min_u32_e32 v16, 1, v16
	v_or_b32_e32 v16, v17, v16
	s_delay_alu instid0(VALU_DEP_1) | instskip(NEXT) | instid1(VALU_DEP_1)
	v_cvt_f32_i32_e32 v16, v16
	v_ldexp_f32 v14, v16, v14
                                        ; implicit-def: $vgpr16_vgpr17
.LBB14_3332:                            ;   in Loop: Header=BB14_17 Depth=1
	s_and_not1_saveexec_b32 s79, s79
	s_cbranch_execz .LBB14_3334
; %bb.3333:                             ;   in Loop: Header=BB14_17 Depth=1
	s_wait_loadcnt_dscnt 0x0
	flat_load_b32 v14, v[16:17]
	s_wait_loadcnt_dscnt 0x0
	v_cvt_f32_i32_e32 v14, v14
.LBB14_3334:                            ;   in Loop: Header=BB14_17 Depth=1
	s_wait_xcnt 0x0
	s_or_b32 exec_lo, exec_lo, s79
                                        ; implicit-def: $vgpr16_vgpr17
.LBB14_3335:                            ;   in Loop: Header=BB14_17 Depth=1
	s_and_not1_saveexec_b32 s78, s78
	s_cbranch_execz .LBB14_3337
; %bb.3336:                             ;   in Loop: Header=BB14_17 Depth=1
	s_wait_loadcnt_dscnt 0x0
	flat_load_i16 v14, v[16:17]
	s_wait_loadcnt_dscnt 0x0
	v_cvt_f32_i32_e32 v14, v14
.LBB14_3337:                            ;   in Loop: Header=BB14_17 Depth=1
	s_wait_xcnt 0x0
	s_or_b32 exec_lo, exec_lo, s78
                                        ; implicit-def: $vgpr16_vgpr17
                                        ; implicit-def: $vgpr19
.LBB14_3338:                            ;   in Loop: Header=BB14_17 Depth=1
	s_and_not1_saveexec_b32 s77, s77
	s_cbranch_execz .LBB14_3344
; %bb.3339:                             ;   in Loop: Header=BB14_17 Depth=1
	s_mov_b32 s78, exec_lo
                                        ; implicit-def: $vgpr14
	v_cmpx_lt_i16_e32 0, v19
	s_xor_b32 s78, exec_lo, s78
	s_cbranch_execz .LBB14_3341
; %bb.3340:                             ;   in Loop: Header=BB14_17 Depth=1
	s_wait_loadcnt_dscnt 0x0
	flat_load_i8 v14, v[16:17]
                                        ; implicit-def: $vgpr16_vgpr17
	s_wait_loadcnt_dscnt 0x0
	v_cvt_f32_i32_e32 v14, v14
.LBB14_3341:                            ;   in Loop: Header=BB14_17 Depth=1
	s_wait_xcnt 0x0
	s_and_not1_saveexec_b32 s78, s78
	s_cbranch_execz .LBB14_3343
; %bb.3342:                             ;   in Loop: Header=BB14_17 Depth=1
	s_wait_loadcnt_dscnt 0x0
	flat_load_u8 v14, v[16:17]
	s_wait_loadcnt_dscnt 0x0
	v_cvt_f32_ubyte0_e32 v14, v14
.LBB14_3343:                            ;   in Loop: Header=BB14_17 Depth=1
	s_wait_xcnt 0x0
	s_or_b32 exec_lo, exec_lo, s78
.LBB14_3344:                            ;   in Loop: Header=BB14_17 Depth=1
	s_delay_alu instid0(SALU_CYCLE_1)
	s_or_b32 exec_lo, exec_lo, s77
.LBB14_3345:                            ;   in Loop: Header=BB14_17 Depth=1
	s_delay_alu instid0(SALU_CYCLE_1) | instskip(NEXT) | instid1(SALU_CYCLE_1)
	s_or_b32 exec_lo, exec_lo, s76
	s_or_b32 s75, s75, exec_lo
	s_or_b32 exec_lo, exec_lo, s63
	s_mov_b32 s76, 0
	s_and_saveexec_b32 s63, s75
	s_cbranch_execnz .LBB14_1567
	s_branch .LBB14_1568
.LBB14_3346:                            ;   in Loop: Header=BB14_17 Depth=1
	s_mov_b32 s57, -1
	s_mov_b32 s59, exec_lo
	v_cmpx_eq_u16_e32 0x80, v16
; %bb.3347:                             ;   in Loop: Header=BB14_17 Depth=1
	s_xor_b32 s57, exec_lo, -1
; %bb.3348:                             ;   in Loop: Header=BB14_17 Depth=1
	s_or_b32 exec_lo, exec_lo, s59
	s_delay_alu instid0(SALU_CYCLE_1)
	s_and_b32 s57, s57, exec_lo
	s_or_saveexec_b32 s58, s58
	v_mov_b32_e32 v14, 0x7f800001
	s_xor_b32 exec_lo, exec_lo, s58
	s_cbranch_execz .LBB14_2704
.LBB14_3349:                            ;   in Loop: Header=BB14_17 Depth=1
	v_cmp_ne_u16_e32 vcc_lo, 0, v16
	v_mov_b32_e32 v14, 0
	s_and_not1_b32 s57, s57, exec_lo
	s_and_b32 s59, vcc_lo, exec_lo
	s_delay_alu instid0(SALU_CYCLE_1)
	s_or_b32 s57, s57, s59
	s_or_b32 exec_lo, exec_lo, s58
	s_and_saveexec_b32 s58, s57
	s_cbranch_execnz .LBB14_2705
	s_branch .LBB14_2706
.LBB14_3350:                            ;   in Loop: Header=BB14_17 Depth=1
	s_mov_b32 s59, -1
	s_mov_b32 s61, exec_lo
	v_cmpx_eq_u16_e32 0x80, v16
; %bb.3351:                             ;   in Loop: Header=BB14_17 Depth=1
	s_xor_b32 s59, exec_lo, -1
; %bb.3352:                             ;   in Loop: Header=BB14_17 Depth=1
	s_or_b32 exec_lo, exec_lo, s61
	s_delay_alu instid0(SALU_CYCLE_1)
	s_and_b32 s59, s59, exec_lo
	s_or_saveexec_b32 s60, s60
	v_mov_b32_e32 v14, 0x7f800001
	s_xor_b32 exec_lo, exec_lo, s60
	s_cbranch_execz .LBB14_2809
.LBB14_3353:                            ;   in Loop: Header=BB14_17 Depth=1
	v_cmp_ne_u16_e32 vcc_lo, 0, v16
	v_mov_b32_e32 v14, 0
	s_and_not1_b32 s59, s59, exec_lo
	s_and_b32 s61, vcc_lo, exec_lo
	s_delay_alu instid0(SALU_CYCLE_1)
	s_or_b32 s59, s59, s61
	s_or_b32 exec_lo, exec_lo, s60
	s_and_saveexec_b32 s60, s59
	s_cbranch_execnz .LBB14_2810
	s_branch .LBB14_2811
.LBB14_3354:                            ;   in Loop: Header=BB14_17 Depth=1
	s_mov_b32 s61, -1
	s_mov_b32 s63, exec_lo
	v_cmpx_eq_u16_e32 0x80, v16
; %bb.3355:                             ;   in Loop: Header=BB14_17 Depth=1
	s_xor_b32 s61, exec_lo, -1
; %bb.3356:                             ;   in Loop: Header=BB14_17 Depth=1
	s_or_b32 exec_lo, exec_lo, s63
	s_delay_alu instid0(SALU_CYCLE_1)
	s_and_b32 s61, s61, exec_lo
	s_or_saveexec_b32 s62, s62
	v_mov_b32_e32 v14, 0x7f800001
	s_xor_b32 exec_lo, exec_lo, s62
	s_cbranch_execz .LBB14_1167
.LBB14_3357:                            ;   in Loop: Header=BB14_17 Depth=1
	v_cmp_ne_u16_e32 vcc_lo, 0, v16
	v_mov_b32_e32 v14, 0
	s_and_not1_b32 s61, s61, exec_lo
	s_and_b32 s63, vcc_lo, exec_lo
	s_delay_alu instid0(SALU_CYCLE_1)
	s_or_b32 s61, s61, s63
	s_or_b32 exec_lo, exec_lo, s62
	s_and_saveexec_b32 s62, s61
	s_cbranch_execnz .LBB14_1168
	s_branch .LBB14_1169
.LBB14_3358:                            ;   in Loop: Header=BB14_17 Depth=1
	s_mov_b32 s63, -1
	s_mov_b32 s73, exec_lo
	v_cmpx_eq_u16_e32 0x80, v16
; %bb.3359:                             ;   in Loop: Header=BB14_17 Depth=1
	s_xor_b32 s63, exec_lo, -1
; %bb.3360:                             ;   in Loop: Header=BB14_17 Depth=1
	s_or_b32 exec_lo, exec_lo, s73
	s_delay_alu instid0(SALU_CYCLE_1)
	s_and_b32 s63, s63, exec_lo
	s_or_saveexec_b32 s72, s72
	v_mov_b32_e32 v14, 0x7f800001
	s_xor_b32 exec_lo, exec_lo, s72
	s_cbranch_execz .LBB14_1267
.LBB14_3361:                            ;   in Loop: Header=BB14_17 Depth=1
	v_cmp_ne_u16_e32 vcc_lo, 0, v16
	v_mov_b32_e32 v14, 0
	s_and_not1_b32 s63, s63, exec_lo
	s_and_b32 s73, vcc_lo, exec_lo
	s_delay_alu instid0(SALU_CYCLE_1)
	s_or_b32 s63, s63, s73
	s_or_b32 exec_lo, exec_lo, s72
	s_and_saveexec_b32 s72, s63
	s_cbranch_execnz .LBB14_1268
	s_branch .LBB14_1269
.LBB14_3362:                            ;   in Loop: Header=BB14_17 Depth=1
	s_mov_b32 s78, exec_lo
                                        ; implicit-def: $vgpr14
	v_cmpx_lt_i16_e32 25, v19
	s_xor_b32 s78, exec_lo, s78
	s_cbranch_execz .LBB14_3394
; %bb.3363:                             ;   in Loop: Header=BB14_17 Depth=1
	s_mov_b32 s88, exec_lo
                                        ; implicit-def: $vgpr14
	v_cmpx_lt_i16_e32 28, v19
	s_xor_b32 s88, exec_lo, s88
	s_cbranch_execz .LBB14_3379
; %bb.3364:                             ;   in Loop: Header=BB14_17 Depth=1
	s_mov_b32 s89, 0
	s_mov_b32 s79, exec_lo
                                        ; implicit-def: $vgpr14
	v_cmpx_lt_i16_e32 43, v19
	s_xor_b32 s79, exec_lo, s79
	s_cbranch_execz .LBB14_3374
; %bb.3365:                             ;   in Loop: Header=BB14_17 Depth=1
	s_mov_b32 s90, exec_lo
                                        ; implicit-def: $vgpr14
	v_cmpx_lt_i16_e32 45, v19
	s_xor_b32 s90, exec_lo, s90
	s_cbranch_execz .LBB14_3369
; %bb.3366:                             ;   in Loop: Header=BB14_17 Depth=1
	s_mov_b32 s91, exec_lo
                                        ; implicit-def: $vgpr14
	v_cmpx_eq_u16_e32 46, v19
	s_cbranch_execz .LBB14_3368
; %bb.3367:                             ;   in Loop: Header=BB14_17 Depth=1
	flat_load_b32 v14, v[16:17]
	s_mov_b32 s89, exec_lo
	s_wait_loadcnt_dscnt 0x0
	v_lshlrev_b32_e32 v14, 16, v14
.LBB14_3368:                            ;   in Loop: Header=BB14_17 Depth=1
	s_wait_xcnt 0x0
	s_or_b32 exec_lo, exec_lo, s91
	s_delay_alu instid0(SALU_CYCLE_1)
	s_and_b32 s89, s89, exec_lo
                                        ; implicit-def: $vgpr19
                                        ; implicit-def: $vgpr16_vgpr17
.LBB14_3369:                            ;   in Loop: Header=BB14_17 Depth=1
	s_and_not1_saveexec_b32 s90, s90
	s_cbranch_execz .LBB14_3373
; %bb.3370:                             ;   in Loop: Header=BB14_17 Depth=1
	s_mov_b32 s92, s89
	s_mov_b32 s91, exec_lo
                                        ; implicit-def: $vgpr14
	v_cmpx_eq_u16_e32 44, v19
	s_cbranch_execz .LBB14_3372
; %bb.3371:                             ;   in Loop: Header=BB14_17 Depth=1
	flat_load_u8 v14, v[16:17]
	s_or_b32 s92, s89, exec_lo
	s_wait_loadcnt_dscnt 0x0
	v_lshlrev_b32_e32 v16, 23, v14
	v_cmp_ne_u32_e32 vcc_lo, 0xff, v14
	s_delay_alu instid0(VALU_DEP_2) | instskip(SKIP_1) | instid1(VALU_DEP_2)
	v_cndmask_b32_e32 v16, 0x7f800001, v16, vcc_lo
	v_cmp_ne_u32_e32 vcc_lo, 0, v14
	v_cndmask_b32_e32 v14, 0x400000, v16, vcc_lo
.LBB14_3372:                            ;   in Loop: Header=BB14_17 Depth=1
	s_or_b32 exec_lo, exec_lo, s91
	s_delay_alu instid0(SALU_CYCLE_1) | instskip(SKIP_1) | instid1(SALU_CYCLE_1)
	s_and_not1_b32 s89, s89, exec_lo
	s_and_b32 s91, s92, exec_lo
	s_or_b32 s89, s89, s91
.LBB14_3373:                            ;   in Loop: Header=BB14_17 Depth=1
	s_or_b32 exec_lo, exec_lo, s90
	s_delay_alu instid0(SALU_CYCLE_1)
	s_and_b32 s89, s89, exec_lo
                                        ; implicit-def: $vgpr19
                                        ; implicit-def: $vgpr16_vgpr17
.LBB14_3374:                            ;   in Loop: Header=BB14_17 Depth=1
	s_and_not1_saveexec_b32 s79, s79
	s_cbranch_execz .LBB14_3378
; %bb.3375:                             ;   in Loop: Header=BB14_17 Depth=1
	s_mov_b32 s91, s89
	s_mov_b32 s90, exec_lo
                                        ; implicit-def: $vgpr14
	v_cmpx_eq_u16_e32 29, v19
	s_cbranch_execz .LBB14_3377
; %bb.3376:                             ;   in Loop: Header=BB14_17 Depth=1
	flat_load_b64 v[16:17], v[16:17]
	s_or_b32 s91, s89, exec_lo
	s_wait_loadcnt_dscnt 0x0
	v_clz_i32_u32_e32 v14, v17
	s_delay_alu instid0(VALU_DEP_1) | instskip(SKIP_1) | instid1(VALU_DEP_1)
	v_min_u32_e32 v14, 32, v14
	s_wait_xcnt 0x0
	v_lshlrev_b64_e32 v[16:17], v14, v[16:17]
	v_sub_nc_u32_e32 v14, 32, v14
	s_delay_alu instid0(VALU_DEP_2) | instskip(NEXT) | instid1(VALU_DEP_1)
	v_min_u32_e32 v16, 1, v16
	v_or_b32_e32 v16, v17, v16
	s_delay_alu instid0(VALU_DEP_1) | instskip(NEXT) | instid1(VALU_DEP_1)
	v_cvt_f32_u32_e32 v16, v16
	v_ldexp_f32 v14, v16, v14
.LBB14_3377:                            ;   in Loop: Header=BB14_17 Depth=1
	s_or_b32 exec_lo, exec_lo, s90
	s_delay_alu instid0(SALU_CYCLE_1) | instskip(SKIP_1) | instid1(SALU_CYCLE_1)
	s_and_not1_b32 s89, s89, exec_lo
	s_and_b32 s90, s91, exec_lo
	s_or_b32 s89, s89, s90
.LBB14_3378:                            ;   in Loop: Header=BB14_17 Depth=1
	s_or_b32 exec_lo, exec_lo, s79
	s_delay_alu instid0(SALU_CYCLE_1)
	s_and_b32 s79, s89, exec_lo
                                        ; implicit-def: $vgpr19
                                        ; implicit-def: $vgpr16_vgpr17
.LBB14_3379:                            ;   in Loop: Header=BB14_17 Depth=1
	s_and_not1_saveexec_b32 s88, s88
	s_cbranch_execz .LBB14_3393
; %bb.3380:                             ;   in Loop: Header=BB14_17 Depth=1
	s_mov_b32 s89, exec_lo
                                        ; implicit-def: $vgpr14
	v_cmpx_lt_i16_e32 26, v19
	s_xor_b32 s89, exec_lo, s89
	s_cbranch_execz .LBB14_3386
; %bb.3381:                             ;   in Loop: Header=BB14_17 Depth=1
	s_mov_b32 s90, exec_lo
                                        ; implicit-def: $vgpr14
	v_cmpx_lt_i16_e32 27, v19
	s_xor_b32 s90, exec_lo, s90
	s_cbranch_execz .LBB14_3383
; %bb.3382:                             ;   in Loop: Header=BB14_17 Depth=1
	flat_load_b32 v14, v[16:17]
                                        ; implicit-def: $vgpr16_vgpr17
	s_wait_loadcnt_dscnt 0x0
	v_cvt_f32_u32_e32 v14, v14
.LBB14_3383:                            ;   in Loop: Header=BB14_17 Depth=1
	s_wait_xcnt 0x0
	s_and_not1_saveexec_b32 s90, s90
	s_cbranch_execz .LBB14_3385
; %bb.3384:                             ;   in Loop: Header=BB14_17 Depth=1
	flat_load_u16 v14, v[16:17]
	s_wait_loadcnt_dscnt 0x0
	v_cvt_f32_u32_e32 v14, v14
.LBB14_3385:                            ;   in Loop: Header=BB14_17 Depth=1
	s_wait_xcnt 0x0
	s_or_b32 exec_lo, exec_lo, s90
                                        ; implicit-def: $vgpr16_vgpr17
.LBB14_3386:                            ;   in Loop: Header=BB14_17 Depth=1
	s_and_not1_saveexec_b32 s89, s89
	s_cbranch_execz .LBB14_3392
; %bb.3387:                             ;   in Loop: Header=BB14_17 Depth=1
	flat_load_u8 v16, v[16:17]
	s_mov_b32 s90, 0
	s_mov_b32 s91, exec_lo
	s_wait_loadcnt_dscnt 0x0
	v_cmpx_lt_i16_e32 0x7f, v16
	s_xor_b32 s91, exec_lo, s91
	s_cbranch_execnz .LBB14_3630
; %bb.3388:                             ;   in Loop: Header=BB14_17 Depth=1
	s_or_saveexec_b32 s91, s91
	v_mov_b32_e32 v14, 0x7f800001
	s_xor_b32 exec_lo, exec_lo, s91
	s_cbranch_execnz .LBB14_3633
.LBB14_3389:                            ;   in Loop: Header=BB14_17 Depth=1
	s_or_b32 exec_lo, exec_lo, s91
	s_and_saveexec_b32 s91, s90
	s_cbranch_execz .LBB14_3391
.LBB14_3390:                            ;   in Loop: Header=BB14_17 Depth=1
	v_and_b32_e32 v14, 0xffff, v16
	s_delay_alu instid0(VALU_DEP_1) | instskip(SKIP_1) | instid1(VALU_DEP_2)
	v_and_b32_e32 v17, 7, v14
	v_bfe_u32 v21, v14, 3, 4
	v_clz_i32_u32_e32 v19, v17
	s_delay_alu instid0(VALU_DEP_2) | instskip(NEXT) | instid1(VALU_DEP_2)
	v_cmp_eq_u32_e32 vcc_lo, 0, v21
	v_min_u32_e32 v19, 32, v19
	s_delay_alu instid0(VALU_DEP_1) | instskip(NEXT) | instid1(VALU_DEP_1)
	v_subrev_nc_u32_e32 v20, 28, v19
	v_dual_lshlrev_b32 v14, v20, v14 :: v_dual_sub_nc_u32 v19, 29, v19
	s_delay_alu instid0(VALU_DEP_1) | instskip(NEXT) | instid1(VALU_DEP_2)
	v_dual_lshlrev_b32 v16, 24, v16 :: v_dual_bitop2_b32 v14, 7, v14 bitop3:0x40
	v_cndmask_b32_e32 v19, v21, v19, vcc_lo
	s_delay_alu instid0(VALU_DEP_2) | instskip(NEXT) | instid1(VALU_DEP_3)
	v_cndmask_b32_e32 v14, v17, v14, vcc_lo
	v_and_b32_e32 v16, 0x80000000, v16
	s_delay_alu instid0(VALU_DEP_3) | instskip(NEXT) | instid1(VALU_DEP_3)
	v_lshl_add_u32 v17, v19, 23, 0x3b800000
	v_lshlrev_b32_e32 v14, 20, v14
	s_delay_alu instid0(VALU_DEP_1)
	v_or3_b32 v14, v16, v17, v14
.LBB14_3391:                            ;   in Loop: Header=BB14_17 Depth=1
	s_or_b32 exec_lo, exec_lo, s91
.LBB14_3392:                            ;   in Loop: Header=BB14_17 Depth=1
	s_delay_alu instid0(SALU_CYCLE_1) | instskip(NEXT) | instid1(SALU_CYCLE_1)
	s_or_b32 exec_lo, exec_lo, s89
	s_or_b32 s79, s79, exec_lo
.LBB14_3393:                            ;   in Loop: Header=BB14_17 Depth=1
	s_or_b32 exec_lo, exec_lo, s88
	s_delay_alu instid0(SALU_CYCLE_1)
	s_and_b32 s79, s79, exec_lo
                                        ; implicit-def: $vgpr19
                                        ; implicit-def: $vgpr16_vgpr17
.LBB14_3394:                            ;   in Loop: Header=BB14_17 Depth=1
	s_and_not1_saveexec_b32 s78, s78
	s_cbranch_execz .LBB14_3420
; %bb.3395:                             ;   in Loop: Header=BB14_17 Depth=1
	s_mov_b32 s89, s79
	s_mov_b32 s88, exec_lo
                                        ; implicit-def: $vgpr14
	v_cmpx_lt_i16_e32 22, v19
	s_xor_b32 s88, exec_lo, s88
	s_cbranch_execz .LBB14_3409
; %bb.3396:                             ;   in Loop: Header=BB14_17 Depth=1
	s_mov_b32 s89, exec_lo
                                        ; implicit-def: $vgpr14
	v_cmpx_lt_i16_e32 23, v19
	s_xor_b32 s89, exec_lo, s89
	s_cbranch_execz .LBB14_3406
; %bb.3397:                             ;   in Loop: Header=BB14_17 Depth=1
	;; [unrolled: 6-line block ×3, first 2 shown]
	flat_load_u8 v16, v[16:17]
	s_mov_b32 s91, 0
	s_mov_b32 s92, exec_lo
	s_wait_loadcnt_dscnt 0x0
	v_cmpx_lt_i16_e32 0x7f, v16
	s_xor_b32 s92, exec_lo, s92
	s_cbranch_execnz .LBB14_3638
; %bb.3399:                             ;   in Loop: Header=BB14_17 Depth=1
	s_or_saveexec_b32 s92, s92
	v_mov_b32_e32 v14, 0x7f800001
	s_xor_b32 exec_lo, exec_lo, s92
	s_cbranch_execnz .LBB14_3641
.LBB14_3400:                            ;   in Loop: Header=BB14_17 Depth=1
	s_or_b32 exec_lo, exec_lo, s92
	s_and_saveexec_b32 s92, s91
	s_cbranch_execz .LBB14_3402
.LBB14_3401:                            ;   in Loop: Header=BB14_17 Depth=1
	v_and_b32_e32 v14, 0xffff, v16
	s_delay_alu instid0(VALU_DEP_1) | instskip(SKIP_1) | instid1(VALU_DEP_2)
	v_and_b32_e32 v17, 3, v14
	v_bfe_u32 v21, v14, 2, 5
	v_clz_i32_u32_e32 v19, v17
	s_delay_alu instid0(VALU_DEP_2) | instskip(NEXT) | instid1(VALU_DEP_2)
	v_cmp_eq_u32_e32 vcc_lo, 0, v21
	v_min_u32_e32 v19, 32, v19
	s_delay_alu instid0(VALU_DEP_1) | instskip(NEXT) | instid1(VALU_DEP_1)
	v_subrev_nc_u32_e32 v20, 29, v19
	v_dual_lshlrev_b32 v14, v20, v14 :: v_dual_sub_nc_u32 v19, 30, v19
	s_delay_alu instid0(VALU_DEP_1) | instskip(NEXT) | instid1(VALU_DEP_2)
	v_dual_lshlrev_b32 v16, 24, v16 :: v_dual_bitop2_b32 v14, 3, v14 bitop3:0x40
	v_cndmask_b32_e32 v19, v21, v19, vcc_lo
	s_delay_alu instid0(VALU_DEP_2) | instskip(NEXT) | instid1(VALU_DEP_3)
	v_cndmask_b32_e32 v14, v17, v14, vcc_lo
	v_and_b32_e32 v16, 0x80000000, v16
	s_delay_alu instid0(VALU_DEP_3) | instskip(NEXT) | instid1(VALU_DEP_3)
	v_lshl_add_u32 v17, v19, 23, 0x37800000
	v_lshlrev_b32_e32 v14, 21, v14
	s_delay_alu instid0(VALU_DEP_1)
	v_or3_b32 v14, v16, v17, v14
.LBB14_3402:                            ;   in Loop: Header=BB14_17 Depth=1
	s_or_b32 exec_lo, exec_lo, s92
                                        ; implicit-def: $vgpr16_vgpr17
.LBB14_3403:                            ;   in Loop: Header=BB14_17 Depth=1
	s_and_not1_saveexec_b32 s90, s90
	s_cbranch_execz .LBB14_3405
; %bb.3404:                             ;   in Loop: Header=BB14_17 Depth=1
	flat_load_u8 v14, v[16:17]
	s_wait_loadcnt_dscnt 0x0
	v_lshlrev_b32_e32 v14, 24, v14
	s_wait_xcnt 0x0
	s_delay_alu instid0(VALU_DEP_1) | instskip(NEXT) | instid1(VALU_DEP_1)
	v_and_b32_e32 v16, 0x7f000000, v14
	v_clz_i32_u32_e32 v17, v16
	v_add_nc_u32_e32 v20, 0x1000000, v16
	v_cmp_ne_u32_e32 vcc_lo, 0, v16
	s_delay_alu instid0(VALU_DEP_3) | instskip(NEXT) | instid1(VALU_DEP_1)
	v_min_u32_e32 v17, 32, v17
	v_sub_nc_u32_e64 v17, v17, 4 clamp
	s_delay_alu instid0(VALU_DEP_1) | instskip(NEXT) | instid1(VALU_DEP_1)
	v_dual_lshlrev_b32 v19, v17, v16 :: v_dual_lshlrev_b32 v17, 23, v17
	v_lshrrev_b32_e32 v19, 4, v19
	s_delay_alu instid0(VALU_DEP_1) | instskip(NEXT) | instid1(VALU_DEP_1)
	v_dual_sub_nc_u32 v17, v19, v17 :: v_dual_ashrrev_i32 v19, 8, v20
	v_add_nc_u32_e32 v17, 0x3c000000, v17
	s_delay_alu instid0(VALU_DEP_1) | instskip(NEXT) | instid1(VALU_DEP_1)
	v_and_or_b32 v17, 0x7f800000, v19, v17
	v_cndmask_b32_e32 v16, 0, v17, vcc_lo
	s_delay_alu instid0(VALU_DEP_1)
	v_and_or_b32 v14, 0x80000000, v14, v16
.LBB14_3405:                            ;   in Loop: Header=BB14_17 Depth=1
	s_or_b32 exec_lo, exec_lo, s90
                                        ; implicit-def: $vgpr16_vgpr17
.LBB14_3406:                            ;   in Loop: Header=BB14_17 Depth=1
	s_and_not1_saveexec_b32 s89, s89
	s_cbranch_execz .LBB14_3408
; %bb.3407:                             ;   in Loop: Header=BB14_17 Depth=1
	flat_load_u8 v14, v[16:17]
	s_wait_loadcnt_dscnt 0x0
	v_lshlrev_b32_e32 v16, 25, v14
	v_lshlrev_b16 v14, 8, v14
	s_delay_alu instid0(VALU_DEP_1) | instskip(SKIP_1) | instid1(VALU_DEP_2)
	v_and_or_b32 v19, 0x7f00, v14, 0.5
	v_bfe_i32 v14, v14, 0, 16
	v_dual_add_f32 v19, -0.5, v19 :: v_dual_lshrrev_b32 v17, 4, v16
	v_cmp_gt_u32_e32 vcc_lo, 0x8000000, v16
	s_delay_alu instid0(VALU_DEP_2) | instskip(NEXT) | instid1(VALU_DEP_1)
	v_or_b32_e32 v17, 0x70000000, v17
	v_mul_f32_e32 v17, 0x7800000, v17
	s_delay_alu instid0(VALU_DEP_1) | instskip(NEXT) | instid1(VALU_DEP_1)
	v_cndmask_b32_e32 v16, v17, v19, vcc_lo
	v_and_or_b32 v14, 0x80000000, v14, v16
.LBB14_3408:                            ;   in Loop: Header=BB14_17 Depth=1
	s_or_b32 exec_lo, exec_lo, s89
	s_delay_alu instid0(SALU_CYCLE_1)
	s_or_b32 s89, s79, exec_lo
                                        ; implicit-def: $vgpr19
                                        ; implicit-def: $vgpr16_vgpr17
.LBB14_3409:                            ;   in Loop: Header=BB14_17 Depth=1
	s_and_not1_saveexec_b32 s88, s88
	s_cbranch_execz .LBB14_3419
; %bb.3410:                             ;   in Loop: Header=BB14_17 Depth=1
	s_mov_b32 s90, s89
	s_mov_b32 s91, exec_lo
                                        ; implicit-def: $vgpr14
	v_cmpx_lt_i16_e32 14, v19
	s_xor_b32 s91, exec_lo, s91
	s_cbranch_execz .LBB14_3414
; %bb.3411:                             ;   in Loop: Header=BB14_17 Depth=1
	s_mov_b32 s90, s89
	s_mov_b32 s92, exec_lo
                                        ; implicit-def: $vgpr14
	v_cmpx_eq_u16_e32 15, v19
	s_cbranch_execz .LBB14_3413
; %bb.3412:                             ;   in Loop: Header=BB14_17 Depth=1
	flat_load_u16 v14, v[16:17]
	s_or_b32 s90, s89, exec_lo
	s_wait_loadcnt_dscnt 0x0
	v_lshlrev_b32_e32 v14, 16, v14
.LBB14_3413:                            ;   in Loop: Header=BB14_17 Depth=1
	s_wait_xcnt 0x0
	s_or_b32 exec_lo, exec_lo, s92
	s_delay_alu instid0(SALU_CYCLE_1) | instskip(SKIP_1) | instid1(SALU_CYCLE_1)
	s_and_not1_b32 s92, s89, exec_lo
	s_and_b32 s90, s90, exec_lo
                                        ; implicit-def: $vgpr19
                                        ; implicit-def: $vgpr16_vgpr17
	s_or_b32 s90, s92, s90
.LBB14_3414:                            ;   in Loop: Header=BB14_17 Depth=1
	s_and_not1_saveexec_b32 s91, s91
	s_cbranch_execz .LBB14_3418
; %bb.3415:                             ;   in Loop: Header=BB14_17 Depth=1
	s_mov_b32 s92, s90
	s_mov_b32 s93, exec_lo
                                        ; implicit-def: $vgpr14
	v_cmpx_eq_u16_e32 11, v19
	s_cbranch_execz .LBB14_3417
; %bb.3416:                             ;   in Loop: Header=BB14_17 Depth=1
	flat_load_u8 v14, v[16:17]
	s_or_b32 s92, s90, exec_lo
	s_wait_loadcnt_dscnt 0x0
	v_cmp_ne_u16_e32 vcc_lo, 0, v14
	v_cndmask_b32_e64 v14, 0, 1.0, vcc_lo
.LBB14_3417:                            ;   in Loop: Header=BB14_17 Depth=1
	s_wait_xcnt 0x0
	s_or_b32 exec_lo, exec_lo, s93
	s_delay_alu instid0(SALU_CYCLE_1) | instskip(SKIP_1) | instid1(SALU_CYCLE_1)
	s_and_not1_b32 s90, s90, exec_lo
	s_and_b32 s92, s92, exec_lo
	s_or_b32 s90, s90, s92
.LBB14_3418:                            ;   in Loop: Header=BB14_17 Depth=1
	s_or_b32 exec_lo, exec_lo, s91
	s_delay_alu instid0(SALU_CYCLE_1) | instskip(SKIP_1) | instid1(SALU_CYCLE_1)
	s_and_not1_b32 s89, s89, exec_lo
	s_and_b32 s90, s90, exec_lo
	s_or_b32 s89, s89, s90
.LBB14_3419:                            ;   in Loop: Header=BB14_17 Depth=1
	s_or_b32 exec_lo, exec_lo, s88
	s_delay_alu instid0(SALU_CYCLE_1) | instskip(SKIP_1) | instid1(SALU_CYCLE_1)
	s_and_not1_b32 s79, s79, exec_lo
	s_and_b32 s88, s89, exec_lo
	s_or_b32 s79, s79, s88
.LBB14_3420:                            ;   in Loop: Header=BB14_17 Depth=1
	s_or_b32 exec_lo, exec_lo, s78
	s_delay_alu instid0(SALU_CYCLE_1)
	s_and_b32 s78, s79, exec_lo
                                        ; implicit-def: $vgpr19
                                        ; implicit-def: $vgpr16_vgpr17
	s_and_not1_saveexec_b32 s74, s74
	s_cbranch_execz .LBB14_1677
.LBB14_3421:                            ;   in Loop: Header=BB14_17 Depth=1
	s_mov_b32 s79, exec_lo
                                        ; implicit-def: $vgpr14
	v_cmpx_lt_i16_e32 4, v19
	s_xor_b32 s79, exec_lo, s79
	s_cbranch_execz .LBB14_3443
; %bb.3422:                             ;   in Loop: Header=BB14_17 Depth=1
	s_mov_b32 s88, exec_lo
                                        ; implicit-def: $vgpr14
	v_cmpx_lt_i16_e32 7, v19
	s_xor_b32 s88, exec_lo, s88
	s_cbranch_execz .LBB14_3432
; %bb.3423:                             ;   in Loop: Header=BB14_17 Depth=1
	s_mov_b32 s89, exec_lo
                                        ; implicit-def: $vgpr14
	v_cmpx_lt_i16_e32 8, v19
	s_xor_b32 s89, exec_lo, s89
	s_cbranch_execz .LBB14_3429
; %bb.3424:                             ;   in Loop: Header=BB14_17 Depth=1
	s_mov_b32 s90, exec_lo
                                        ; implicit-def: $vgpr14
	v_cmpx_lt_i16_e32 9, v19
	s_xor_b32 s90, exec_lo, s90
	s_cbranch_execz .LBB14_3426
; %bb.3425:                             ;   in Loop: Header=BB14_17 Depth=1
	flat_load_b64 v[16:17], v[16:17]
	s_wait_loadcnt_dscnt 0x0
	v_cvt_f32_f64_e32 v14, v[16:17]
                                        ; implicit-def: $vgpr16_vgpr17
.LBB14_3426:                            ;   in Loop: Header=BB14_17 Depth=1
	s_wait_xcnt 0x0
	s_and_not1_saveexec_b32 s90, s90
	s_cbranch_execz .LBB14_3428
; %bb.3427:                             ;   in Loop: Header=BB14_17 Depth=1
	flat_load_b32 v14, v[16:17]
.LBB14_3428:                            ;   in Loop: Header=BB14_17 Depth=1
	s_wait_xcnt 0x0
	s_or_b32 exec_lo, exec_lo, s90
                                        ; implicit-def: $vgpr16_vgpr17
.LBB14_3429:                            ;   in Loop: Header=BB14_17 Depth=1
	s_and_not1_saveexec_b32 s89, s89
	s_cbranch_execz .LBB14_3431
; %bb.3430:                             ;   in Loop: Header=BB14_17 Depth=1
	s_wait_loadcnt_dscnt 0x0
	flat_load_b32 v14, v[16:17]
	s_wait_loadcnt_dscnt 0x0
	v_cvt_f32_f16_e32 v14, v14
.LBB14_3431:                            ;   in Loop: Header=BB14_17 Depth=1
	s_wait_xcnt 0x0
	s_or_b32 exec_lo, exec_lo, s89
                                        ; implicit-def: $vgpr16_vgpr17
                                        ; implicit-def: $vgpr19
.LBB14_3432:                            ;   in Loop: Header=BB14_17 Depth=1
	s_and_not1_saveexec_b32 s88, s88
	s_cbranch_execz .LBB14_3442
; %bb.3433:                             ;   in Loop: Header=BB14_17 Depth=1
	s_mov_b32 s89, exec_lo
                                        ; implicit-def: $vgpr14
	v_cmpx_lt_i16_e32 5, v19
	s_xor_b32 s89, exec_lo, s89
	s_cbranch_execz .LBB14_3439
; %bb.3434:                             ;   in Loop: Header=BB14_17 Depth=1
	s_mov_b32 s90, exec_lo
                                        ; implicit-def: $vgpr14
	v_cmpx_lt_i16_e32 6, v19
	s_xor_b32 s90, exec_lo, s90
	s_cbranch_execz .LBB14_3436
; %bb.3435:                             ;   in Loop: Header=BB14_17 Depth=1
	flat_load_b64 v[16:17], v[16:17]
	s_wait_loadcnt_dscnt 0x0
	v_cvt_f32_f64_e32 v14, v[16:17]
                                        ; implicit-def: $vgpr16_vgpr17
.LBB14_3436:                            ;   in Loop: Header=BB14_17 Depth=1
	s_wait_xcnt 0x0
	s_and_not1_saveexec_b32 s90, s90
	s_cbranch_execz .LBB14_3438
; %bb.3437:                             ;   in Loop: Header=BB14_17 Depth=1
	s_wait_loadcnt_dscnt 0x0
	flat_load_b32 v14, v[16:17]
.LBB14_3438:                            ;   in Loop: Header=BB14_17 Depth=1
	s_wait_xcnt 0x0
	s_or_b32 exec_lo, exec_lo, s90
                                        ; implicit-def: $vgpr16_vgpr17
.LBB14_3439:                            ;   in Loop: Header=BB14_17 Depth=1
	s_and_not1_saveexec_b32 s89, s89
	s_cbranch_execz .LBB14_3441
; %bb.3440:                             ;   in Loop: Header=BB14_17 Depth=1
	s_wait_loadcnt_dscnt 0x0
	flat_load_u16 v14, v[16:17]
	s_wait_loadcnt_dscnt 0x0
	v_cvt_f32_f16_e32 v14, v14
.LBB14_3441:                            ;   in Loop: Header=BB14_17 Depth=1
	s_wait_xcnt 0x0
	s_or_b32 exec_lo, exec_lo, s89
.LBB14_3442:                            ;   in Loop: Header=BB14_17 Depth=1
	s_delay_alu instid0(SALU_CYCLE_1)
	s_or_b32 exec_lo, exec_lo, s88
                                        ; implicit-def: $vgpr19
                                        ; implicit-def: $vgpr16_vgpr17
.LBB14_3443:                            ;   in Loop: Header=BB14_17 Depth=1
	s_and_not1_saveexec_b32 s79, s79
	s_cbranch_execz .LBB14_3461
; %bb.3444:                             ;   in Loop: Header=BB14_17 Depth=1
	s_mov_b32 s88, exec_lo
                                        ; implicit-def: $vgpr14
	v_cmpx_lt_i16_e32 1, v19
	s_xor_b32 s88, exec_lo, s88
	s_cbranch_execz .LBB14_3454
; %bb.3445:                             ;   in Loop: Header=BB14_17 Depth=1
	s_mov_b32 s89, exec_lo
                                        ; implicit-def: $vgpr14
	v_cmpx_lt_i16_e32 2, v19
	s_xor_b32 s89, exec_lo, s89
	;; [unrolled: 6-line block ×3, first 2 shown]
	s_cbranch_execz .LBB14_3448
; %bb.3447:                             ;   in Loop: Header=BB14_17 Depth=1
	flat_load_b64 v[16:17], v[16:17]
	s_wait_loadcnt_dscnt 0x0
	v_xor_b32_e32 v14, v16, v17
	v_cls_i32_e32 v19, v17
	s_delay_alu instid0(VALU_DEP_2) | instskip(NEXT) | instid1(VALU_DEP_1)
	v_ashrrev_i32_e32 v14, 31, v14
	v_add_nc_u32_e32 v14, 32, v14
	s_delay_alu instid0(VALU_DEP_1) | instskip(SKIP_1) | instid1(VALU_DEP_1)
	v_add_min_u32_e64 v14, v19, -1, v14
	s_wait_xcnt 0x0
	v_lshlrev_b64_e32 v[16:17], v14, v[16:17]
	v_sub_nc_u32_e32 v14, 32, v14
	s_delay_alu instid0(VALU_DEP_2) | instskip(NEXT) | instid1(VALU_DEP_1)
	v_min_u32_e32 v16, 1, v16
	v_or_b32_e32 v16, v17, v16
	s_delay_alu instid0(VALU_DEP_1) | instskip(NEXT) | instid1(VALU_DEP_1)
	v_cvt_f32_i32_e32 v16, v16
	v_ldexp_f32 v14, v16, v14
                                        ; implicit-def: $vgpr16_vgpr17
.LBB14_3448:                            ;   in Loop: Header=BB14_17 Depth=1
	s_and_not1_saveexec_b32 s90, s90
	s_cbranch_execz .LBB14_3450
; %bb.3449:                             ;   in Loop: Header=BB14_17 Depth=1
	s_wait_loadcnt_dscnt 0x0
	flat_load_b32 v14, v[16:17]
	s_wait_loadcnt_dscnt 0x0
	v_cvt_f32_i32_e32 v14, v14
.LBB14_3450:                            ;   in Loop: Header=BB14_17 Depth=1
	s_wait_xcnt 0x0
	s_or_b32 exec_lo, exec_lo, s90
                                        ; implicit-def: $vgpr16_vgpr17
.LBB14_3451:                            ;   in Loop: Header=BB14_17 Depth=1
	s_and_not1_saveexec_b32 s89, s89
	s_cbranch_execz .LBB14_3453
; %bb.3452:                             ;   in Loop: Header=BB14_17 Depth=1
	s_wait_loadcnt_dscnt 0x0
	flat_load_i16 v14, v[16:17]
	s_wait_loadcnt_dscnt 0x0
	v_cvt_f32_i32_e32 v14, v14
.LBB14_3453:                            ;   in Loop: Header=BB14_17 Depth=1
	s_wait_xcnt 0x0
	s_or_b32 exec_lo, exec_lo, s89
                                        ; implicit-def: $vgpr16_vgpr17
                                        ; implicit-def: $vgpr19
.LBB14_3454:                            ;   in Loop: Header=BB14_17 Depth=1
	s_and_not1_saveexec_b32 s88, s88
	s_cbranch_execz .LBB14_3460
; %bb.3455:                             ;   in Loop: Header=BB14_17 Depth=1
	s_mov_b32 s89, exec_lo
                                        ; implicit-def: $vgpr14
	v_cmpx_lt_i16_e32 0, v19
	s_xor_b32 s89, exec_lo, s89
	s_cbranch_execz .LBB14_3457
; %bb.3456:                             ;   in Loop: Header=BB14_17 Depth=1
	s_wait_loadcnt_dscnt 0x0
	flat_load_i8 v14, v[16:17]
                                        ; implicit-def: $vgpr16_vgpr17
	s_wait_loadcnt_dscnt 0x0
	v_cvt_f32_i32_e32 v14, v14
.LBB14_3457:                            ;   in Loop: Header=BB14_17 Depth=1
	s_wait_xcnt 0x0
	s_and_not1_saveexec_b32 s89, s89
	s_cbranch_execz .LBB14_3459
; %bb.3458:                             ;   in Loop: Header=BB14_17 Depth=1
	s_wait_loadcnt_dscnt 0x0
	flat_load_u8 v14, v[16:17]
	s_wait_loadcnt_dscnt 0x0
	v_cvt_f32_ubyte0_e32 v14, v14
.LBB14_3459:                            ;   in Loop: Header=BB14_17 Depth=1
	s_wait_xcnt 0x0
	s_or_b32 exec_lo, exec_lo, s89
.LBB14_3460:                            ;   in Loop: Header=BB14_17 Depth=1
	s_delay_alu instid0(SALU_CYCLE_1)
	s_or_b32 exec_lo, exec_lo, s88
.LBB14_3461:                            ;   in Loop: Header=BB14_17 Depth=1
	s_delay_alu instid0(SALU_CYCLE_1) | instskip(NEXT) | instid1(SALU_CYCLE_1)
	s_or_b32 exec_lo, exec_lo, s79
	s_or_b32 s78, s78, exec_lo
	s_or_b32 exec_lo, exec_lo, s74
	s_mov_b32 s79, 0
	s_and_saveexec_b32 s74, s78
	s_cbranch_execnz .LBB14_1678
	s_branch .LBB14_1679
.LBB14_3462:                            ;   in Loop: Header=BB14_17 Depth=1
	s_mov_b32 s60, -1
	s_mov_b32 s62, exec_lo
	v_cmpx_eq_u16_e32 0x80, v16
; %bb.3463:                             ;   in Loop: Header=BB14_17 Depth=1
	s_xor_b32 s60, exec_lo, -1
; %bb.3464:                             ;   in Loop: Header=BB14_17 Depth=1
	s_or_b32 exec_lo, exec_lo, s62
	s_delay_alu instid0(SALU_CYCLE_1)
	s_and_b32 s60, s60, exec_lo
	s_or_saveexec_b32 s61, s61
	v_mov_b32_e32 v14, 0x7f800001
	s_xor_b32 exec_lo, exec_lo, s61
	s_cbranch_execz .LBB14_2820
.LBB14_3465:                            ;   in Loop: Header=BB14_17 Depth=1
	v_cmp_ne_u16_e32 vcc_lo, 0, v16
	v_mov_b32_e32 v14, 0
	s_and_not1_b32 s60, s60, exec_lo
	s_and_b32 s62, vcc_lo, exec_lo
	s_delay_alu instid0(SALU_CYCLE_1)
	s_or_b32 s60, s60, s62
	s_or_b32 exec_lo, exec_lo, s61
	s_and_saveexec_b32 s61, s60
	s_cbranch_execnz .LBB14_2821
	s_branch .LBB14_2822
.LBB14_3466:                            ;   in Loop: Header=BB14_17 Depth=1
	s_mov_b32 s62, -1
	s_mov_b32 s72, exec_lo
	v_cmpx_eq_u16_e32 0x80, v16
; %bb.3467:                             ;   in Loop: Header=BB14_17 Depth=1
	s_xor_b32 s62, exec_lo, -1
; %bb.3468:                             ;   in Loop: Header=BB14_17 Depth=1
	s_or_b32 exec_lo, exec_lo, s72
	s_delay_alu instid0(SALU_CYCLE_1)
	s_and_b32 s62, s62, exec_lo
	s_or_saveexec_b32 s63, s63
	v_mov_b32_e32 v14, 0x7f800001
	s_xor_b32 exec_lo, exec_lo, s63
	s_cbranch_execz .LBB14_2925
.LBB14_3469:                            ;   in Loop: Header=BB14_17 Depth=1
	v_cmp_ne_u16_e32 vcc_lo, 0, v16
	v_mov_b32_e32 v14, 0
	s_and_not1_b32 s62, s62, exec_lo
	s_and_b32 s72, vcc_lo, exec_lo
	s_delay_alu instid0(SALU_CYCLE_1)
	s_or_b32 s62, s62, s72
	s_or_b32 exec_lo, exec_lo, s63
	s_and_saveexec_b32 s63, s62
	s_cbranch_execnz .LBB14_2926
	s_branch .LBB14_2927
.LBB14_3470:                            ;   in Loop: Header=BB14_17 Depth=1
	s_mov_b32 s72, -1
	s_mov_b32 s74, exec_lo
	v_cmpx_eq_u16_e32 0x80, v16
; %bb.3471:                             ;   in Loop: Header=BB14_17 Depth=1
	s_xor_b32 s72, exec_lo, -1
; %bb.3472:                             ;   in Loop: Header=BB14_17 Depth=1
	s_or_b32 exec_lo, exec_lo, s74
	s_delay_alu instid0(SALU_CYCLE_1)
	s_and_b32 s72, s72, exec_lo
	s_or_saveexec_b32 s73, s73
	v_mov_b32_e32 v14, 0x7f800001
	s_xor_b32 exec_lo, exec_lo, s73
	s_cbranch_execz .LBB14_1278
.LBB14_3473:                            ;   in Loop: Header=BB14_17 Depth=1
	v_cmp_ne_u16_e32 vcc_lo, 0, v16
	v_mov_b32_e32 v14, 0
	s_and_not1_b32 s72, s72, exec_lo
	s_and_b32 s74, vcc_lo, exec_lo
	s_delay_alu instid0(SALU_CYCLE_1)
	s_or_b32 s72, s72, s74
	s_or_b32 exec_lo, exec_lo, s73
	s_and_saveexec_b32 s73, s72
	s_cbranch_execnz .LBB14_1279
	s_branch .LBB14_1280
.LBB14_3474:                            ;   in Loop: Header=BB14_17 Depth=1
	s_mov_b32 s74, -1
	s_mov_b32 s76, exec_lo
	v_cmpx_eq_u16_e32 0x80, v16
; %bb.3475:                             ;   in Loop: Header=BB14_17 Depth=1
	s_xor_b32 s74, exec_lo, -1
; %bb.3476:                             ;   in Loop: Header=BB14_17 Depth=1
	s_or_b32 exec_lo, exec_lo, s76
	s_delay_alu instid0(SALU_CYCLE_1)
	s_and_b32 s74, s74, exec_lo
	s_or_saveexec_b32 s75, s75
	v_mov_b32_e32 v14, 0x7f800001
	s_xor_b32 exec_lo, exec_lo, s75
	s_cbranch_execz .LBB14_1378
.LBB14_3477:                            ;   in Loop: Header=BB14_17 Depth=1
	v_cmp_ne_u16_e32 vcc_lo, 0, v16
	v_mov_b32_e32 v14, 0
	s_and_not1_b32 s74, s74, exec_lo
	s_and_b32 s76, vcc_lo, exec_lo
	s_delay_alu instid0(SALU_CYCLE_1)
	s_or_b32 s74, s74, s76
	s_or_b32 exec_lo, exec_lo, s75
	s_and_saveexec_b32 s75, s74
	s_cbranch_execnz .LBB14_1379
	s_branch .LBB14_1380
.LBB14_3478:                            ;   in Loop: Header=BB14_17 Depth=1
	s_mov_b32 s89, exec_lo
                                        ; implicit-def: $vgpr14
	v_cmpx_lt_i16_e32 25, v19
	s_xor_b32 s89, exec_lo, s89
	s_cbranch_execz .LBB14_3510
; %bb.3479:                             ;   in Loop: Header=BB14_17 Depth=1
	s_mov_b32 s91, exec_lo
                                        ; implicit-def: $vgpr14
	v_cmpx_lt_i16_e32 28, v19
	s_xor_b32 s91, exec_lo, s91
	s_cbranch_execz .LBB14_3495
; %bb.3480:                             ;   in Loop: Header=BB14_17 Depth=1
	s_mov_b32 s92, 0
	s_mov_b32 s90, exec_lo
                                        ; implicit-def: $vgpr14
	v_cmpx_lt_i16_e32 43, v19
	s_xor_b32 s90, exec_lo, s90
	s_cbranch_execz .LBB14_3490
; %bb.3481:                             ;   in Loop: Header=BB14_17 Depth=1
	s_mov_b32 s93, exec_lo
                                        ; implicit-def: $vgpr14
	v_cmpx_lt_i16_e32 45, v19
	s_xor_b32 s93, exec_lo, s93
	s_cbranch_execz .LBB14_3485
; %bb.3482:                             ;   in Loop: Header=BB14_17 Depth=1
	s_mov_b32 s94, exec_lo
                                        ; implicit-def: $vgpr14
	v_cmpx_eq_u16_e32 46, v19
	s_cbranch_execz .LBB14_3484
; %bb.3483:                             ;   in Loop: Header=BB14_17 Depth=1
	flat_load_b32 v14, v[16:17]
	s_mov_b32 s92, exec_lo
	s_wait_loadcnt_dscnt 0x0
	v_lshlrev_b32_e32 v14, 16, v14
.LBB14_3484:                            ;   in Loop: Header=BB14_17 Depth=1
	s_wait_xcnt 0x0
	s_or_b32 exec_lo, exec_lo, s94
	s_delay_alu instid0(SALU_CYCLE_1)
	s_and_b32 s92, s92, exec_lo
                                        ; implicit-def: $vgpr19
                                        ; implicit-def: $vgpr16_vgpr17
.LBB14_3485:                            ;   in Loop: Header=BB14_17 Depth=1
	s_and_not1_saveexec_b32 s93, s93
	s_cbranch_execz .LBB14_3489
; %bb.3486:                             ;   in Loop: Header=BB14_17 Depth=1
	s_mov_b32 s95, s92
	s_mov_b32 s94, exec_lo
                                        ; implicit-def: $vgpr14
	v_cmpx_eq_u16_e32 44, v19
	s_cbranch_execz .LBB14_3488
; %bb.3487:                             ;   in Loop: Header=BB14_17 Depth=1
	flat_load_u8 v14, v[16:17]
	s_or_b32 s95, s92, exec_lo
	s_wait_loadcnt_dscnt 0x0
	v_lshlrev_b32_e32 v16, 23, v14
	v_cmp_ne_u32_e32 vcc_lo, 0xff, v14
	s_delay_alu instid0(VALU_DEP_2) | instskip(SKIP_1) | instid1(VALU_DEP_2)
	v_cndmask_b32_e32 v16, 0x7f800001, v16, vcc_lo
	v_cmp_ne_u32_e32 vcc_lo, 0, v14
	v_cndmask_b32_e32 v14, 0x400000, v16, vcc_lo
.LBB14_3488:                            ;   in Loop: Header=BB14_17 Depth=1
	s_or_b32 exec_lo, exec_lo, s94
	s_delay_alu instid0(SALU_CYCLE_1) | instskip(SKIP_1) | instid1(SALU_CYCLE_1)
	s_and_not1_b32 s92, s92, exec_lo
	s_and_b32 s94, s95, exec_lo
	s_or_b32 s92, s92, s94
.LBB14_3489:                            ;   in Loop: Header=BB14_17 Depth=1
	s_or_b32 exec_lo, exec_lo, s93
	s_delay_alu instid0(SALU_CYCLE_1)
	s_and_b32 s92, s92, exec_lo
                                        ; implicit-def: $vgpr19
                                        ; implicit-def: $vgpr16_vgpr17
.LBB14_3490:                            ;   in Loop: Header=BB14_17 Depth=1
	s_and_not1_saveexec_b32 s90, s90
	s_cbranch_execz .LBB14_3494
; %bb.3491:                             ;   in Loop: Header=BB14_17 Depth=1
	s_mov_b32 s94, s92
	s_mov_b32 s93, exec_lo
                                        ; implicit-def: $vgpr14
	v_cmpx_eq_u16_e32 29, v19
	s_cbranch_execz .LBB14_3493
; %bb.3492:                             ;   in Loop: Header=BB14_17 Depth=1
	flat_load_b64 v[16:17], v[16:17]
	s_or_b32 s94, s92, exec_lo
	s_wait_loadcnt_dscnt 0x0
	v_clz_i32_u32_e32 v14, v17
	s_delay_alu instid0(VALU_DEP_1) | instskip(SKIP_1) | instid1(VALU_DEP_1)
	v_min_u32_e32 v14, 32, v14
	s_wait_xcnt 0x0
	v_lshlrev_b64_e32 v[16:17], v14, v[16:17]
	v_sub_nc_u32_e32 v14, 32, v14
	s_delay_alu instid0(VALU_DEP_2) | instskip(NEXT) | instid1(VALU_DEP_1)
	v_min_u32_e32 v16, 1, v16
	v_or_b32_e32 v16, v17, v16
	s_delay_alu instid0(VALU_DEP_1) | instskip(NEXT) | instid1(VALU_DEP_1)
	v_cvt_f32_u32_e32 v16, v16
	v_ldexp_f32 v14, v16, v14
.LBB14_3493:                            ;   in Loop: Header=BB14_17 Depth=1
	s_or_b32 exec_lo, exec_lo, s93
	s_delay_alu instid0(SALU_CYCLE_1) | instskip(SKIP_1) | instid1(SALU_CYCLE_1)
	s_and_not1_b32 s92, s92, exec_lo
	s_and_b32 s93, s94, exec_lo
	s_or_b32 s92, s92, s93
.LBB14_3494:                            ;   in Loop: Header=BB14_17 Depth=1
	s_or_b32 exec_lo, exec_lo, s90
	s_delay_alu instid0(SALU_CYCLE_1)
	s_and_b32 s90, s92, exec_lo
                                        ; implicit-def: $vgpr19
                                        ; implicit-def: $vgpr16_vgpr17
.LBB14_3495:                            ;   in Loop: Header=BB14_17 Depth=1
	s_and_not1_saveexec_b32 s91, s91
	s_cbranch_execz .LBB14_3509
; %bb.3496:                             ;   in Loop: Header=BB14_17 Depth=1
	s_mov_b32 s92, exec_lo
                                        ; implicit-def: $vgpr14
	v_cmpx_lt_i16_e32 26, v19
	s_xor_b32 s92, exec_lo, s92
	s_cbranch_execz .LBB14_3502
; %bb.3497:                             ;   in Loop: Header=BB14_17 Depth=1
	s_mov_b32 s93, exec_lo
                                        ; implicit-def: $vgpr14
	v_cmpx_lt_i16_e32 27, v19
	s_xor_b32 s93, exec_lo, s93
	s_cbranch_execz .LBB14_3499
; %bb.3498:                             ;   in Loop: Header=BB14_17 Depth=1
	flat_load_b32 v14, v[16:17]
                                        ; implicit-def: $vgpr16_vgpr17
	s_wait_loadcnt_dscnt 0x0
	v_cvt_f32_u32_e32 v14, v14
.LBB14_3499:                            ;   in Loop: Header=BB14_17 Depth=1
	s_wait_xcnt 0x0
	s_and_not1_saveexec_b32 s93, s93
	s_cbranch_execz .LBB14_3501
; %bb.3500:                             ;   in Loop: Header=BB14_17 Depth=1
	flat_load_u16 v14, v[16:17]
	s_wait_loadcnt_dscnt 0x0
	v_cvt_f32_u32_e32 v14, v14
.LBB14_3501:                            ;   in Loop: Header=BB14_17 Depth=1
	s_wait_xcnt 0x0
	s_or_b32 exec_lo, exec_lo, s93
                                        ; implicit-def: $vgpr16_vgpr17
.LBB14_3502:                            ;   in Loop: Header=BB14_17 Depth=1
	s_and_not1_saveexec_b32 s92, s92
	s_cbranch_execz .LBB14_3508
; %bb.3503:                             ;   in Loop: Header=BB14_17 Depth=1
	flat_load_u8 v16, v[16:17]
	s_mov_b32 s93, 0
	s_mov_b32 s94, exec_lo
	s_wait_loadcnt_dscnt 0x0
	v_cmpx_lt_i16_e32 0x7f, v16
	s_xor_b32 s94, exec_lo, s94
	s_cbranch_execnz .LBB14_3642
; %bb.3504:                             ;   in Loop: Header=BB14_17 Depth=1
	s_or_saveexec_b32 s94, s94
	v_mov_b32_e32 v14, 0x7f800001
	s_xor_b32 exec_lo, exec_lo, s94
	s_cbranch_execnz .LBB14_3645
.LBB14_3505:                            ;   in Loop: Header=BB14_17 Depth=1
	s_or_b32 exec_lo, exec_lo, s94
	s_and_saveexec_b32 s94, s93
	s_cbranch_execz .LBB14_3507
.LBB14_3506:                            ;   in Loop: Header=BB14_17 Depth=1
	v_and_b32_e32 v14, 0xffff, v16
	s_delay_alu instid0(VALU_DEP_1) | instskip(SKIP_1) | instid1(VALU_DEP_2)
	v_and_b32_e32 v17, 7, v14
	v_bfe_u32 v21, v14, 3, 4
	v_clz_i32_u32_e32 v19, v17
	s_delay_alu instid0(VALU_DEP_2) | instskip(NEXT) | instid1(VALU_DEP_2)
	v_cmp_eq_u32_e32 vcc_lo, 0, v21
	v_min_u32_e32 v19, 32, v19
	s_delay_alu instid0(VALU_DEP_1) | instskip(NEXT) | instid1(VALU_DEP_1)
	v_subrev_nc_u32_e32 v20, 28, v19
	v_dual_lshlrev_b32 v14, v20, v14 :: v_dual_sub_nc_u32 v19, 29, v19
	s_delay_alu instid0(VALU_DEP_1) | instskip(NEXT) | instid1(VALU_DEP_2)
	v_dual_lshlrev_b32 v16, 24, v16 :: v_dual_bitop2_b32 v14, 7, v14 bitop3:0x40
	v_cndmask_b32_e32 v19, v21, v19, vcc_lo
	s_delay_alu instid0(VALU_DEP_2) | instskip(NEXT) | instid1(VALU_DEP_3)
	v_cndmask_b32_e32 v14, v17, v14, vcc_lo
	v_and_b32_e32 v16, 0x80000000, v16
	s_delay_alu instid0(VALU_DEP_3) | instskip(NEXT) | instid1(VALU_DEP_3)
	v_lshl_add_u32 v17, v19, 23, 0x3b800000
	v_lshlrev_b32_e32 v14, 20, v14
	s_delay_alu instid0(VALU_DEP_1)
	v_or3_b32 v14, v16, v17, v14
.LBB14_3507:                            ;   in Loop: Header=BB14_17 Depth=1
	s_or_b32 exec_lo, exec_lo, s94
.LBB14_3508:                            ;   in Loop: Header=BB14_17 Depth=1
	s_delay_alu instid0(SALU_CYCLE_1) | instskip(NEXT) | instid1(SALU_CYCLE_1)
	s_or_b32 exec_lo, exec_lo, s92
	s_or_b32 s90, s90, exec_lo
.LBB14_3509:                            ;   in Loop: Header=BB14_17 Depth=1
	s_or_b32 exec_lo, exec_lo, s91
	s_delay_alu instid0(SALU_CYCLE_1)
	s_and_b32 s90, s90, exec_lo
                                        ; implicit-def: $vgpr19
                                        ; implicit-def: $vgpr16_vgpr17
.LBB14_3510:                            ;   in Loop: Header=BB14_17 Depth=1
	s_and_not1_saveexec_b32 s89, s89
	s_cbranch_execz .LBB14_3536
; %bb.3511:                             ;   in Loop: Header=BB14_17 Depth=1
	s_mov_b32 s92, s90
	s_mov_b32 s91, exec_lo
                                        ; implicit-def: $vgpr14
	v_cmpx_lt_i16_e32 22, v19
	s_xor_b32 s91, exec_lo, s91
	s_cbranch_execz .LBB14_3525
; %bb.3512:                             ;   in Loop: Header=BB14_17 Depth=1
	s_mov_b32 s92, exec_lo
                                        ; implicit-def: $vgpr14
	v_cmpx_lt_i16_e32 23, v19
	s_xor_b32 s92, exec_lo, s92
	s_cbranch_execz .LBB14_3522
; %bb.3513:                             ;   in Loop: Header=BB14_17 Depth=1
	s_mov_b32 s93, exec_lo
                                        ; implicit-def: $vgpr14
	v_cmpx_lt_i16_e32 24, v19
	s_xor_b32 s93, exec_lo, s93
	s_cbranch_execz .LBB14_3519
; %bb.3514:                             ;   in Loop: Header=BB14_17 Depth=1
	flat_load_u8 v16, v[16:17]
	s_mov_b32 s94, 0
	s_mov_b32 s95, exec_lo
	s_wait_loadcnt_dscnt 0x0
	v_cmpx_lt_i16_e32 0x7f, v16
	s_xor_b32 s95, exec_lo, s95
	s_cbranch_execnz .LBB14_3646
; %bb.3515:                             ;   in Loop: Header=BB14_17 Depth=1
	s_or_saveexec_b32 s95, s95
	v_mov_b32_e32 v14, 0x7f800001
	s_xor_b32 exec_lo, exec_lo, s95
	s_cbranch_execnz .LBB14_3649
.LBB14_3516:                            ;   in Loop: Header=BB14_17 Depth=1
	s_or_b32 exec_lo, exec_lo, s95
	s_and_saveexec_b32 s95, s94
	s_cbranch_execz .LBB14_3518
.LBB14_3517:                            ;   in Loop: Header=BB14_17 Depth=1
	v_and_b32_e32 v14, 0xffff, v16
	s_delay_alu instid0(VALU_DEP_1) | instskip(SKIP_1) | instid1(VALU_DEP_2)
	v_and_b32_e32 v17, 3, v14
	v_bfe_u32 v21, v14, 2, 5
	v_clz_i32_u32_e32 v19, v17
	s_delay_alu instid0(VALU_DEP_2) | instskip(NEXT) | instid1(VALU_DEP_2)
	v_cmp_eq_u32_e32 vcc_lo, 0, v21
	v_min_u32_e32 v19, 32, v19
	s_delay_alu instid0(VALU_DEP_1) | instskip(NEXT) | instid1(VALU_DEP_1)
	v_subrev_nc_u32_e32 v20, 29, v19
	v_dual_lshlrev_b32 v14, v20, v14 :: v_dual_sub_nc_u32 v19, 30, v19
	s_delay_alu instid0(VALU_DEP_1) | instskip(NEXT) | instid1(VALU_DEP_2)
	v_dual_lshlrev_b32 v16, 24, v16 :: v_dual_bitop2_b32 v14, 3, v14 bitop3:0x40
	v_cndmask_b32_e32 v19, v21, v19, vcc_lo
	s_delay_alu instid0(VALU_DEP_2) | instskip(NEXT) | instid1(VALU_DEP_3)
	v_cndmask_b32_e32 v14, v17, v14, vcc_lo
	v_and_b32_e32 v16, 0x80000000, v16
	s_delay_alu instid0(VALU_DEP_3) | instskip(NEXT) | instid1(VALU_DEP_3)
	v_lshl_add_u32 v17, v19, 23, 0x37800000
	v_lshlrev_b32_e32 v14, 21, v14
	s_delay_alu instid0(VALU_DEP_1)
	v_or3_b32 v14, v16, v17, v14
.LBB14_3518:                            ;   in Loop: Header=BB14_17 Depth=1
	s_or_b32 exec_lo, exec_lo, s95
                                        ; implicit-def: $vgpr16_vgpr17
.LBB14_3519:                            ;   in Loop: Header=BB14_17 Depth=1
	s_and_not1_saveexec_b32 s93, s93
	s_cbranch_execz .LBB14_3521
; %bb.3520:                             ;   in Loop: Header=BB14_17 Depth=1
	flat_load_u8 v14, v[16:17]
	s_wait_loadcnt_dscnt 0x0
	v_lshlrev_b32_e32 v14, 24, v14
	s_wait_xcnt 0x0
	s_delay_alu instid0(VALU_DEP_1) | instskip(NEXT) | instid1(VALU_DEP_1)
	v_and_b32_e32 v16, 0x7f000000, v14
	v_clz_i32_u32_e32 v17, v16
	v_add_nc_u32_e32 v20, 0x1000000, v16
	v_cmp_ne_u32_e32 vcc_lo, 0, v16
	s_delay_alu instid0(VALU_DEP_3) | instskip(NEXT) | instid1(VALU_DEP_1)
	v_min_u32_e32 v17, 32, v17
	v_sub_nc_u32_e64 v17, v17, 4 clamp
	s_delay_alu instid0(VALU_DEP_1) | instskip(NEXT) | instid1(VALU_DEP_1)
	v_dual_lshlrev_b32 v19, v17, v16 :: v_dual_lshlrev_b32 v17, 23, v17
	v_lshrrev_b32_e32 v19, 4, v19
	s_delay_alu instid0(VALU_DEP_1) | instskip(NEXT) | instid1(VALU_DEP_1)
	v_dual_sub_nc_u32 v17, v19, v17 :: v_dual_ashrrev_i32 v19, 8, v20
	v_add_nc_u32_e32 v17, 0x3c000000, v17
	s_delay_alu instid0(VALU_DEP_1) | instskip(NEXT) | instid1(VALU_DEP_1)
	v_and_or_b32 v17, 0x7f800000, v19, v17
	v_cndmask_b32_e32 v16, 0, v17, vcc_lo
	s_delay_alu instid0(VALU_DEP_1)
	v_and_or_b32 v14, 0x80000000, v14, v16
.LBB14_3521:                            ;   in Loop: Header=BB14_17 Depth=1
	s_or_b32 exec_lo, exec_lo, s93
                                        ; implicit-def: $vgpr16_vgpr17
.LBB14_3522:                            ;   in Loop: Header=BB14_17 Depth=1
	s_and_not1_saveexec_b32 s92, s92
	s_cbranch_execz .LBB14_3524
; %bb.3523:                             ;   in Loop: Header=BB14_17 Depth=1
	flat_load_u8 v14, v[16:17]
	s_wait_loadcnt_dscnt 0x0
	v_lshlrev_b32_e32 v16, 25, v14
	v_lshlrev_b16 v14, 8, v14
	s_delay_alu instid0(VALU_DEP_1) | instskip(SKIP_1) | instid1(VALU_DEP_2)
	v_and_or_b32 v19, 0x7f00, v14, 0.5
	v_bfe_i32 v14, v14, 0, 16
	v_dual_add_f32 v19, -0.5, v19 :: v_dual_lshrrev_b32 v17, 4, v16
	v_cmp_gt_u32_e32 vcc_lo, 0x8000000, v16
	s_delay_alu instid0(VALU_DEP_2) | instskip(NEXT) | instid1(VALU_DEP_1)
	v_or_b32_e32 v17, 0x70000000, v17
	v_mul_f32_e32 v17, 0x7800000, v17
	s_delay_alu instid0(VALU_DEP_1) | instskip(NEXT) | instid1(VALU_DEP_1)
	v_cndmask_b32_e32 v16, v17, v19, vcc_lo
	v_and_or_b32 v14, 0x80000000, v14, v16
.LBB14_3524:                            ;   in Loop: Header=BB14_17 Depth=1
	s_or_b32 exec_lo, exec_lo, s92
	s_delay_alu instid0(SALU_CYCLE_1)
	s_or_b32 s92, s90, exec_lo
                                        ; implicit-def: $vgpr19
                                        ; implicit-def: $vgpr16_vgpr17
.LBB14_3525:                            ;   in Loop: Header=BB14_17 Depth=1
	s_and_not1_saveexec_b32 s91, s91
	s_cbranch_execz .LBB14_3535
; %bb.3526:                             ;   in Loop: Header=BB14_17 Depth=1
	s_mov_b32 s93, s92
	s_mov_b32 s94, exec_lo
                                        ; implicit-def: $vgpr14
	v_cmpx_lt_i16_e32 14, v19
	s_xor_b32 s94, exec_lo, s94
	s_cbranch_execz .LBB14_3530
; %bb.3527:                             ;   in Loop: Header=BB14_17 Depth=1
	s_mov_b32 s93, s92
	s_mov_b32 s95, exec_lo
                                        ; implicit-def: $vgpr14
	v_cmpx_eq_u16_e32 15, v19
	s_cbranch_execz .LBB14_3529
; %bb.3528:                             ;   in Loop: Header=BB14_17 Depth=1
	flat_load_u16 v14, v[16:17]
	s_or_b32 s93, s92, exec_lo
	s_wait_loadcnt_dscnt 0x0
	v_lshlrev_b32_e32 v14, 16, v14
.LBB14_3529:                            ;   in Loop: Header=BB14_17 Depth=1
	s_wait_xcnt 0x0
	s_or_b32 exec_lo, exec_lo, s95
	s_delay_alu instid0(SALU_CYCLE_1) | instskip(SKIP_1) | instid1(SALU_CYCLE_1)
	s_and_not1_b32 s95, s92, exec_lo
	s_and_b32 s93, s93, exec_lo
                                        ; implicit-def: $vgpr19
                                        ; implicit-def: $vgpr16_vgpr17
	s_or_b32 s93, s95, s93
.LBB14_3530:                            ;   in Loop: Header=BB14_17 Depth=1
	s_and_not1_saveexec_b32 s94, s94
	s_cbranch_execz .LBB14_3534
; %bb.3531:                             ;   in Loop: Header=BB14_17 Depth=1
	s_mov_b32 s95, s93
	s_mov_b32 vcc_hi, exec_lo
                                        ; implicit-def: $vgpr14
	v_cmpx_eq_u16_e32 11, v19
	s_cbranch_execz .LBB14_3533
; %bb.3532:                             ;   in Loop: Header=BB14_17 Depth=1
	flat_load_u8 v14, v[16:17]
	s_or_b32 s95, s93, exec_lo
	s_wait_loadcnt_dscnt 0x0
	v_cmp_ne_u16_e32 vcc_lo, 0, v14
	v_cndmask_b32_e64 v14, 0, 1.0, vcc_lo
.LBB14_3533:                            ;   in Loop: Header=BB14_17 Depth=1
	s_wait_xcnt 0x0
	s_or_b32 exec_lo, exec_lo, vcc_hi
	s_delay_alu instid0(SALU_CYCLE_1) | instskip(SKIP_1) | instid1(SALU_CYCLE_1)
	s_and_not1_b32 s93, s93, exec_lo
	s_and_b32 s95, s95, exec_lo
	s_or_b32 s93, s93, s95
.LBB14_3534:                            ;   in Loop: Header=BB14_17 Depth=1
	s_or_b32 exec_lo, exec_lo, s94
	s_delay_alu instid0(SALU_CYCLE_1) | instskip(SKIP_1) | instid1(SALU_CYCLE_1)
	s_and_not1_b32 s92, s92, exec_lo
	s_and_b32 s93, s93, exec_lo
	s_or_b32 s92, s92, s93
.LBB14_3535:                            ;   in Loop: Header=BB14_17 Depth=1
	s_or_b32 exec_lo, exec_lo, s91
	s_delay_alu instid0(SALU_CYCLE_1) | instskip(SKIP_1) | instid1(SALU_CYCLE_1)
	s_and_not1_b32 s90, s90, exec_lo
	s_and_b32 s91, s92, exec_lo
	s_or_b32 s90, s90, s91
.LBB14_3536:                            ;   in Loop: Header=BB14_17 Depth=1
	s_or_b32 exec_lo, exec_lo, s89
	s_delay_alu instid0(SALU_CYCLE_1)
	s_and_b32 s89, s90, exec_lo
                                        ; implicit-def: $vgpr19
                                        ; implicit-def: $vgpr16_vgpr17
	s_and_not1_saveexec_b32 s88, s88
	s_cbranch_execz .LBB14_1788
.LBB14_3537:                            ;   in Loop: Header=BB14_17 Depth=1
	s_mov_b32 s90, exec_lo
                                        ; implicit-def: $vgpr14
	v_cmpx_lt_i16_e32 4, v19
	s_xor_b32 s90, exec_lo, s90
	s_cbranch_execz .LBB14_3559
; %bb.3538:                             ;   in Loop: Header=BB14_17 Depth=1
	s_mov_b32 s91, exec_lo
                                        ; implicit-def: $vgpr14
	v_cmpx_lt_i16_e32 7, v19
	s_xor_b32 s91, exec_lo, s91
	s_cbranch_execz .LBB14_3548
; %bb.3539:                             ;   in Loop: Header=BB14_17 Depth=1
	s_mov_b32 s92, exec_lo
                                        ; implicit-def: $vgpr14
	v_cmpx_lt_i16_e32 8, v19
	s_xor_b32 s92, exec_lo, s92
	s_cbranch_execz .LBB14_3545
; %bb.3540:                             ;   in Loop: Header=BB14_17 Depth=1
	s_mov_b32 s93, exec_lo
                                        ; implicit-def: $vgpr14
	v_cmpx_lt_i16_e32 9, v19
	s_xor_b32 s93, exec_lo, s93
	s_cbranch_execz .LBB14_3542
; %bb.3541:                             ;   in Loop: Header=BB14_17 Depth=1
	flat_load_b64 v[16:17], v[16:17]
	s_wait_loadcnt_dscnt 0x0
	v_cvt_f32_f64_e32 v14, v[16:17]
                                        ; implicit-def: $vgpr16_vgpr17
.LBB14_3542:                            ;   in Loop: Header=BB14_17 Depth=1
	s_wait_xcnt 0x0
	s_and_not1_saveexec_b32 s93, s93
	s_cbranch_execz .LBB14_3544
; %bb.3543:                             ;   in Loop: Header=BB14_17 Depth=1
	flat_load_b32 v14, v[16:17]
.LBB14_3544:                            ;   in Loop: Header=BB14_17 Depth=1
	s_wait_xcnt 0x0
	s_or_b32 exec_lo, exec_lo, s93
                                        ; implicit-def: $vgpr16_vgpr17
.LBB14_3545:                            ;   in Loop: Header=BB14_17 Depth=1
	s_and_not1_saveexec_b32 s92, s92
	s_cbranch_execz .LBB14_3547
; %bb.3546:                             ;   in Loop: Header=BB14_17 Depth=1
	s_wait_loadcnt_dscnt 0x0
	flat_load_b32 v14, v[16:17]
	s_wait_loadcnt_dscnt 0x0
	v_cvt_f32_f16_e32 v14, v14
.LBB14_3547:                            ;   in Loop: Header=BB14_17 Depth=1
	s_wait_xcnt 0x0
	s_or_b32 exec_lo, exec_lo, s92
                                        ; implicit-def: $vgpr16_vgpr17
                                        ; implicit-def: $vgpr19
.LBB14_3548:                            ;   in Loop: Header=BB14_17 Depth=1
	s_and_not1_saveexec_b32 s91, s91
	s_cbranch_execz .LBB14_3558
; %bb.3549:                             ;   in Loop: Header=BB14_17 Depth=1
	s_mov_b32 s92, exec_lo
                                        ; implicit-def: $vgpr14
	v_cmpx_lt_i16_e32 5, v19
	s_xor_b32 s92, exec_lo, s92
	s_cbranch_execz .LBB14_3555
; %bb.3550:                             ;   in Loop: Header=BB14_17 Depth=1
	s_mov_b32 s93, exec_lo
                                        ; implicit-def: $vgpr14
	v_cmpx_lt_i16_e32 6, v19
	s_xor_b32 s93, exec_lo, s93
	s_cbranch_execz .LBB14_3552
; %bb.3551:                             ;   in Loop: Header=BB14_17 Depth=1
	flat_load_b64 v[16:17], v[16:17]
	s_wait_loadcnt_dscnt 0x0
	v_cvt_f32_f64_e32 v14, v[16:17]
                                        ; implicit-def: $vgpr16_vgpr17
.LBB14_3552:                            ;   in Loop: Header=BB14_17 Depth=1
	s_wait_xcnt 0x0
	s_and_not1_saveexec_b32 s93, s93
	s_cbranch_execz .LBB14_3554
; %bb.3553:                             ;   in Loop: Header=BB14_17 Depth=1
	s_wait_loadcnt_dscnt 0x0
	flat_load_b32 v14, v[16:17]
.LBB14_3554:                            ;   in Loop: Header=BB14_17 Depth=1
	s_wait_xcnt 0x0
	s_or_b32 exec_lo, exec_lo, s93
                                        ; implicit-def: $vgpr16_vgpr17
.LBB14_3555:                            ;   in Loop: Header=BB14_17 Depth=1
	s_and_not1_saveexec_b32 s92, s92
	s_cbranch_execz .LBB14_3557
; %bb.3556:                             ;   in Loop: Header=BB14_17 Depth=1
	s_wait_loadcnt_dscnt 0x0
	flat_load_u16 v14, v[16:17]
	s_wait_loadcnt_dscnt 0x0
	v_cvt_f32_f16_e32 v14, v14
.LBB14_3557:                            ;   in Loop: Header=BB14_17 Depth=1
	s_wait_xcnt 0x0
	s_or_b32 exec_lo, exec_lo, s92
.LBB14_3558:                            ;   in Loop: Header=BB14_17 Depth=1
	s_delay_alu instid0(SALU_CYCLE_1)
	s_or_b32 exec_lo, exec_lo, s91
                                        ; implicit-def: $vgpr19
                                        ; implicit-def: $vgpr16_vgpr17
.LBB14_3559:                            ;   in Loop: Header=BB14_17 Depth=1
	s_and_not1_saveexec_b32 s90, s90
	s_cbranch_execz .LBB14_3577
; %bb.3560:                             ;   in Loop: Header=BB14_17 Depth=1
	s_mov_b32 s91, exec_lo
                                        ; implicit-def: $vgpr14
	v_cmpx_lt_i16_e32 1, v19
	s_xor_b32 s91, exec_lo, s91
	s_cbranch_execz .LBB14_3570
; %bb.3561:                             ;   in Loop: Header=BB14_17 Depth=1
	s_mov_b32 s92, exec_lo
                                        ; implicit-def: $vgpr14
	v_cmpx_lt_i16_e32 2, v19
	s_xor_b32 s92, exec_lo, s92
	;; [unrolled: 6-line block ×3, first 2 shown]
	s_cbranch_execz .LBB14_3564
; %bb.3563:                             ;   in Loop: Header=BB14_17 Depth=1
	flat_load_b64 v[16:17], v[16:17]
	s_wait_loadcnt_dscnt 0x0
	v_xor_b32_e32 v14, v16, v17
	v_cls_i32_e32 v19, v17
	s_delay_alu instid0(VALU_DEP_2) | instskip(NEXT) | instid1(VALU_DEP_1)
	v_ashrrev_i32_e32 v14, 31, v14
	v_add_nc_u32_e32 v14, 32, v14
	s_delay_alu instid0(VALU_DEP_1) | instskip(SKIP_1) | instid1(VALU_DEP_1)
	v_add_min_u32_e64 v14, v19, -1, v14
	s_wait_xcnt 0x0
	v_lshlrev_b64_e32 v[16:17], v14, v[16:17]
	v_sub_nc_u32_e32 v14, 32, v14
	s_delay_alu instid0(VALU_DEP_2) | instskip(NEXT) | instid1(VALU_DEP_1)
	v_min_u32_e32 v16, 1, v16
	v_or_b32_e32 v16, v17, v16
	s_delay_alu instid0(VALU_DEP_1) | instskip(NEXT) | instid1(VALU_DEP_1)
	v_cvt_f32_i32_e32 v16, v16
	v_ldexp_f32 v14, v16, v14
                                        ; implicit-def: $vgpr16_vgpr17
.LBB14_3564:                            ;   in Loop: Header=BB14_17 Depth=1
	s_and_not1_saveexec_b32 s93, s93
	s_cbranch_execz .LBB14_3566
; %bb.3565:                             ;   in Loop: Header=BB14_17 Depth=1
	s_wait_loadcnt_dscnt 0x0
	flat_load_b32 v14, v[16:17]
	s_wait_loadcnt_dscnt 0x0
	v_cvt_f32_i32_e32 v14, v14
.LBB14_3566:                            ;   in Loop: Header=BB14_17 Depth=1
	s_wait_xcnt 0x0
	s_or_b32 exec_lo, exec_lo, s93
                                        ; implicit-def: $vgpr16_vgpr17
.LBB14_3567:                            ;   in Loop: Header=BB14_17 Depth=1
	s_and_not1_saveexec_b32 s92, s92
	s_cbranch_execz .LBB14_3569
; %bb.3568:                             ;   in Loop: Header=BB14_17 Depth=1
	s_wait_loadcnt_dscnt 0x0
	flat_load_i16 v14, v[16:17]
	s_wait_loadcnt_dscnt 0x0
	v_cvt_f32_i32_e32 v14, v14
.LBB14_3569:                            ;   in Loop: Header=BB14_17 Depth=1
	s_wait_xcnt 0x0
	s_or_b32 exec_lo, exec_lo, s92
                                        ; implicit-def: $vgpr16_vgpr17
                                        ; implicit-def: $vgpr19
.LBB14_3570:                            ;   in Loop: Header=BB14_17 Depth=1
	s_and_not1_saveexec_b32 s91, s91
	s_cbranch_execz .LBB14_3576
; %bb.3571:                             ;   in Loop: Header=BB14_17 Depth=1
	s_mov_b32 s92, exec_lo
                                        ; implicit-def: $vgpr14
	v_cmpx_lt_i16_e32 0, v19
	s_xor_b32 s92, exec_lo, s92
	s_cbranch_execz .LBB14_3573
; %bb.3572:                             ;   in Loop: Header=BB14_17 Depth=1
	s_wait_loadcnt_dscnt 0x0
	flat_load_i8 v14, v[16:17]
                                        ; implicit-def: $vgpr16_vgpr17
	s_wait_loadcnt_dscnt 0x0
	v_cvt_f32_i32_e32 v14, v14
.LBB14_3573:                            ;   in Loop: Header=BB14_17 Depth=1
	s_wait_xcnt 0x0
	s_and_not1_saveexec_b32 s92, s92
	s_cbranch_execz .LBB14_3575
; %bb.3574:                             ;   in Loop: Header=BB14_17 Depth=1
	s_wait_loadcnt_dscnt 0x0
	flat_load_u8 v14, v[16:17]
	s_wait_loadcnt_dscnt 0x0
	v_cvt_f32_ubyte0_e32 v14, v14
.LBB14_3575:                            ;   in Loop: Header=BB14_17 Depth=1
	s_wait_xcnt 0x0
	s_or_b32 exec_lo, exec_lo, s92
.LBB14_3576:                            ;   in Loop: Header=BB14_17 Depth=1
	s_delay_alu instid0(SALU_CYCLE_1)
	s_or_b32 exec_lo, exec_lo, s91
.LBB14_3577:                            ;   in Loop: Header=BB14_17 Depth=1
	s_delay_alu instid0(SALU_CYCLE_1) | instskip(NEXT) | instid1(SALU_CYCLE_1)
	s_or_b32 exec_lo, exec_lo, s90
	s_or_b32 s89, s89, exec_lo
	s_or_b32 exec_lo, exec_lo, s88
	s_mov_b32 s90, 0
	s_and_saveexec_b32 s88, s89
	s_cbranch_execnz .LBB14_1789
	s_branch .LBB14_1790
.LBB14_3578:                            ;   in Loop: Header=BB14_17 Depth=1
	s_mov_b32 s63, -1
	s_mov_b32 s73, exec_lo
	v_cmpx_eq_u16_e32 0x80, v16
; %bb.3579:                             ;   in Loop: Header=BB14_17 Depth=1
	s_xor_b32 s63, exec_lo, -1
; %bb.3580:                             ;   in Loop: Header=BB14_17 Depth=1
	s_or_b32 exec_lo, exec_lo, s73
	s_delay_alu instid0(SALU_CYCLE_1)
	s_and_b32 s63, s63, exec_lo
	s_or_saveexec_b32 s72, s72
	v_mov_b32_e32 v14, 0x7f800001
	s_xor_b32 exec_lo, exec_lo, s72
	s_cbranch_execz .LBB14_2936
.LBB14_3581:                            ;   in Loop: Header=BB14_17 Depth=1
	v_cmp_ne_u16_e32 vcc_lo, 0, v16
	v_mov_b32_e32 v14, 0
	s_and_not1_b32 s63, s63, exec_lo
	s_and_b32 s73, vcc_lo, exec_lo
	s_delay_alu instid0(SALU_CYCLE_1)
	s_or_b32 s63, s63, s73
	s_or_b32 exec_lo, exec_lo, s72
	s_and_saveexec_b32 s72, s63
	s_cbranch_execnz .LBB14_2937
	s_branch .LBB14_2938
.LBB14_3582:                            ;   in Loop: Header=BB14_17 Depth=1
	s_mov_b32 s73, -1
	s_mov_b32 s75, exec_lo
	v_cmpx_eq_u16_e32 0x80, v16
; %bb.3583:                             ;   in Loop: Header=BB14_17 Depth=1
	s_xor_b32 s73, exec_lo, -1
; %bb.3584:                             ;   in Loop: Header=BB14_17 Depth=1
	s_or_b32 exec_lo, exec_lo, s75
	s_delay_alu instid0(SALU_CYCLE_1)
	s_and_b32 s73, s73, exec_lo
	s_or_saveexec_b32 s74, s74
	v_mov_b32_e32 v14, 0x7f800001
	s_xor_b32 exec_lo, exec_lo, s74
	s_cbranch_execz .LBB14_3041
.LBB14_3585:                            ;   in Loop: Header=BB14_17 Depth=1
	v_cmp_ne_u16_e32 vcc_lo, 0, v16
	v_mov_b32_e32 v14, 0
	s_and_not1_b32 s73, s73, exec_lo
	s_and_b32 s75, vcc_lo, exec_lo
	s_delay_alu instid0(SALU_CYCLE_1)
	s_or_b32 s73, s73, s75
	s_or_b32 exec_lo, exec_lo, s74
	s_and_saveexec_b32 s74, s73
	s_cbranch_execnz .LBB14_3042
	s_branch .LBB14_3043
.LBB14_3586:                            ;   in Loop: Header=BB14_17 Depth=1
	s_mov_b32 s75, -1
	s_mov_b32 s77, exec_lo
	v_cmpx_eq_u16_e32 0x80, v16
; %bb.3587:                             ;   in Loop: Header=BB14_17 Depth=1
	s_xor_b32 s75, exec_lo, -1
; %bb.3588:                             ;   in Loop: Header=BB14_17 Depth=1
	s_or_b32 exec_lo, exec_lo, s77
	s_delay_alu instid0(SALU_CYCLE_1)
	s_and_b32 s75, s75, exec_lo
	s_or_saveexec_b32 s76, s76
	v_mov_b32_e32 v14, 0x7f800001
	s_xor_b32 exec_lo, exec_lo, s76
	s_cbranch_execz .LBB14_1389
.LBB14_3589:                            ;   in Loop: Header=BB14_17 Depth=1
	v_cmp_ne_u16_e32 vcc_lo, 0, v16
	v_mov_b32_e32 v14, 0
	s_and_not1_b32 s75, s75, exec_lo
	s_and_b32 s77, vcc_lo, exec_lo
	s_delay_alu instid0(SALU_CYCLE_1)
	s_or_b32 s75, s75, s77
	s_or_b32 exec_lo, exec_lo, s76
	s_and_saveexec_b32 s76, s75
	s_cbranch_execnz .LBB14_1390
	s_branch .LBB14_1391
.LBB14_3590:                            ;   in Loop: Header=BB14_17 Depth=1
	s_mov_b32 s77, -1
	s_mov_b32 s79, exec_lo
	v_cmpx_eq_u16_e32 0x80, v16
; %bb.3591:                             ;   in Loop: Header=BB14_17 Depth=1
	s_xor_b32 s77, exec_lo, -1
; %bb.3592:                             ;   in Loop: Header=BB14_17 Depth=1
	s_or_b32 exec_lo, exec_lo, s79
	s_delay_alu instid0(SALU_CYCLE_1)
	s_and_b32 s77, s77, exec_lo
	s_or_saveexec_b32 s78, s78
	v_mov_b32_e32 v14, 0x7f800001
	s_xor_b32 exec_lo, exec_lo, s78
	s_cbranch_execz .LBB14_1489
.LBB14_3593:                            ;   in Loop: Header=BB14_17 Depth=1
	v_cmp_ne_u16_e32 vcc_lo, 0, v16
	v_mov_b32_e32 v14, 0
	s_and_not1_b32 s77, s77, exec_lo
	s_and_b32 s79, vcc_lo, exec_lo
	s_delay_alu instid0(SALU_CYCLE_1)
	s_or_b32 s77, s77, s79
	s_or_b32 exec_lo, exec_lo, s78
	s_and_saveexec_b32 s78, s77
	s_cbranch_execnz .LBB14_1490
	s_branch .LBB14_1491
.LBB14_3594:                            ;   in Loop: Header=BB14_17 Depth=1
	s_mov_b32 s74, -1
	s_mov_b32 s76, exec_lo
	v_cmpx_eq_u16_e32 0x80, v16
; %bb.3595:                             ;   in Loop: Header=BB14_17 Depth=1
	s_xor_b32 s74, exec_lo, -1
; %bb.3596:                             ;   in Loop: Header=BB14_17 Depth=1
	s_or_b32 exec_lo, exec_lo, s76
	s_delay_alu instid0(SALU_CYCLE_1)
	s_and_b32 s74, s74, exec_lo
	s_or_saveexec_b32 s75, s75
	v_mov_b32_e32 v14, 0x7f800001
	s_xor_b32 exec_lo, exec_lo, s75
	s_cbranch_execz .LBB14_3052
.LBB14_3597:                            ;   in Loop: Header=BB14_17 Depth=1
	v_cmp_ne_u16_e32 vcc_lo, 0, v16
	v_mov_b32_e32 v14, 0
	s_and_not1_b32 s74, s74, exec_lo
	s_and_b32 s76, vcc_lo, exec_lo
	s_delay_alu instid0(SALU_CYCLE_1)
	s_or_b32 s74, s74, s76
	s_or_b32 exec_lo, exec_lo, s75
	s_and_saveexec_b32 s75, s74
	s_cbranch_execnz .LBB14_3053
	s_branch .LBB14_3054
.LBB14_3598:                            ;   in Loop: Header=BB14_17 Depth=1
	s_mov_b32 s76, -1
	s_mov_b32 s78, exec_lo
	v_cmpx_eq_u16_e32 0x80, v16
; %bb.3599:                             ;   in Loop: Header=BB14_17 Depth=1
	s_xor_b32 s76, exec_lo, -1
; %bb.3600:                             ;   in Loop: Header=BB14_17 Depth=1
	s_or_b32 exec_lo, exec_lo, s78
	s_delay_alu instid0(SALU_CYCLE_1)
	s_and_b32 s76, s76, exec_lo
	s_or_saveexec_b32 s77, s77
	v_mov_b32_e32 v14, 0x7f800001
	s_xor_b32 exec_lo, exec_lo, s77
	s_cbranch_execz .LBB14_3157
.LBB14_3601:                            ;   in Loop: Header=BB14_17 Depth=1
	v_cmp_ne_u16_e32 vcc_lo, 0, v16
	v_mov_b32_e32 v14, 0
	s_and_not1_b32 s76, s76, exec_lo
	s_and_b32 s78, vcc_lo, exec_lo
	s_delay_alu instid0(SALU_CYCLE_1)
	s_or_b32 s76, s76, s78
	s_or_b32 exec_lo, exec_lo, s77
	s_and_saveexec_b32 s77, s76
	s_cbranch_execnz .LBB14_3158
	s_branch .LBB14_3159
.LBB14_3602:                            ;   in Loop: Header=BB14_17 Depth=1
	s_mov_b32 s78, -1
	s_mov_b32 s88, exec_lo
	v_cmpx_eq_u16_e32 0x80, v16
; %bb.3603:                             ;   in Loop: Header=BB14_17 Depth=1
	s_xor_b32 s78, exec_lo, -1
; %bb.3604:                             ;   in Loop: Header=BB14_17 Depth=1
	s_or_b32 exec_lo, exec_lo, s88
	s_delay_alu instid0(SALU_CYCLE_1)
	s_and_b32 s78, s78, exec_lo
	s_or_saveexec_b32 s79, s79
	v_mov_b32_e32 v14, 0x7f800001
	s_xor_b32 exec_lo, exec_lo, s79
	s_cbranch_execz .LBB14_1500
.LBB14_3605:                            ;   in Loop: Header=BB14_17 Depth=1
	v_cmp_ne_u16_e32 vcc_lo, 0, v16
	v_mov_b32_e32 v14, 0
	s_and_not1_b32 s78, s78, exec_lo
	s_and_b32 s88, vcc_lo, exec_lo
	s_delay_alu instid0(SALU_CYCLE_1)
	s_or_b32 s78, s78, s88
	s_or_b32 exec_lo, exec_lo, s79
	s_and_saveexec_b32 s79, s78
	s_cbranch_execnz .LBB14_1501
	s_branch .LBB14_1502
.LBB14_3606:                            ;   in Loop: Header=BB14_17 Depth=1
	s_mov_b32 s88, -1
	s_mov_b32 s90, exec_lo
	v_cmpx_eq_u16_e32 0x80, v16
; %bb.3607:                             ;   in Loop: Header=BB14_17 Depth=1
	s_xor_b32 s88, exec_lo, -1
; %bb.3608:                             ;   in Loop: Header=BB14_17 Depth=1
	s_or_b32 exec_lo, exec_lo, s90
	s_delay_alu instid0(SALU_CYCLE_1)
	s_and_b32 s88, s88, exec_lo
	s_or_saveexec_b32 s89, s89
	v_mov_b32_e32 v14, 0x7f800001
	s_xor_b32 exec_lo, exec_lo, s89
	s_cbranch_execz .LBB14_1600
.LBB14_3609:                            ;   in Loop: Header=BB14_17 Depth=1
	v_cmp_ne_u16_e32 vcc_lo, 0, v16
	v_mov_b32_e32 v14, 0
	s_and_not1_b32 s88, s88, exec_lo
	s_and_b32 s90, vcc_lo, exec_lo
	s_delay_alu instid0(SALU_CYCLE_1)
	s_or_b32 s88, s88, s90
	s_or_b32 exec_lo, exec_lo, s89
	s_and_saveexec_b32 s89, s88
	s_cbranch_execnz .LBB14_1601
	s_branch .LBB14_1602
.LBB14_3610:                            ;   in Loop: Header=BB14_17 Depth=1
	s_mov_b32 s77, -1
	s_mov_b32 s79, exec_lo
	v_cmpx_eq_u16_e32 0x80, v16
; %bb.3611:                             ;   in Loop: Header=BB14_17 Depth=1
	s_xor_b32 s77, exec_lo, -1
; %bb.3612:                             ;   in Loop: Header=BB14_17 Depth=1
	s_or_b32 exec_lo, exec_lo, s79
	s_delay_alu instid0(SALU_CYCLE_1)
	s_and_b32 s77, s77, exec_lo
	s_or_saveexec_b32 s78, s78
	v_mov_b32_e32 v14, 0x7f800001
	s_xor_b32 exec_lo, exec_lo, s78
	s_cbranch_execz .LBB14_3168
.LBB14_3613:                            ;   in Loop: Header=BB14_17 Depth=1
	v_cmp_ne_u16_e32 vcc_lo, 0, v16
	v_mov_b32_e32 v14, 0
	s_and_not1_b32 s77, s77, exec_lo
	s_and_b32 s79, vcc_lo, exec_lo
	s_delay_alu instid0(SALU_CYCLE_1)
	s_or_b32 s77, s77, s79
	s_or_b32 exec_lo, exec_lo, s78
	s_and_saveexec_b32 s78, s77
	s_cbranch_execnz .LBB14_3169
	s_branch .LBB14_3170
.LBB14_3614:                            ;   in Loop: Header=BB14_17 Depth=1
	s_mov_b32 s79, -1
	s_mov_b32 s89, exec_lo
	v_cmpx_eq_u16_e32 0x80, v16
; %bb.3615:                             ;   in Loop: Header=BB14_17 Depth=1
	s_xor_b32 s79, exec_lo, -1
; %bb.3616:                             ;   in Loop: Header=BB14_17 Depth=1
	s_or_b32 exec_lo, exec_lo, s89
	s_delay_alu instid0(SALU_CYCLE_1)
	s_and_b32 s79, s79, exec_lo
	s_or_saveexec_b32 s88, s88
	v_mov_b32_e32 v14, 0x7f800001
	s_xor_b32 exec_lo, exec_lo, s88
	s_cbranch_execz .LBB14_3273
.LBB14_3617:                            ;   in Loop: Header=BB14_17 Depth=1
	v_cmp_ne_u16_e32 vcc_lo, 0, v16
	v_mov_b32_e32 v14, 0
	s_and_not1_b32 s79, s79, exec_lo
	s_and_b32 s89, vcc_lo, exec_lo
	s_delay_alu instid0(SALU_CYCLE_1)
	s_or_b32 s79, s79, s89
	s_or_b32 exec_lo, exec_lo, s88
	s_and_saveexec_b32 s88, s79
	s_cbranch_execnz .LBB14_3274
	s_branch .LBB14_3275
.LBB14_3618:                            ;   in Loop: Header=BB14_17 Depth=1
	s_mov_b32 s89, -1
	s_mov_b32 s91, exec_lo
	v_cmpx_eq_u16_e32 0x80, v16
; %bb.3619:                             ;   in Loop: Header=BB14_17 Depth=1
	s_xor_b32 s89, exec_lo, -1
; %bb.3620:                             ;   in Loop: Header=BB14_17 Depth=1
	s_or_b32 exec_lo, exec_lo, s91
	s_delay_alu instid0(SALU_CYCLE_1)
	s_and_b32 s89, s89, exec_lo
	s_or_saveexec_b32 s90, s90
	v_mov_b32_e32 v14, 0x7f800001
	s_xor_b32 exec_lo, exec_lo, s90
	s_cbranch_execz .LBB14_1611
.LBB14_3621:                            ;   in Loop: Header=BB14_17 Depth=1
	v_cmp_ne_u16_e32 vcc_lo, 0, v16
	v_mov_b32_e32 v14, 0
	s_and_not1_b32 s89, s89, exec_lo
	s_and_b32 s91, vcc_lo, exec_lo
	s_delay_alu instid0(SALU_CYCLE_1)
	s_or_b32 s89, s89, s91
	s_or_b32 exec_lo, exec_lo, s90
	s_and_saveexec_b32 s90, s89
	s_cbranch_execnz .LBB14_1612
	s_branch .LBB14_1613
.LBB14_3622:                            ;   in Loop: Header=BB14_17 Depth=1
	s_mov_b32 s91, -1
	s_mov_b32 s93, exec_lo
	v_cmpx_eq_u16_e32 0x80, v16
; %bb.3623:                             ;   in Loop: Header=BB14_17 Depth=1
	s_xor_b32 s91, exec_lo, -1
; %bb.3624:                             ;   in Loop: Header=BB14_17 Depth=1
	s_or_b32 exec_lo, exec_lo, s93
	s_delay_alu instid0(SALU_CYCLE_1)
	s_and_b32 s91, s91, exec_lo
	s_or_saveexec_b32 s92, s92
	v_mov_b32_e32 v14, 0x7f800001
	s_xor_b32 exec_lo, exec_lo, s92
	s_cbranch_execz .LBB14_1711
.LBB14_3625:                            ;   in Loop: Header=BB14_17 Depth=1
	v_cmp_ne_u16_e32 vcc_lo, 0, v16
	v_mov_b32_e32 v14, 0
	s_and_not1_b32 s91, s91, exec_lo
	s_and_b32 s93, vcc_lo, exec_lo
	s_delay_alu instid0(SALU_CYCLE_1)
	s_or_b32 s91, s91, s93
	s_or_b32 exec_lo, exec_lo, s92
	s_and_saveexec_b32 s92, s91
	s_cbranch_execnz .LBB14_1712
	s_branch .LBB14_1713
.LBB14_3626:                            ;   in Loop: Header=BB14_17 Depth=1
	s_mov_b32 s88, -1
	s_mov_b32 s90, exec_lo
	v_cmpx_eq_u16_e32 0x80, v16
; %bb.3627:                             ;   in Loop: Header=BB14_17 Depth=1
	s_xor_b32 s88, exec_lo, -1
; %bb.3628:                             ;   in Loop: Header=BB14_17 Depth=1
	s_or_b32 exec_lo, exec_lo, s90
	s_delay_alu instid0(SALU_CYCLE_1)
	s_and_b32 s88, s88, exec_lo
	s_or_saveexec_b32 s89, s89
	v_mov_b32_e32 v14, 0x7f800001
	s_xor_b32 exec_lo, exec_lo, s89
	s_cbranch_execz .LBB14_3284
.LBB14_3629:                            ;   in Loop: Header=BB14_17 Depth=1
	v_cmp_ne_u16_e32 vcc_lo, 0, v16
	v_mov_b32_e32 v14, 0
	s_and_not1_b32 s88, s88, exec_lo
	s_and_b32 s90, vcc_lo, exec_lo
	s_delay_alu instid0(SALU_CYCLE_1)
	s_or_b32 s88, s88, s90
	s_or_b32 exec_lo, exec_lo, s89
	s_and_saveexec_b32 s89, s88
	s_cbranch_execnz .LBB14_3285
	s_branch .LBB14_3286
.LBB14_3630:                            ;   in Loop: Header=BB14_17 Depth=1
	s_mov_b32 s90, -1
	s_mov_b32 s92, exec_lo
	v_cmpx_eq_u16_e32 0x80, v16
; %bb.3631:                             ;   in Loop: Header=BB14_17 Depth=1
	s_xor_b32 s90, exec_lo, -1
; %bb.3632:                             ;   in Loop: Header=BB14_17 Depth=1
	s_or_b32 exec_lo, exec_lo, s92
	s_delay_alu instid0(SALU_CYCLE_1)
	s_and_b32 s90, s90, exec_lo
	s_or_saveexec_b32 s91, s91
	v_mov_b32_e32 v14, 0x7f800001
	s_xor_b32 exec_lo, exec_lo, s91
	s_cbranch_execz .LBB14_3389
.LBB14_3633:                            ;   in Loop: Header=BB14_17 Depth=1
	v_cmp_ne_u16_e32 vcc_lo, 0, v16
	v_mov_b32_e32 v14, 0
	s_and_not1_b32 s90, s90, exec_lo
	s_and_b32 s92, vcc_lo, exec_lo
	s_delay_alu instid0(SALU_CYCLE_1)
	s_or_b32 s90, s90, s92
	s_or_b32 exec_lo, exec_lo, s91
	s_and_saveexec_b32 s91, s90
	s_cbranch_execnz .LBB14_3390
	s_branch .LBB14_3391
.LBB14_3634:                            ;   in Loop: Header=BB14_17 Depth=1
	s_mov_b32 s92, -1
	s_mov_b32 s94, exec_lo
	v_cmpx_eq_u16_e32 0x80, v16
; %bb.3635:                             ;   in Loop: Header=BB14_17 Depth=1
	s_xor_b32 s92, exec_lo, -1
; %bb.3636:                             ;   in Loop: Header=BB14_17 Depth=1
	s_or_b32 exec_lo, exec_lo, s94
	s_delay_alu instid0(SALU_CYCLE_1)
	s_and_b32 s92, s92, exec_lo
	s_or_saveexec_b32 s93, s93
	v_mov_b32_e32 v14, 0x7f800001
	s_xor_b32 exec_lo, exec_lo, s93
	s_cbranch_execz .LBB14_1722
.LBB14_3637:                            ;   in Loop: Header=BB14_17 Depth=1
	v_cmp_ne_u16_e32 vcc_lo, 0, v16
	v_mov_b32_e32 v14, 0
	s_and_not1_b32 s92, s92, exec_lo
	s_and_b32 s94, vcc_lo, exec_lo
	s_delay_alu instid0(SALU_CYCLE_1)
	s_or_b32 s92, s92, s94
	s_or_b32 exec_lo, exec_lo, s93
	s_and_saveexec_b32 s93, s92
	s_cbranch_execnz .LBB14_1723
	s_branch .LBB14_1724
.LBB14_3638:                            ;   in Loop: Header=BB14_17 Depth=1
	s_mov_b32 s91, -1
	s_mov_b32 s93, exec_lo
	v_cmpx_eq_u16_e32 0x80, v16
; %bb.3639:                             ;   in Loop: Header=BB14_17 Depth=1
	s_xor_b32 s91, exec_lo, -1
; %bb.3640:                             ;   in Loop: Header=BB14_17 Depth=1
	s_or_b32 exec_lo, exec_lo, s93
	s_delay_alu instid0(SALU_CYCLE_1)
	s_and_b32 s91, s91, exec_lo
	s_or_saveexec_b32 s92, s92
	v_mov_b32_e32 v14, 0x7f800001
	s_xor_b32 exec_lo, exec_lo, s92
	s_cbranch_execz .LBB14_3400
.LBB14_3641:                            ;   in Loop: Header=BB14_17 Depth=1
	v_cmp_ne_u16_e32 vcc_lo, 0, v16
	v_mov_b32_e32 v14, 0
	s_and_not1_b32 s91, s91, exec_lo
	s_and_b32 s93, vcc_lo, exec_lo
	s_delay_alu instid0(SALU_CYCLE_1)
	s_or_b32 s91, s91, s93
	s_or_b32 exec_lo, exec_lo, s92
	s_and_saveexec_b32 s92, s91
	s_cbranch_execnz .LBB14_3401
	s_branch .LBB14_3402
.LBB14_3642:                            ;   in Loop: Header=BB14_17 Depth=1
	s_mov_b32 s93, -1
	s_mov_b32 s95, exec_lo
	v_cmpx_eq_u16_e32 0x80, v16
; %bb.3643:                             ;   in Loop: Header=BB14_17 Depth=1
	s_xor_b32 s93, exec_lo, -1
; %bb.3644:                             ;   in Loop: Header=BB14_17 Depth=1
	s_or_b32 exec_lo, exec_lo, s95
	s_delay_alu instid0(SALU_CYCLE_1)
	s_and_b32 s93, s93, exec_lo
	s_or_saveexec_b32 s94, s94
	v_mov_b32_e32 v14, 0x7f800001
	s_xor_b32 exec_lo, exec_lo, s94
	s_cbranch_execz .LBB14_3505
.LBB14_3645:                            ;   in Loop: Header=BB14_17 Depth=1
	v_cmp_ne_u16_e32 vcc_lo, 0, v16
	v_mov_b32_e32 v14, 0
	s_and_not1_b32 s93, s93, exec_lo
	s_and_b32 s95, vcc_lo, exec_lo
	s_delay_alu instid0(SALU_CYCLE_1)
	s_or_b32 s93, s93, s95
	s_or_b32 exec_lo, exec_lo, s94
	s_and_saveexec_b32 s94, s93
	s_cbranch_execnz .LBB14_3506
	s_branch .LBB14_3507
.LBB14_3646:                            ;   in Loop: Header=BB14_17 Depth=1
	s_mov_b32 s94, -1
	s_mov_b32 vcc_hi, exec_lo
	v_cmpx_eq_u16_e32 0x80, v16
; %bb.3647:                             ;   in Loop: Header=BB14_17 Depth=1
	s_xor_b32 s94, exec_lo, -1
; %bb.3648:                             ;   in Loop: Header=BB14_17 Depth=1
	s_or_b32 exec_lo, exec_lo, vcc_hi
	s_delay_alu instid0(SALU_CYCLE_1)
	s_and_b32 s94, s94, exec_lo
	s_or_saveexec_b32 s95, s95
	v_mov_b32_e32 v14, 0x7f800001
	s_xor_b32 exec_lo, exec_lo, s95
	s_cbranch_execz .LBB14_3516
.LBB14_3649:                            ;   in Loop: Header=BB14_17 Depth=1
	v_cmp_ne_u16_e32 vcc_lo, 0, v16
	v_mov_b32_e32 v14, 0
	s_and_not1_b32 s94, s94, exec_lo
	s_and_b32 vcc_lo, vcc_lo, exec_lo
	s_delay_alu instid0(SALU_CYCLE_1)
	s_or_b32 s94, s94, vcc_lo
	s_or_b32 exec_lo, exec_lo, s95
	s_and_saveexec_b32 s95, s94
	s_cbranch_execnz .LBB14_3517
	s_branch .LBB14_3518
.LBB14_3650:
	s_or_b32 exec_lo, exec_lo, s0
	s_xor_b32 s1, s4, -1
	s_xor_b32 s3, s3, -1
	s_mov_b32 s0, 0
	s_and_saveexec_b32 s4, s3
	s_delay_alu instid0(SALU_CYCLE_1)
	s_xor_b32 s3, exec_lo, s4
	s_cbranch_execnz .LBB14_3655
; %bb.3651:
	s_and_not1_saveexec_b32 s1, s3
	s_cbranch_execnz .LBB14_7813
.LBB14_3652:
	s_or_b32 exec_lo, exec_lo, s1
	s_and_saveexec_b32 s1, s0
.LBB14_3653:
	; divergent unreachable
.LBB14_3654:
	s_delay_alu instid0(SALU_CYCLE_1)
	s_or_b32 exec_lo, exec_lo, s1
	v_readlane_b32 s30, v40, 12
	v_readlane_b32 s31, v40, 13
	;; [unrolled: 1-line block ×14, first 2 shown]
	s_or_saveexec_b32 s0, -1
	scratch_load_b32 v40, off, s32 offset:256 ; 4-byte Folded Reload
	s_wait_xcnt 0x0
	s_mov_b32 exec_lo, s0
	s_wait_loadcnt_dscnt 0x0
	s_set_pc_i64 s[30:31]
.LBB14_3655:
	s_and_saveexec_b32 s4, s1
	s_delay_alu instid0(SALU_CYCLE_1)
	s_xor_b32 s4, exec_lo, s4
	s_cbranch_execz .LBB14_7811
; %bb.3656:
	s_clause 0xd
	scratch_load_b128 v[112:115], off, s32
	scratch_load_b128 v[100:103], off, s32 offset:16
	scratch_load_b128 v[96:99], off, s32 offset:32
	;; [unrolled: 1-line block ×13, first 2 shown]
	s_wait_loadcnt_dscnt 0xe00
	s_clause 0x1
	scratch_load_b128 v[14:17], off, s32 offset:224
	scratch_load_b128 v[2:5], off, s32 offset:240
	v_add_nc_u32_e32 v7, 0x200, v13
	s_mov_b32 s8, -1
	s_mov_b32 s6, 0
	s_mov_b32 s1, 0
	;; [unrolled: 1-line block ×3, first 2 shown]
	s_mov_b32 s5, exec_lo
	v_cmp_lt_i32_e32 vcc_lo, v7, v6
	s_wait_xcnt 0x0
	v_cmpx_lt_i32_e64 v13, v6
	s_cbranch_execz .LBB14_3782
; %bb.3657:
	v_dual_mov_b32 v9, 0 :: v_dual_bitop2_b32 v8, s2, v13 bitop3:0x54
	s_wait_loadcnt 0xf
	v_mul_f32_e32 v13, v112, v113
	v_cmp_lt_f32_e64 s0, 0, v113
	v_and_b32_e32 v10, 0xff, v11
	v_mul_lo_u32 v8, v8, v12
	s_mov_b32 s8, 0
	s_mov_b32 s9, 0
	v_cndmask_b32_e64 v38, v13, v113, s0
	s_mov_b32 s1, exec_lo
	s_delay_alu instid0(VALU_DEP_2)
	v_add_nc_u64_e32 v[8:9], v[0:1], v[8:9]
	v_cmpx_lt_i16_e32 10, v10
	s_xor_b32 s7, exec_lo, s1
	s_cbranch_execz .LBB14_3739
; %bb.3658:
	s_mov_b32 s1, 0
	s_mov_b32 s10, exec_lo
	v_cmpx_lt_i16_e32 25, v10
	s_xor_b32 s10, exec_lo, s10
	s_cbranch_execz .LBB14_3694
; %bb.3659:
	s_mov_b32 s11, 0
	s_mov_b32 s8, exec_lo
	v_cmpx_lt_i16_e32 28, v10
	s_xor_b32 s8, exec_lo, s8
	s_cbranch_execz .LBB14_3677
; %bb.3660:
	s_mov_b32 s13, 0
	s_mov_b32 s12, 0
	s_mov_b32 s9, exec_lo
	v_cmpx_lt_i16_e32 43, v10
	s_xor_b32 s9, exec_lo, s9
	s_cbranch_execz .LBB14_3672
; %bb.3661:
	s_mov_b32 s1, exec_lo
	v_cmpx_lt_i16_e32 45, v10
	s_xor_b32 s1, exec_lo, s1
	s_cbranch_execz .LBB14_3665
; %bb.3662:
	s_mov_b32 s13, -1
	s_mov_b32 s14, 0
	s_mov_b32 s12, exec_lo
	v_cmpx_eq_u16_e32 46, v10
	s_cbranch_execz .LBB14_3664
; %bb.3663:
	v_bfe_u32 v10, v38, 16, 1
	v_cmp_o_f32_e64 s0, v38, v38
	s_mov_b32 s11, exec_lo
	s_and_b32 s14, vcc_lo, exec_lo
	s_xor_b32 s13, exec_lo, -1
	v_add3_u32 v10, v38, v10, 0x7fff
	s_delay_alu instid0(VALU_DEP_1) | instskip(NEXT) | instid1(VALU_DEP_1)
	v_lshrrev_b32_e32 v10, 16, v10
	v_cndmask_b32_e64 v10, 0x7fc0, v10, s0
	flat_store_b32 v[8:9], v10
.LBB14_3664:
	s_wait_xcnt 0x0
	s_or_b32 exec_lo, exec_lo, s12
	s_delay_alu instid0(SALU_CYCLE_1)
	s_and_b32 s12, s14, exec_lo
	s_and_b32 s13, s13, exec_lo
	;; [unrolled: 1-line block ×3, first 2 shown]
                                        ; implicit-def: $vgpr10
                                        ; implicit-def: $vgpr8_vgpr9
                                        ; implicit-def: $vgpr38
.LBB14_3665:
	s_and_not1_saveexec_b32 s14, s1
	s_cbranch_execz .LBB14_3671
; %bb.3666:
	s_mov_b32 s16, -1
	s_mov_b32 s1, s11
	s_mov_b32 s17, s12
	s_mov_b32 s15, exec_lo
	v_cmpx_eq_u16_e32 44, v10
	s_cbranch_execz .LBB14_3670
; %bb.3667:
	v_bfe_u32 v13, v38, 23, 8
	v_mov_b32_e32 v10, 0xff
	s_mov_b32 s16, exec_lo
	s_delay_alu instid0(VALU_DEP_2)
	v_cmpx_ne_u32_e32 0xff, v13
	s_cbranch_execz .LBB14_3669
; %bb.3668:
	v_and_b32_e32 v10, 0x400000, v38
	v_and_or_b32 v13, 0x3fffff, v38, v13
	s_delay_alu instid0(VALU_DEP_2) | instskip(NEXT) | instid1(VALU_DEP_2)
	v_cmp_ne_u32_e64 s0, 0, v10
	v_cmp_ne_u32_e64 s1, 0, v13
	v_lshrrev_b32_e32 v10, 23, v38
	s_and_b32 s0, s0, s1
	s_delay_alu instid0(SALU_CYCLE_1) | instskip(NEXT) | instid1(VALU_DEP_1)
	v_cndmask_b32_e64 v13, 0, 1, s0
	v_add_nc_u32_e32 v10, v10, v13
.LBB14_3669:
	s_or_b32 exec_lo, exec_lo, s16
	s_delay_alu instid0(SALU_CYCLE_1)
	s_and_not1_b32 s0, s12, exec_lo
	s_and_b32 s1, vcc_lo, exec_lo
	s_xor_b32 s16, exec_lo, -1
	s_or_b32 s17, s0, s1
	s_or_b32 s1, s11, exec_lo
	flat_store_b8 v[8:9], v10
.LBB14_3670:
	s_wait_xcnt 0x0
	s_or_b32 exec_lo, exec_lo, s15
	s_delay_alu instid0(SALU_CYCLE_1)
	s_and_not1_b32 s0, s12, exec_lo
	s_and_b32 s12, s17, exec_lo
	s_and_not1_b32 s11, s11, exec_lo
	s_or_b32 s12, s0, s12
	s_and_not1_b32 s0, s13, exec_lo
	s_and_b32 s13, s16, exec_lo
	s_and_b32 s1, s1, exec_lo
	s_or_b32 s13, s0, s13
	s_or_b32 s11, s11, s1
.LBB14_3671:
	s_or_b32 exec_lo, exec_lo, s14
	s_delay_alu instid0(SALU_CYCLE_1)
	s_and_b32 s12, s12, exec_lo
	s_and_b32 s13, s13, exec_lo
	;; [unrolled: 1-line block ×3, first 2 shown]
                                        ; implicit-def: $vgpr10
                                        ; implicit-def: $vgpr38
                                        ; implicit-def: $vgpr8_vgpr9
.LBB14_3672:
	s_and_not1_saveexec_b32 s9, s9
	s_cbranch_execz .LBB14_3676
; %bb.3673:
	s_mov_b32 s15, -1
	s_mov_b32 s14, s1
	s_mov_b32 s16, s12
	s_mov_b32 s11, exec_lo
	v_cmpx_eq_u16_e32 29, v10
	s_cbranch_execz .LBB14_3675
; %bb.3674:
	v_trunc_f32_e32 v10, v38
	s_and_not1_b32 s0, s12, exec_lo
	s_and_b32 s14, vcc_lo, exec_lo
	s_xor_b32 s15, exec_lo, -1
	s_or_b32 s16, s0, s14
	v_mul_f32_e32 v13, 0x2f800000, v10
	s_or_b32 s14, s1, exec_lo
	s_delay_alu instid0(VALU_DEP_1) | instskip(NEXT) | instid1(VALU_DEP_1)
	v_floor_f32_e32 v13, v13
	v_fmamk_f32 v10, v13, 0xcf800000, v10
	v_cvt_u32_f32_e32 v39, v13
	s_delay_alu instid0(VALU_DEP_2)
	v_cvt_u32_f32_e32 v38, v10
	flat_store_b64 v[8:9], v[38:39]
.LBB14_3675:
	s_wait_xcnt 0x0
	s_or_b32 exec_lo, exec_lo, s11
	s_delay_alu instid0(SALU_CYCLE_1)
	s_and_not1_b32 s0, s12, exec_lo
	s_and_b32 s11, s16, exec_lo
	s_and_not1_b32 s1, s1, exec_lo
	s_or_b32 s12, s0, s11
	s_and_not1_b32 s0, s13, exec_lo
	s_and_b32 s11, s15, exec_lo
	s_and_b32 s14, s14, exec_lo
	s_or_b32 s13, s0, s11
	s_or_b32 s1, s1, s14
.LBB14_3676:
	s_or_b32 exec_lo, exec_lo, s9
	s_delay_alu instid0(SALU_CYCLE_1)
	s_and_b32 s11, s12, exec_lo
	s_and_b32 s9, s13, exec_lo
	;; [unrolled: 1-line block ×3, first 2 shown]
                                        ; implicit-def: $vgpr8_vgpr9
                                        ; implicit-def: $vgpr10
                                        ; implicit-def: $vgpr38
.LBB14_3677:
	s_and_not1_saveexec_b32 s8, s8
	s_cbranch_execz .LBB14_3693
; %bb.3678:
	s_mov_b32 s12, exec_lo
	v_cmpx_lt_i16_e32 26, v10
	s_xor_b32 s12, exec_lo, s12
	s_cbranch_execz .LBB14_3684
; %bb.3679:
	v_cmp_lt_i16_e64 s0, 27, v10
	v_cvt_u32_f32_e32 v10, v38
	s_and_saveexec_b32 s13, s0
	s_delay_alu instid0(SALU_CYCLE_1)
	s_xor_b32 s0, exec_lo, s13
	s_cbranch_execz .LBB14_3681
; %bb.3680:
	flat_store_b32 v[8:9], v10
                                        ; implicit-def: $vgpr8_vgpr9
                                        ; implicit-def: $vgpr10
.LBB14_3681:
	s_wait_xcnt 0x0
	s_and_not1_saveexec_b32 s0, s0
	s_cbranch_execz .LBB14_3683
; %bb.3682:
	flat_store_b16 v[8:9], v10
.LBB14_3683:
	s_wait_xcnt 0x0
	s_or_b32 exec_lo, exec_lo, s0
                                        ; implicit-def: $vgpr8_vgpr9
                                        ; implicit-def: $vgpr38
.LBB14_3684:
	s_and_not1_saveexec_b32 s12, s12
	s_cbranch_execz .LBB14_3692
; %bb.3685:
	v_and_b32_e32 v10, 0x7fffffff, v38
	v_mov_b32_e32 v13, 0x80
	s_mov_b32 s13, exec_lo
	s_delay_alu instid0(VALU_DEP_2)
	v_cmpx_gt_u32_e32 0x43800000, v10
	s_cbranch_execz .LBB14_3691
; %bb.3686:
	v_cmp_lt_u32_e64 s0, 0x3bffffff, v10
	s_mov_b32 s14, 0
                                        ; implicit-def: $vgpr10
	s_and_saveexec_b32 s15, s0
	s_delay_alu instid0(SALU_CYCLE_1)
	s_xor_b32 s0, exec_lo, s15
	s_cbranch_execnz .LBB14_7815
; %bb.3687:
	s_and_not1_saveexec_b32 s15, s0
	s_cbranch_execnz .LBB14_7816
.LBB14_3688:
	s_or_b32 exec_lo, exec_lo, s15
	v_mov_b32_e32 v13, 0
	s_and_saveexec_b32 s0, s14
.LBB14_3689:
	v_lshrrev_b32_e32 v13, 24, v38
	s_delay_alu instid0(VALU_DEP_1)
	v_and_or_b32 v13, 0x80, v13, v10
.LBB14_3690:
	s_or_b32 exec_lo, exec_lo, s0
.LBB14_3691:
	s_delay_alu instid0(SALU_CYCLE_1)
	s_or_b32 exec_lo, exec_lo, s13
	flat_store_b8 v[8:9], v13
.LBB14_3692:
	s_wait_xcnt 0x0
	s_or_b32 exec_lo, exec_lo, s12
	s_delay_alu instid0(SALU_CYCLE_1)
	s_and_not1_b32 s0, s11, exec_lo
	s_and_b32 s11, vcc_lo, exec_lo
	s_or_b32 s1, s1, exec_lo
	s_or_b32 s11, s0, s11
.LBB14_3693:
	s_or_b32 exec_lo, exec_lo, s8
	s_delay_alu instid0(SALU_CYCLE_1)
	s_and_b32 s8, s11, exec_lo
	s_and_b32 s9, s9, exec_lo
	s_and_b32 s1, s1, exec_lo
                                        ; implicit-def: $vgpr10
                                        ; implicit-def: $vgpr38
                                        ; implicit-def: $vgpr8_vgpr9
.LBB14_3694:
	s_and_not1_saveexec_b32 s10, s10
	s_cbranch_execz .LBB14_3738
; %bb.3695:
	s_mov_b32 s12, s1
	s_mov_b32 s13, s8
	s_mov_b32 s11, exec_lo
	v_cmpx_lt_i16_e32 22, v10
	s_xor_b32 s11, exec_lo, s11
	s_cbranch_execz .LBB14_3727
; %bb.3696:
	s_mov_b32 s12, exec_lo
	v_cmpx_lt_i16_e32 23, v10
	s_xor_b32 s12, exec_lo, s12
	s_cbranch_execz .LBB14_3716
; %bb.3697:
	;; [unrolled: 5-line block ×3, first 2 shown]
	v_and_b32_e32 v10, 0x7fffffff, v38
	v_mov_b32_e32 v13, 0x80
	s_mov_b32 s14, exec_lo
	s_delay_alu instid0(VALU_DEP_2)
	v_cmpx_gt_u32_e32 0x47800000, v10
	s_cbranch_execz .LBB14_3704
; %bb.3699:
	v_cmp_lt_u32_e64 s0, 0x37ffffff, v10
	s_mov_b32 s15, 0
                                        ; implicit-def: $vgpr10
	s_and_saveexec_b32 s16, s0
	s_delay_alu instid0(SALU_CYCLE_1)
	s_xor_b32 s0, exec_lo, s16
	s_cbranch_execnz .LBB14_7817
; %bb.3700:
	s_and_not1_saveexec_b32 s16, s0
	s_cbranch_execnz .LBB14_7818
.LBB14_3701:
	s_or_b32 exec_lo, exec_lo, s16
	v_mov_b32_e32 v13, 0
	s_and_saveexec_b32 s0, s15
.LBB14_3702:
	v_lshrrev_b32_e32 v13, 24, v38
	s_delay_alu instid0(VALU_DEP_1)
	v_and_or_b32 v13, 0x80, v13, v10
.LBB14_3703:
	s_or_b32 exec_lo, exec_lo, s0
.LBB14_3704:
	s_delay_alu instid0(SALU_CYCLE_1)
	s_or_b32 exec_lo, exec_lo, s14
	flat_store_b8 v[8:9], v13
                                        ; implicit-def: $vgpr38
                                        ; implicit-def: $vgpr8_vgpr9
.LBB14_3705:
	s_wait_xcnt 0x0
	s_and_not1_saveexec_b32 s13, s13
	s_cbranch_execz .LBB14_3715
; %bb.3706:
	v_and_b32_e32 v13, 0x7fffffff, v38
	s_mov_b32 s14, exec_lo
                                        ; implicit-def: $vgpr10
	s_delay_alu instid0(VALU_DEP_1)
	v_cmpx_gt_u32_e32 0x43f00000, v13
	s_xor_b32 s14, exec_lo, s14
	s_cbranch_execz .LBB14_3712
; %bb.3707:
	s_mov_b32 s15, exec_lo
                                        ; implicit-def: $vgpr10
	v_cmpx_lt_u32_e32 0x3c7fffff, v13
	s_xor_b32 s15, exec_lo, s15
; %bb.3708:
	v_bfe_u32 v10, v38, 20, 1
	s_delay_alu instid0(VALU_DEP_1) | instskip(NEXT) | instid1(VALU_DEP_1)
	v_add3_u32 v10, v38, v10, 0x407ffff
	v_and_b32_e32 v13, 0xff00000, v10
	v_lshrrev_b32_e32 v10, 20, v10
	s_delay_alu instid0(VALU_DEP_2) | instskip(NEXT) | instid1(VALU_DEP_1)
	v_cmp_ne_u32_e64 s0, 0x7f00000, v13
	v_cndmask_b32_e64 v10, 0x7e, v10, s0
; %bb.3709:
	s_and_not1_saveexec_b32 s0, s15
; %bb.3710:
	v_add_f32_e64 v10, 0x46800000, |v38|
; %bb.3711:
	s_or_b32 exec_lo, exec_lo, s0
                                        ; implicit-def: $vgpr13
.LBB14_3712:
	s_and_not1_saveexec_b32 s14, s14
; %bb.3713:
	v_mov_b32_e32 v10, 0x7f
	v_cmp_lt_u32_e64 s0, 0x7f800000, v13
	s_delay_alu instid0(VALU_DEP_1)
	v_cndmask_b32_e64 v10, 0x7e, v10, s0
; %bb.3714:
	s_or_b32 exec_lo, exec_lo, s14
	v_lshrrev_b32_e32 v13, 24, v38
	s_delay_alu instid0(VALU_DEP_1)
	v_and_or_b32 v10, 0x80, v13, v10
	flat_store_b8 v[8:9], v10
.LBB14_3715:
	s_wait_xcnt 0x0
	s_or_b32 exec_lo, exec_lo, s13
                                        ; implicit-def: $vgpr38
                                        ; implicit-def: $vgpr8_vgpr9
.LBB14_3716:
	s_and_not1_saveexec_b32 s12, s12
	s_cbranch_execz .LBB14_3726
; %bb.3717:
	v_and_b32_e32 v13, 0x7fffffff, v38
	s_mov_b32 s13, exec_lo
                                        ; implicit-def: $vgpr10
	s_delay_alu instid0(VALU_DEP_1)
	v_cmpx_gt_u32_e32 0x47800000, v13
	s_xor_b32 s13, exec_lo, s13
	s_cbranch_execz .LBB14_3723
; %bb.3718:
	v_cmp_lt_u32_e64 s0, 0x387fffff, v13
                                        ; implicit-def: $vgpr10
	s_and_saveexec_b32 s14, s0
	s_delay_alu instid0(SALU_CYCLE_1)
	s_xor_b32 s0, exec_lo, s14
; %bb.3719:
	v_bfe_u32 v10, v38, 21, 1
	s_delay_alu instid0(VALU_DEP_1) | instskip(NEXT) | instid1(VALU_DEP_1)
	v_add3_u32 v10, v38, v10, 0x80fffff
	v_lshrrev_b32_e32 v10, 21, v10
; %bb.3720:
	s_and_not1_saveexec_b32 s0, s0
; %bb.3721:
	v_add_f32_e64 v10, 0x43000000, |v38|
; %bb.3722:
	s_or_b32 exec_lo, exec_lo, s0
                                        ; implicit-def: $vgpr13
.LBB14_3723:
	s_and_not1_saveexec_b32 s13, s13
; %bb.3724:
	v_mov_b32_e32 v10, 0x7f
	v_cmp_lt_u32_e64 s0, 0x7f800000, v13
	s_delay_alu instid0(VALU_DEP_1)
	v_cndmask_b32_e64 v10, 0x7c, v10, s0
; %bb.3725:
	s_or_b32 exec_lo, exec_lo, s13
	v_lshrrev_b32_e32 v13, 24, v38
	s_delay_alu instid0(VALU_DEP_1)
	v_and_or_b32 v10, 0x80, v13, v10
	flat_store_b8 v[8:9], v10
.LBB14_3726:
	s_wait_xcnt 0x0
	s_or_b32 exec_lo, exec_lo, s12
	s_delay_alu instid0(SALU_CYCLE_1) | instskip(SKIP_1) | instid1(SALU_CYCLE_1)
	s_and_not1_b32 s0, s8, exec_lo
	s_and_b32 s12, vcc_lo, exec_lo
                                        ; implicit-def: $vgpr10
                                        ; implicit-def: $vgpr38
                                        ; implicit-def: $vgpr8_vgpr9
	s_or_b32 s13, s0, s12
	s_or_b32 s12, s1, exec_lo
.LBB14_3727:
	s_or_saveexec_b32 s11, s11
	s_mov_b32 s0, s9
	s_xor_b32 exec_lo, exec_lo, s11
	s_cbranch_execz .LBB14_3737
; %bb.3728:
	s_mov_b32 s15, s12
	s_mov_b32 s16, s9
	;; [unrolled: 1-line block ×3, first 2 shown]
	s_mov_b32 s17, exec_lo
	v_cmpx_lt_i16_e32 14, v10
	s_xor_b32 s17, exec_lo, s17
	s_cbranch_execz .LBB14_3732
; %bb.3729:
	s_mov_b32 s16, -1
	s_mov_b32 s15, s12
	s_mov_b32 s18, s13
	s_mov_b32 s14, exec_lo
	v_cmpx_eq_u16_e32 15, v10
	s_cbranch_execz .LBB14_3731
; %bb.3730:
	v_bfe_u32 v10, v38, 16, 1
	v_cmp_o_f32_e64 s0, v38, v38
	s_and_not1_b32 s15, s13, exec_lo
	s_xor_b32 s16, exec_lo, -1
	v_add3_u32 v10, v38, v10, 0x7fff
	s_delay_alu instid0(VALU_DEP_1) | instskip(NEXT) | instid1(VALU_DEP_1)
	v_lshrrev_b32_e32 v10, 16, v10
	v_cndmask_b32_e64 v10, 0x7fc0, v10, s0
	s_and_b32 s0, vcc_lo, exec_lo
	s_delay_alu instid0(SALU_CYCLE_1)
	s_or_b32 s18, s15, s0
	s_or_b32 s15, s12, exec_lo
	flat_store_b16 v[8:9], v10
.LBB14_3731:
	s_wait_xcnt 0x0
	s_or_b32 exec_lo, exec_lo, s14
	s_delay_alu instid0(SALU_CYCLE_1)
	s_and_not1_b32 s0, s13, exec_lo
	s_and_b32 s14, s18, exec_lo
	s_and_b32 s16, s16, exec_lo
	s_or_b32 s14, s0, s14
	s_and_not1_b32 s0, s9, exec_lo
	s_and_not1_b32 s18, s12, exec_lo
	s_and_b32 s15, s15, exec_lo
	s_or_b32 s16, s0, s16
	s_or_b32 s15, s18, s15
                                        ; implicit-def: $vgpr10
                                        ; implicit-def: $vgpr38
                                        ; implicit-def: $vgpr8_vgpr9
.LBB14_3732:
	s_and_not1_saveexec_b32 s17, s17
	s_cbranch_execz .LBB14_3736
; %bb.3733:
	s_mov_b32 s19, -1
	s_mov_b32 s18, s15
	s_mov_b32 s21, s14
	s_mov_b32 s20, exec_lo
	v_cmpx_eq_u16_e32 11, v10
	s_cbranch_execz .LBB14_3735
; %bb.3734:
	v_cmp_neq_f32_e64 s0, 0, v38
	s_and_b32 s18, vcc_lo, exec_lo
	s_xor_b32 s19, exec_lo, -1
	v_cndmask_b32_e64 v10, 0, 1, s0
	s_and_not1_b32 s0, s14, exec_lo
	s_delay_alu instid0(SALU_CYCLE_1)
	s_or_b32 s21, s0, s18
	s_or_b32 s18, s15, exec_lo
	flat_store_b8 v[8:9], v10
.LBB14_3735:
	s_wait_xcnt 0x0
	s_or_b32 exec_lo, exec_lo, s20
	s_delay_alu instid0(SALU_CYCLE_1)
	s_and_not1_b32 s0, s14, exec_lo
	s_and_b32 s14, s21, exec_lo
	s_and_not1_b32 s15, s15, exec_lo
	s_or_b32 s14, s0, s14
	s_and_not1_b32 s0, s16, exec_lo
	s_and_b32 s16, s19, exec_lo
	s_and_b32 s18, s18, exec_lo
	s_or_b32 s16, s0, s16
	s_or_b32 s15, s15, s18
.LBB14_3736:
	s_or_b32 exec_lo, exec_lo, s17
	s_delay_alu instid0(SALU_CYCLE_1)
	s_and_not1_b32 s0, s13, exec_lo
	s_and_b32 s13, s14, exec_lo
	s_and_b32 s14, s16, exec_lo
	s_or_b32 s13, s0, s13
	s_and_not1_b32 s0, s9, exec_lo
	s_and_not1_b32 s12, s12, exec_lo
	s_and_b32 s15, s15, exec_lo
	s_or_b32 s0, s0, s14
	s_or_b32 s12, s12, s15
.LBB14_3737:
	s_or_b32 exec_lo, exec_lo, s11
	s_delay_alu instid0(SALU_CYCLE_1)
	s_and_not1_b32 s8, s8, exec_lo
	s_and_b32 s11, s13, exec_lo
	s_and_not1_b32 s9, s9, exec_lo
	s_or_b32 s8, s8, s11
	s_and_b32 s0, s0, exec_lo
	s_and_not1_b32 s1, s1, exec_lo
	s_and_b32 s11, s12, exec_lo
	s_or_b32 s9, s9, s0
	s_or_b32 s1, s1, s11
.LBB14_3738:
	s_or_b32 exec_lo, exec_lo, s10
	s_delay_alu instid0(SALU_CYCLE_1)
	s_and_b32 s10, s8, exec_lo
	s_and_b32 s9, s9, exec_lo
	;; [unrolled: 1-line block ×3, first 2 shown]
                                        ; implicit-def: $vgpr10
                                        ; implicit-def: $vgpr38
                                        ; implicit-def: $vgpr8_vgpr9
.LBB14_3739:
	s_and_not1_saveexec_b32 s1, s7
	s_cbranch_execz .LBB14_3781
; %bb.3740:
	s_mov_b32 s7, exec_lo
	v_cmpx_lt_i16_e32 4, v10
	s_xor_b32 s7, exec_lo, s7
	s_cbranch_execz .LBB14_3762
; %bb.3741:
	s_mov_b32 s11, exec_lo
	v_cmpx_lt_i16_e32 7, v10
	s_xor_b32 s11, exec_lo, s11
	;; [unrolled: 5-line block ×3, first 2 shown]
	s_cbranch_execz .LBB14_3748
; %bb.3743:
	v_cmp_lt_i16_e64 s0, 9, v10
	s_and_saveexec_b32 s13, s0
	s_delay_alu instid0(SALU_CYCLE_1)
	s_xor_b32 s0, exec_lo, s13
	s_cbranch_execz .LBB14_3745
; %bb.3744:
	v_cvt_f64_f32_e32 v[116:117], v38
	v_mov_b32_e32 v118, 0
                                        ; implicit-def: $vgpr38
	s_delay_alu instid0(VALU_DEP_1)
	v_mov_b32_e32 v119, v118
	flat_store_b128 v[8:9], v[116:119]
                                        ; implicit-def: $vgpr8_vgpr9
.LBB14_3745:
	s_wait_xcnt 0x0
	s_and_not1_saveexec_b32 s0, s0
	s_cbranch_execz .LBB14_3747
; %bb.3746:
	v_mov_b32_e32 v39, 0
	flat_store_b64 v[8:9], v[38:39]
.LBB14_3747:
	s_wait_xcnt 0x0
	s_or_b32 exec_lo, exec_lo, s0
                                        ; implicit-def: $vgpr38
                                        ; implicit-def: $vgpr8_vgpr9
.LBB14_3748:
	s_and_not1_saveexec_b32 s0, s12
	s_cbranch_execz .LBB14_3750
; %bb.3749:
	v_cvt_f16_f32_e32 v10, v38
	s_delay_alu instid0(VALU_DEP_1)
	v_and_b32_e32 v10, 0xffff, v10
	flat_store_b32 v[8:9], v10
.LBB14_3750:
	s_wait_xcnt 0x0
	s_or_b32 exec_lo, exec_lo, s0
                                        ; implicit-def: $vgpr38
                                        ; implicit-def: $vgpr8_vgpr9
                                        ; implicit-def: $vgpr10
.LBB14_3751:
	s_and_not1_saveexec_b32 s11, s11
	s_cbranch_execz .LBB14_3761
; %bb.3752:
	s_mov_b32 s12, exec_lo
	v_cmpx_lt_i16_e32 5, v10
	s_xor_b32 s12, exec_lo, s12
	s_cbranch_execz .LBB14_3758
; %bb.3753:
	v_cmp_lt_i16_e64 s0, 6, v10
	s_and_saveexec_b32 s13, s0
	s_delay_alu instid0(SALU_CYCLE_1)
	s_xor_b32 s0, exec_lo, s13
	s_cbranch_execz .LBB14_3755
; %bb.3754:
	v_cvt_f64_f32_e32 v[38:39], v38
	flat_store_b64 v[8:9], v[38:39]
                                        ; implicit-def: $vgpr8_vgpr9
                                        ; implicit-def: $vgpr38
.LBB14_3755:
	s_wait_xcnt 0x0
	s_and_not1_saveexec_b32 s0, s0
	s_cbranch_execz .LBB14_3757
; %bb.3756:
	flat_store_b32 v[8:9], v38
.LBB14_3757:
	s_wait_xcnt 0x0
	s_or_b32 exec_lo, exec_lo, s0
                                        ; implicit-def: $vgpr38
                                        ; implicit-def: $vgpr8_vgpr9
.LBB14_3758:
	s_and_not1_saveexec_b32 s0, s12
	s_cbranch_execz .LBB14_3760
; %bb.3759:
	v_cvt_f16_f32_e32 v10, v38
	flat_store_b16 v[8:9], v10
.LBB14_3760:
	s_wait_xcnt 0x0
	s_or_b32 exec_lo, exec_lo, s0
.LBB14_3761:
	s_delay_alu instid0(SALU_CYCLE_1)
	s_or_b32 exec_lo, exec_lo, s11
                                        ; implicit-def: $vgpr10
                                        ; implicit-def: $vgpr38
                                        ; implicit-def: $vgpr8_vgpr9
.LBB14_3762:
	s_and_not1_saveexec_b32 s7, s7
	s_cbranch_execz .LBB14_3780
; %bb.3763:
	s_mov_b32 s11, exec_lo
	v_cmpx_lt_i16_e32 1, v10
	s_xor_b32 s11, exec_lo, s11
	s_cbranch_execz .LBB14_3773
; %bb.3764:
	s_mov_b32 s12, exec_lo
	v_cmpx_lt_i16_e32 2, v10
	s_xor_b32 s12, exec_lo, s12
	s_cbranch_execz .LBB14_3770
; %bb.3765:
	v_cmp_lt_i16_e64 s0, 3, v10
	s_and_saveexec_b32 s13, s0
	s_delay_alu instid0(SALU_CYCLE_1)
	s_xor_b32 s0, exec_lo, s13
	s_cbranch_execz .LBB14_3767
; %bb.3766:
	v_trunc_f32_e32 v10, v38
	s_delay_alu instid0(VALU_DEP_1) | instskip(SKIP_1) | instid1(VALU_DEP_2)
	v_mul_f32_e64 v13, 0x2f800000, |v10|
	v_ashrrev_i32_e32 v38, 31, v10
	v_floor_f32_e32 v13, v13
	s_delay_alu instid0(VALU_DEP_1) | instskip(SKIP_1) | instid1(VALU_DEP_2)
	v_fma_f32 v39, 0xcf800000, v13, |v10|
	v_cvt_u32_f32_e32 v10, v13
	v_cvt_u32_f32_e32 v13, v39
	v_mov_b32_e32 v39, v38
	s_delay_alu instid0(VALU_DEP_3) | instskip(NEXT) | instid1(VALU_DEP_3)
	v_xor_b32_e32 v113, v10, v38
	v_xor_b32_e32 v112, v13, v38
	s_delay_alu instid0(VALU_DEP_1)
	v_sub_nc_u64_e32 v[38:39], v[112:113], v[38:39]
	flat_store_b64 v[8:9], v[38:39]
                                        ; implicit-def: $vgpr38
                                        ; implicit-def: $vgpr8_vgpr9
.LBB14_3767:
	s_wait_xcnt 0x0
	s_and_not1_saveexec_b32 s0, s0
	s_cbranch_execz .LBB14_3769
; %bb.3768:
	v_cvt_i32_f32_e32 v10, v38
	flat_store_b32 v[8:9], v10
.LBB14_3769:
	s_wait_xcnt 0x0
	s_or_b32 exec_lo, exec_lo, s0
                                        ; implicit-def: $vgpr38
                                        ; implicit-def: $vgpr8_vgpr9
.LBB14_3770:
	s_and_not1_saveexec_b32 s0, s12
	s_cbranch_execz .LBB14_3772
; %bb.3771:
	v_cvt_i32_f32_e32 v10, v38
	flat_store_b16 v[8:9], v10
.LBB14_3772:
	s_wait_xcnt 0x0
	s_or_b32 exec_lo, exec_lo, s0
                                        ; implicit-def: $vgpr38
                                        ; implicit-def: $vgpr8_vgpr9
                                        ; implicit-def: $vgpr10
.LBB14_3773:
	s_and_not1_saveexec_b32 s11, s11
	s_cbranch_execz .LBB14_3779
; %bb.3774:
	v_cmp_lt_i16_e64 s0, 0, v10
	s_and_saveexec_b32 s12, s0
	s_delay_alu instid0(SALU_CYCLE_1)
	s_xor_b32 s0, exec_lo, s12
	s_cbranch_execz .LBB14_3776
; %bb.3775:
	v_cvt_i32_f32_e32 v10, v38
                                        ; implicit-def: $vgpr38
	flat_store_b8 v[8:9], v10
                                        ; implicit-def: $vgpr8_vgpr9
.LBB14_3776:
	s_wait_xcnt 0x0
	s_and_not1_saveexec_b32 s0, s0
	s_cbranch_execz .LBB14_3778
; %bb.3777:
	v_trunc_f32_e32 v10, v38
	s_delay_alu instid0(VALU_DEP_1) | instskip(NEXT) | instid1(VALU_DEP_1)
	v_mul_f32_e64 v13, 0x2f800000, |v10|
	v_floor_f32_e32 v13, v13
	s_delay_alu instid0(VALU_DEP_1) | instskip(SKIP_1) | instid1(VALU_DEP_2)
	v_fma_f32 v13, 0xcf800000, v13, |v10|
	v_ashrrev_i32_e32 v10, 31, v10
	v_cvt_u32_f32_e32 v13, v13
	s_delay_alu instid0(VALU_DEP_1) | instskip(NEXT) | instid1(VALU_DEP_1)
	v_xor_b32_e32 v13, v13, v10
	v_sub_nc_u32_e32 v10, v13, v10
	flat_store_b8 v[8:9], v10
.LBB14_3778:
	s_wait_xcnt 0x0
	s_or_b32 exec_lo, exec_lo, s0
.LBB14_3779:
	s_delay_alu instid0(SALU_CYCLE_1)
	s_or_b32 exec_lo, exec_lo, s11
.LBB14_3780:
	s_delay_alu instid0(SALU_CYCLE_1) | instskip(NEXT) | instid1(SALU_CYCLE_1)
	s_or_b32 exec_lo, exec_lo, s7
	s_and_not1_b32 s0, s10, exec_lo
	s_and_b32 s7, vcc_lo, exec_lo
	s_or_b32 s8, s8, exec_lo
	s_or_b32 s10, s0, s7
.LBB14_3781:
	s_or_b32 exec_lo, exec_lo, s1
	v_mov_b32_e32 v13, v7
	s_and_b32 s10, s10, exec_lo
	s_and_b32 s1, s9, exec_lo
	s_or_not1_b32 s8, s8, exec_lo
.LBB14_3782:
	s_or_b32 exec_lo, exec_lo, s5
	s_mov_b32 s7, 0
	s_mov_b32 s0, 0
                                        ; implicit-def: $vgpr8
                                        ; implicit-def: $vgpr7
                                        ; implicit-def: $vgpr38_vgpr39
	s_and_saveexec_b32 s5, s8
	s_cbranch_execz .LBB14_7764
; %bb.3783:
	s_mov_b32 s12, -1
	s_mov_b32 s8, 0
	s_mov_b32 s6, s1
	s_and_saveexec_b32 s7, s10
	s_cbranch_execz .LBB14_3911
; %bb.3784:
	v_dual_add_nc_u32 v7, s2, v13 :: v_dual_mov_b32 v9, 0
	s_wait_loadcnt 0xf
	v_mul_f32_e32 v10, v114, v115
	v_cmp_lt_f32_e32 vcc_lo, 0, v115
	s_mov_b32 s9, s1
	v_mul_lo_u32 v8, v7, v12
	v_and_b32_e32 v7, 0xff, v11
	s_mov_b32 s6, exec_lo
	v_cndmask_b32_e32 v38, v10, v115, vcc_lo
	s_delay_alu instid0(VALU_DEP_3) | instskip(NEXT) | instid1(VALU_DEP_3)
	v_add_nc_u64_e32 v[8:9], v[0:1], v[8:9]
	v_cmpx_lt_i16_e32 10, v7
	s_xor_b32 s6, exec_lo, s6
	s_cbranch_execz .LBB14_3866
; %bb.3785:
	s_mov_b32 s9, s1
	s_mov_b32 s10, exec_lo
	v_cmpx_lt_i16_e32 25, v7
	s_xor_b32 s10, exec_lo, s10
	s_cbranch_execz .LBB14_3821
; %bb.3786:
	s_mov_b32 s11, s1
	s_mov_b32 s9, exec_lo
	;; [unrolled: 6-line block ×3, first 2 shown]
	v_cmpx_lt_i16_e32 43, v7
	s_xor_b32 s11, exec_lo, s11
	s_cbranch_execz .LBB14_3799
; %bb.3788:
	s_mov_b32 s12, 0
	s_mov_b32 s13, s1
	s_mov_b32 s0, exec_lo
	v_cmpx_lt_i16_e32 45, v7
	s_xor_b32 s0, exec_lo, s0
	s_cbranch_execz .LBB14_3792
; %bb.3789:
	s_mov_b32 s14, -1
	s_mov_b32 s13, exec_lo
	v_cmpx_eq_u16_e32 46, v7
	s_cbranch_execz .LBB14_3791
; %bb.3790:
	v_bfe_u32 v7, v38, 16, 1
	v_cmp_o_f32_e32 vcc_lo, v38, v38
	s_mov_b32 s12, exec_lo
	s_xor_b32 s14, exec_lo, -1
	s_delay_alu instid0(VALU_DEP_2) | instskip(NEXT) | instid1(VALU_DEP_1)
	v_add3_u32 v7, v38, v7, 0x7fff
	v_lshrrev_b32_e32 v7, 16, v7
	s_delay_alu instid0(VALU_DEP_1)
	v_cndmask_b32_e32 v7, 0x7fc0, v7, vcc_lo
	flat_store_b32 v[8:9], v7
.LBB14_3791:
	s_wait_xcnt 0x0
	s_or_b32 exec_lo, exec_lo, s13
	s_delay_alu instid0(SALU_CYCLE_1)
	s_and_not1_b32 s13, s1, exec_lo
	s_and_b32 s14, s14, exec_lo
	s_and_b32 s12, s12, exec_lo
	s_or_b32 s13, s13, s14
                                        ; implicit-def: $vgpr7
                                        ; implicit-def: $vgpr8_vgpr9
                                        ; implicit-def: $vgpr38
.LBB14_3792:
	s_and_not1_saveexec_b32 s14, s0
	s_cbranch_execz .LBB14_3798
; %bb.3793:
	s_mov_b32 s16, -1
	s_mov_b32 s0, s12
	s_mov_b32 s15, exec_lo
	v_cmpx_eq_u16_e32 44, v7
	s_cbranch_execz .LBB14_3797
; %bb.3794:
	v_bfe_u32 v10, v38, 23, 8
	v_mov_b32_e32 v7, 0xff
	s_mov_b32 s16, exec_lo
	s_delay_alu instid0(VALU_DEP_2)
	v_cmpx_ne_u32_e32 0xff, v10
	s_cbranch_execz .LBB14_3796
; %bb.3795:
	v_and_b32_e32 v7, 0x400000, v38
	v_and_or_b32 v10, 0x3fffff, v38, v10
	s_delay_alu instid0(VALU_DEP_2) | instskip(NEXT) | instid1(VALU_DEP_2)
	v_cmp_ne_u32_e32 vcc_lo, 0, v7
	v_cmp_ne_u32_e64 s0, 0, v10
	v_lshrrev_b32_e32 v7, 23, v38
	s_and_b32 s0, vcc_lo, s0
	s_delay_alu instid0(SALU_CYCLE_1) | instskip(NEXT) | instid1(VALU_DEP_1)
	v_cndmask_b32_e64 v10, 0, 1, s0
	v_add_nc_u32_e32 v7, v7, v10
.LBB14_3796:
	s_or_b32 exec_lo, exec_lo, s16
	s_delay_alu instid0(SALU_CYCLE_1)
	s_xor_b32 s16, exec_lo, -1
	s_or_b32 s0, s12, exec_lo
	flat_store_b8 v[8:9], v7
.LBB14_3797:
	s_wait_xcnt 0x0
	s_or_b32 exec_lo, exec_lo, s15
	s_delay_alu instid0(SALU_CYCLE_1)
	s_and_not1_b32 s13, s13, exec_lo
	s_and_b32 s15, s16, exec_lo
	s_and_not1_b32 s12, s12, exec_lo
	s_and_b32 s0, s0, exec_lo
	s_or_b32 s13, s13, s15
	s_or_b32 s12, s12, s0
.LBB14_3798:
	s_or_b32 exec_lo, exec_lo, s14
	s_delay_alu instid0(SALU_CYCLE_1) | instskip(SKIP_1) | instid1(SALU_CYCLE_1)
	s_and_not1_b32 s0, s1, exec_lo
	s_and_b32 s13, s13, exec_lo
                                        ; implicit-def: $vgpr7
                                        ; implicit-def: $vgpr38
                                        ; implicit-def: $vgpr8_vgpr9
	s_or_b32 s13, s0, s13
	s_and_b32 s0, s12, exec_lo
.LBB14_3799:
	s_and_not1_saveexec_b32 s11, s11
	s_cbranch_execz .LBB14_3803
; %bb.3800:
	s_mov_b32 s15, -1
	s_mov_b32 s14, s0
	s_mov_b32 s12, exec_lo
	v_cmpx_eq_u16_e32 29, v7
	s_cbranch_execz .LBB14_3802
; %bb.3801:
	v_trunc_f32_e32 v7, v38
	s_xor_b32 s15, exec_lo, -1
	s_or_b32 s14, s0, exec_lo
	s_delay_alu instid0(VALU_DEP_1) | instskip(NEXT) | instid1(VALU_DEP_1)
	v_mul_f32_e32 v10, 0x2f800000, v7
	v_floor_f32_e32 v10, v10
	s_delay_alu instid0(VALU_DEP_1) | instskip(SKIP_1) | instid1(VALU_DEP_2)
	v_fmamk_f32 v7, v10, 0xcf800000, v7
	v_cvt_u32_f32_e32 v39, v10
	v_cvt_u32_f32_e32 v38, v7
	flat_store_b64 v[8:9], v[38:39]
.LBB14_3802:
	s_wait_xcnt 0x0
	s_or_b32 exec_lo, exec_lo, s12
	s_delay_alu instid0(SALU_CYCLE_1)
	s_and_not1_b32 s12, s13, exec_lo
	s_and_b32 s13, s15, exec_lo
	s_and_not1_b32 s0, s0, exec_lo
	s_and_b32 s14, s14, exec_lo
	s_or_b32 s13, s12, s13
	s_or_b32 s0, s0, s14
.LBB14_3803:
	s_or_b32 exec_lo, exec_lo, s11
	s_delay_alu instid0(SALU_CYCLE_1)
	s_and_not1_b32 s11, s1, exec_lo
	s_and_b32 s12, s13, exec_lo
	s_and_b32 s0, s0, exec_lo
	s_or_b32 s11, s11, s12
                                        ; implicit-def: $vgpr8_vgpr9
                                        ; implicit-def: $vgpr7
                                        ; implicit-def: $vgpr38
.LBB14_3804:
	s_and_not1_saveexec_b32 s9, s9
	s_cbranch_execz .LBB14_3820
; %bb.3805:
	s_mov_b32 s12, exec_lo
	v_cmpx_lt_i16_e32 26, v7
	s_xor_b32 s12, exec_lo, s12
	s_cbranch_execz .LBB14_3811
; %bb.3806:
	v_cmp_lt_i16_e32 vcc_lo, 27, v7
	v_cvt_u32_f32_e32 v7, v38
	s_and_saveexec_b32 s13, vcc_lo
	s_delay_alu instid0(SALU_CYCLE_1)
	s_xor_b32 s13, exec_lo, s13
	s_cbranch_execz .LBB14_3808
; %bb.3807:
	flat_store_b32 v[8:9], v7
                                        ; implicit-def: $vgpr8_vgpr9
                                        ; implicit-def: $vgpr7
.LBB14_3808:
	s_wait_xcnt 0x0
	s_and_not1_saveexec_b32 s13, s13
	s_cbranch_execz .LBB14_3810
; %bb.3809:
	flat_store_b16 v[8:9], v7
.LBB14_3810:
	s_wait_xcnt 0x0
	s_or_b32 exec_lo, exec_lo, s13
                                        ; implicit-def: $vgpr8_vgpr9
                                        ; implicit-def: $vgpr38
.LBB14_3811:
	s_and_not1_saveexec_b32 s12, s12
	s_cbranch_execz .LBB14_3819
; %bb.3812:
	v_and_b32_e32 v7, 0x7fffffff, v38
	v_mov_b32_e32 v10, 0x80
	s_mov_b32 s13, exec_lo
	s_delay_alu instid0(VALU_DEP_2)
	v_cmpx_gt_u32_e32 0x43800000, v7
	s_cbranch_execz .LBB14_3818
; %bb.3813:
	v_cmp_lt_u32_e32 vcc_lo, 0x3bffffff, v7
	s_mov_b32 s14, 0
                                        ; implicit-def: $vgpr7
	s_and_saveexec_b32 s15, vcc_lo
	s_delay_alu instid0(SALU_CYCLE_1)
	s_xor_b32 s15, exec_lo, s15
	s_cbranch_execnz .LBB14_7819
; %bb.3814:
	s_and_not1_saveexec_b32 s15, s15
	s_cbranch_execnz .LBB14_7820
.LBB14_3815:
	s_or_b32 exec_lo, exec_lo, s15
	v_mov_b32_e32 v10, 0
	s_and_saveexec_b32 s15, s14
.LBB14_3816:
	v_lshrrev_b32_e32 v10, 24, v38
	s_delay_alu instid0(VALU_DEP_1)
	v_and_or_b32 v10, 0x80, v10, v7
.LBB14_3817:
	s_or_b32 exec_lo, exec_lo, s15
.LBB14_3818:
	s_delay_alu instid0(SALU_CYCLE_1)
	s_or_b32 exec_lo, exec_lo, s13
	flat_store_b8 v[8:9], v10
.LBB14_3819:
	s_wait_xcnt 0x0
	s_or_b32 exec_lo, exec_lo, s12
	s_delay_alu instid0(SALU_CYCLE_1)
	s_or_b32 s0, s0, exec_lo
.LBB14_3820:
	s_or_b32 exec_lo, exec_lo, s9
	s_delay_alu instid0(SALU_CYCLE_1)
	s_and_not1_b32 s9, s1, exec_lo
	s_and_b32 s11, s11, exec_lo
	s_and_b32 s0, s0, exec_lo
	s_or_b32 s9, s9, s11
                                        ; implicit-def: $vgpr7
                                        ; implicit-def: $vgpr38
                                        ; implicit-def: $vgpr8_vgpr9
.LBB14_3821:
	s_and_not1_saveexec_b32 s10, s10
	s_cbranch_execz .LBB14_3865
; %bb.3822:
	s_mov_b32 s12, s0
	s_mov_b32 s11, exec_lo
	v_cmpx_lt_i16_e32 22, v7
	s_xor_b32 s11, exec_lo, s11
	s_cbranch_execz .LBB14_3854
; %bb.3823:
	s_mov_b32 s12, exec_lo
	v_cmpx_lt_i16_e32 23, v7
	s_xor_b32 s12, exec_lo, s12
	s_cbranch_execz .LBB14_3843
; %bb.3824:
	;; [unrolled: 5-line block ×3, first 2 shown]
	v_and_b32_e32 v7, 0x7fffffff, v38
	v_mov_b32_e32 v10, 0x80
	s_mov_b32 s14, exec_lo
	s_delay_alu instid0(VALU_DEP_2)
	v_cmpx_gt_u32_e32 0x47800000, v7
	s_cbranch_execz .LBB14_3831
; %bb.3826:
	v_cmp_lt_u32_e32 vcc_lo, 0x37ffffff, v7
	s_mov_b32 s15, 0
                                        ; implicit-def: $vgpr7
	s_and_saveexec_b32 s16, vcc_lo
	s_delay_alu instid0(SALU_CYCLE_1)
	s_xor_b32 s16, exec_lo, s16
	s_cbranch_execnz .LBB14_7821
; %bb.3827:
	s_and_not1_saveexec_b32 s16, s16
	s_cbranch_execnz .LBB14_7822
.LBB14_3828:
	s_or_b32 exec_lo, exec_lo, s16
	v_mov_b32_e32 v10, 0
	s_and_saveexec_b32 s16, s15
.LBB14_3829:
	v_lshrrev_b32_e32 v10, 24, v38
	s_delay_alu instid0(VALU_DEP_1)
	v_and_or_b32 v10, 0x80, v10, v7
.LBB14_3830:
	s_or_b32 exec_lo, exec_lo, s16
.LBB14_3831:
	s_delay_alu instid0(SALU_CYCLE_1)
	s_or_b32 exec_lo, exec_lo, s14
	flat_store_b8 v[8:9], v10
                                        ; implicit-def: $vgpr38
                                        ; implicit-def: $vgpr8_vgpr9
.LBB14_3832:
	s_wait_xcnt 0x0
	s_and_not1_saveexec_b32 s13, s13
	s_cbranch_execz .LBB14_3842
; %bb.3833:
	v_and_b32_e32 v10, 0x7fffffff, v38
	s_mov_b32 s14, exec_lo
                                        ; implicit-def: $vgpr7
	s_delay_alu instid0(VALU_DEP_1)
	v_cmpx_gt_u32_e32 0x43f00000, v10
	s_xor_b32 s14, exec_lo, s14
	s_cbranch_execz .LBB14_3839
; %bb.3834:
	s_mov_b32 s15, exec_lo
                                        ; implicit-def: $vgpr7
	v_cmpx_lt_u32_e32 0x3c7fffff, v10
	s_xor_b32 s15, exec_lo, s15
; %bb.3835:
	v_bfe_u32 v7, v38, 20, 1
	s_delay_alu instid0(VALU_DEP_1) | instskip(NEXT) | instid1(VALU_DEP_1)
	v_add3_u32 v7, v38, v7, 0x407ffff
	v_and_b32_e32 v10, 0xff00000, v7
	v_lshrrev_b32_e32 v7, 20, v7
	s_delay_alu instid0(VALU_DEP_2) | instskip(NEXT) | instid1(VALU_DEP_2)
	v_cmp_ne_u32_e32 vcc_lo, 0x7f00000, v10
	v_cndmask_b32_e32 v7, 0x7e, v7, vcc_lo
; %bb.3836:
	s_and_not1_saveexec_b32 s15, s15
; %bb.3837:
	v_add_f32_e64 v7, 0x46800000, |v38|
; %bb.3838:
	s_or_b32 exec_lo, exec_lo, s15
                                        ; implicit-def: $vgpr10
.LBB14_3839:
	s_and_not1_saveexec_b32 s14, s14
; %bb.3840:
	v_mov_b32_e32 v7, 0x7f
	v_cmp_lt_u32_e32 vcc_lo, 0x7f800000, v10
	s_delay_alu instid0(VALU_DEP_2)
	v_cndmask_b32_e32 v7, 0x7e, v7, vcc_lo
; %bb.3841:
	s_or_b32 exec_lo, exec_lo, s14
	v_lshrrev_b32_e32 v10, 24, v38
	s_delay_alu instid0(VALU_DEP_1)
	v_and_or_b32 v7, 0x80, v10, v7
	flat_store_b8 v[8:9], v7
.LBB14_3842:
	s_wait_xcnt 0x0
	s_or_b32 exec_lo, exec_lo, s13
                                        ; implicit-def: $vgpr38
                                        ; implicit-def: $vgpr8_vgpr9
.LBB14_3843:
	s_and_not1_saveexec_b32 s12, s12
	s_cbranch_execz .LBB14_3853
; %bb.3844:
	v_and_b32_e32 v10, 0x7fffffff, v38
	s_mov_b32 s13, exec_lo
                                        ; implicit-def: $vgpr7
	s_delay_alu instid0(VALU_DEP_1)
	v_cmpx_gt_u32_e32 0x47800000, v10
	s_xor_b32 s13, exec_lo, s13
	s_cbranch_execz .LBB14_3850
; %bb.3845:
	s_mov_b32 s14, exec_lo
                                        ; implicit-def: $vgpr7
	v_cmpx_lt_u32_e32 0x387fffff, v10
	s_xor_b32 s14, exec_lo, s14
; %bb.3846:
	v_bfe_u32 v7, v38, 21, 1
	s_delay_alu instid0(VALU_DEP_1) | instskip(NEXT) | instid1(VALU_DEP_1)
	v_add3_u32 v7, v38, v7, 0x80fffff
	v_lshrrev_b32_e32 v7, 21, v7
; %bb.3847:
	s_and_not1_saveexec_b32 s14, s14
; %bb.3848:
	v_add_f32_e64 v7, 0x43000000, |v38|
; %bb.3849:
	s_or_b32 exec_lo, exec_lo, s14
                                        ; implicit-def: $vgpr10
.LBB14_3850:
	s_and_not1_saveexec_b32 s13, s13
; %bb.3851:
	v_mov_b32_e32 v7, 0x7f
	v_cmp_lt_u32_e32 vcc_lo, 0x7f800000, v10
	s_delay_alu instid0(VALU_DEP_2)
	v_cndmask_b32_e32 v7, 0x7c, v7, vcc_lo
; %bb.3852:
	s_or_b32 exec_lo, exec_lo, s13
	v_lshrrev_b32_e32 v10, 24, v38
	s_delay_alu instid0(VALU_DEP_1)
	v_and_or_b32 v7, 0x80, v10, v7
	flat_store_b8 v[8:9], v7
.LBB14_3853:
	s_wait_xcnt 0x0
	s_or_b32 exec_lo, exec_lo, s12
	s_delay_alu instid0(SALU_CYCLE_1)
	s_or_b32 s12, s0, exec_lo
                                        ; implicit-def: $vgpr7
                                        ; implicit-def: $vgpr38
                                        ; implicit-def: $vgpr8_vgpr9
.LBB14_3854:
	s_or_saveexec_b32 s11, s11
	s_mov_b32 s13, s9
	s_xor_b32 exec_lo, exec_lo, s11
	s_cbranch_execz .LBB14_3864
; %bb.3855:
	s_mov_b32 s13, s12
	s_mov_b32 s14, s9
	s_mov_b32 s15, exec_lo
	v_cmpx_lt_i16_e32 14, v7
	s_xor_b32 s15, exec_lo, s15
	s_cbranch_execz .LBB14_3859
; %bb.3856:
	s_mov_b32 s16, -1
	s_mov_b32 s13, s12
	s_mov_b32 s14, exec_lo
	v_cmpx_eq_u16_e32 15, v7
	s_cbranch_execz .LBB14_3858
; %bb.3857:
	v_bfe_u32 v7, v38, 16, 1
	v_cmp_o_f32_e32 vcc_lo, v38, v38
	s_xor_b32 s16, exec_lo, -1
	s_or_b32 s13, s12, exec_lo
	s_delay_alu instid0(VALU_DEP_2) | instskip(NEXT) | instid1(VALU_DEP_1)
	v_add3_u32 v7, v38, v7, 0x7fff
	v_lshrrev_b32_e32 v7, 16, v7
	s_delay_alu instid0(VALU_DEP_1)
	v_cndmask_b32_e32 v7, 0x7fc0, v7, vcc_lo
	flat_store_b16 v[8:9], v7
.LBB14_3858:
	s_wait_xcnt 0x0
	s_or_b32 exec_lo, exec_lo, s14
	s_delay_alu instid0(SALU_CYCLE_1)
	s_and_not1_b32 s14, s9, exec_lo
	s_and_b32 s16, s16, exec_lo
	s_and_not1_b32 s17, s12, exec_lo
	s_and_b32 s13, s13, exec_lo
	s_or_b32 s14, s14, s16
	s_or_b32 s13, s17, s13
                                        ; implicit-def: $vgpr7
                                        ; implicit-def: $vgpr38
                                        ; implicit-def: $vgpr8_vgpr9
.LBB14_3859:
	s_and_not1_saveexec_b32 s15, s15
	s_cbranch_execz .LBB14_3863
; %bb.3860:
	s_mov_b32 s17, -1
	s_mov_b32 s16, s13
	s_mov_b32 s18, exec_lo
	v_cmpx_eq_u16_e32 11, v7
	s_cbranch_execz .LBB14_3862
; %bb.3861:
	v_cmp_neq_f32_e32 vcc_lo, 0, v38
	s_xor_b32 s17, exec_lo, -1
	s_or_b32 s16, s13, exec_lo
	v_cndmask_b32_e64 v7, 0, 1, vcc_lo
	flat_store_b8 v[8:9], v7
.LBB14_3862:
	s_wait_xcnt 0x0
	s_or_b32 exec_lo, exec_lo, s18
	s_delay_alu instid0(SALU_CYCLE_1)
	s_and_not1_b32 s14, s14, exec_lo
	s_and_b32 s17, s17, exec_lo
	s_and_not1_b32 s13, s13, exec_lo
	s_and_b32 s16, s16, exec_lo
	s_or_b32 s14, s14, s17
	s_or_b32 s13, s13, s16
.LBB14_3863:
	s_or_b32 exec_lo, exec_lo, s15
	s_delay_alu instid0(SALU_CYCLE_1)
	s_and_not1_b32 s15, s9, exec_lo
	s_and_b32 s14, s14, exec_lo
	s_and_not1_b32 s12, s12, exec_lo
	s_and_b32 s16, s13, exec_lo
	s_or_b32 s13, s15, s14
	s_or_b32 s12, s12, s16
.LBB14_3864:
	s_or_b32 exec_lo, exec_lo, s11
	s_delay_alu instid0(SALU_CYCLE_1)
	s_and_not1_b32 s9, s9, exec_lo
	s_and_b32 s11, s13, exec_lo
	s_and_not1_b32 s0, s0, exec_lo
	s_and_b32 s12, s12, exec_lo
	s_or_b32 s9, s9, s11
	s_or_b32 s0, s0, s12
.LBB14_3865:
	s_or_b32 exec_lo, exec_lo, s10
	s_delay_alu instid0(SALU_CYCLE_1)
	s_and_not1_b32 s10, s1, exec_lo
	s_and_b32 s9, s9, exec_lo
	s_and_b32 s0, s0, exec_lo
	s_or_b32 s9, s10, s9
                                        ; implicit-def: $vgpr7
                                        ; implicit-def: $vgpr38
                                        ; implicit-def: $vgpr8_vgpr9
.LBB14_3866:
	s_and_not1_saveexec_b32 s6, s6
	s_cbranch_execz .LBB14_3908
; %bb.3867:
	s_mov_b32 s10, exec_lo
	v_cmpx_lt_i16_e32 4, v7
	s_xor_b32 s10, exec_lo, s10
	s_cbranch_execz .LBB14_3889
; %bb.3868:
	s_mov_b32 s11, exec_lo
	v_cmpx_lt_i16_e32 7, v7
	s_xor_b32 s11, exec_lo, s11
	;; [unrolled: 5-line block ×4, first 2 shown]
	s_cbranch_execz .LBB14_3872
; %bb.3871:
	v_cvt_f64_f32_e32 v[112:113], v38
	v_mov_b32_e32 v114, 0
                                        ; implicit-def: $vgpr38
	s_delay_alu instid0(VALU_DEP_1)
	v_mov_b32_e32 v115, v114
	flat_store_b128 v[8:9], v[112:115]
                                        ; implicit-def: $vgpr8_vgpr9
.LBB14_3872:
	s_wait_xcnt 0x0
	s_and_not1_saveexec_b32 s13, s13
	s_cbranch_execz .LBB14_3874
; %bb.3873:
	v_mov_b32_e32 v39, 0
	flat_store_b64 v[8:9], v[38:39]
.LBB14_3874:
	s_wait_xcnt 0x0
	s_or_b32 exec_lo, exec_lo, s13
                                        ; implicit-def: $vgpr38
                                        ; implicit-def: $vgpr8_vgpr9
.LBB14_3875:
	s_and_not1_saveexec_b32 s12, s12
	s_cbranch_execz .LBB14_3877
; %bb.3876:
	v_cvt_f16_f32_e32 v7, v38
	s_delay_alu instid0(VALU_DEP_1)
	v_and_b32_e32 v7, 0xffff, v7
	flat_store_b32 v[8:9], v7
.LBB14_3877:
	s_wait_xcnt 0x0
	s_or_b32 exec_lo, exec_lo, s12
                                        ; implicit-def: $vgpr38
                                        ; implicit-def: $vgpr8_vgpr9
                                        ; implicit-def: $vgpr7
.LBB14_3878:
	s_and_not1_saveexec_b32 s11, s11
	s_cbranch_execz .LBB14_3888
; %bb.3879:
	s_mov_b32 s12, exec_lo
	v_cmpx_lt_i16_e32 5, v7
	s_xor_b32 s12, exec_lo, s12
	s_cbranch_execz .LBB14_3885
; %bb.3880:
	s_mov_b32 s13, exec_lo
	v_cmpx_lt_i16_e32 6, v7
	s_xor_b32 s13, exec_lo, s13
	s_cbranch_execz .LBB14_3882
; %bb.3881:
	v_cvt_f64_f32_e32 v[38:39], v38
	flat_store_b64 v[8:9], v[38:39]
                                        ; implicit-def: $vgpr8_vgpr9
                                        ; implicit-def: $vgpr38
.LBB14_3882:
	s_wait_xcnt 0x0
	s_and_not1_saveexec_b32 s13, s13
	s_cbranch_execz .LBB14_3884
; %bb.3883:
	flat_store_b32 v[8:9], v38
.LBB14_3884:
	s_wait_xcnt 0x0
	s_or_b32 exec_lo, exec_lo, s13
                                        ; implicit-def: $vgpr38
                                        ; implicit-def: $vgpr8_vgpr9
.LBB14_3885:
	s_and_not1_saveexec_b32 s12, s12
	s_cbranch_execz .LBB14_3887
; %bb.3886:
	v_cvt_f16_f32_e32 v7, v38
	flat_store_b16 v[8:9], v7
.LBB14_3887:
	s_wait_xcnt 0x0
	s_or_b32 exec_lo, exec_lo, s12
.LBB14_3888:
	s_delay_alu instid0(SALU_CYCLE_1)
	s_or_b32 exec_lo, exec_lo, s11
                                        ; implicit-def: $vgpr7
                                        ; implicit-def: $vgpr38
                                        ; implicit-def: $vgpr8_vgpr9
.LBB14_3889:
	s_and_not1_saveexec_b32 s10, s10
	s_cbranch_execz .LBB14_3907
; %bb.3890:
	s_mov_b32 s11, exec_lo
	v_cmpx_lt_i16_e32 1, v7
	s_xor_b32 s11, exec_lo, s11
	s_cbranch_execz .LBB14_3900
; %bb.3891:
	s_mov_b32 s12, exec_lo
	v_cmpx_lt_i16_e32 2, v7
	s_xor_b32 s12, exec_lo, s12
	;; [unrolled: 5-line block ×3, first 2 shown]
	s_cbranch_execz .LBB14_3894
; %bb.3893:
	v_trunc_f32_e32 v7, v38
	s_delay_alu instid0(VALU_DEP_1) | instskip(SKIP_1) | instid1(VALU_DEP_2)
	v_mul_f32_e64 v10, 0x2f800000, |v7|
	v_ashrrev_i32_e32 v38, 31, v7
	v_floor_f32_e32 v10, v10
	s_delay_alu instid0(VALU_DEP_1) | instskip(SKIP_1) | instid1(VALU_DEP_2)
	v_fma_f32 v39, 0xcf800000, v10, |v7|
	v_cvt_u32_f32_e32 v7, v10
	v_cvt_u32_f32_e32 v10, v39
	s_delay_alu instid0(VALU_DEP_2) | instskip(NEXT) | instid1(VALU_DEP_2)
	v_dual_mov_b32 v39, v38 :: v_dual_bitop2_b32 v113, v7, v38 bitop3:0x14
	v_xor_b32_e32 v112, v10, v38
	s_delay_alu instid0(VALU_DEP_1)
	v_sub_nc_u64_e32 v[38:39], v[112:113], v[38:39]
	flat_store_b64 v[8:9], v[38:39]
                                        ; implicit-def: $vgpr38
                                        ; implicit-def: $vgpr8_vgpr9
.LBB14_3894:
	s_wait_xcnt 0x0
	s_and_not1_saveexec_b32 s13, s13
	s_cbranch_execz .LBB14_3896
; %bb.3895:
	v_cvt_i32_f32_e32 v7, v38
	flat_store_b32 v[8:9], v7
.LBB14_3896:
	s_wait_xcnt 0x0
	s_or_b32 exec_lo, exec_lo, s13
                                        ; implicit-def: $vgpr38
                                        ; implicit-def: $vgpr8_vgpr9
.LBB14_3897:
	s_and_not1_saveexec_b32 s12, s12
	s_cbranch_execz .LBB14_3899
; %bb.3898:
	v_cvt_i32_f32_e32 v7, v38
	flat_store_b16 v[8:9], v7
.LBB14_3899:
	s_wait_xcnt 0x0
	s_or_b32 exec_lo, exec_lo, s12
                                        ; implicit-def: $vgpr38
                                        ; implicit-def: $vgpr8_vgpr9
                                        ; implicit-def: $vgpr7
.LBB14_3900:
	s_and_not1_saveexec_b32 s11, s11
	s_cbranch_execz .LBB14_3906
; %bb.3901:
	s_mov_b32 s12, exec_lo
	v_cmpx_lt_i16_e32 0, v7
	s_xor_b32 s12, exec_lo, s12
	s_cbranch_execz .LBB14_3903
; %bb.3902:
	v_cvt_i32_f32_e32 v7, v38
                                        ; implicit-def: $vgpr38
	flat_store_b8 v[8:9], v7
                                        ; implicit-def: $vgpr8_vgpr9
.LBB14_3903:
	s_wait_xcnt 0x0
	s_and_not1_saveexec_b32 s12, s12
	s_cbranch_execz .LBB14_3905
; %bb.3904:
	v_trunc_f32_e32 v7, v38
	s_delay_alu instid0(VALU_DEP_1) | instskip(NEXT) | instid1(VALU_DEP_1)
	v_mul_f32_e64 v10, 0x2f800000, |v7|
	v_floor_f32_e32 v10, v10
	s_delay_alu instid0(VALU_DEP_1) | instskip(SKIP_1) | instid1(VALU_DEP_2)
	v_fma_f32 v10, 0xcf800000, v10, |v7|
	v_ashrrev_i32_e32 v7, 31, v7
	v_cvt_u32_f32_e32 v10, v10
	s_delay_alu instid0(VALU_DEP_1) | instskip(NEXT) | instid1(VALU_DEP_1)
	v_xor_b32_e32 v10, v10, v7
	v_sub_nc_u32_e32 v7, v10, v7
	flat_store_b8 v[8:9], v7
.LBB14_3905:
	s_wait_xcnt 0x0
	s_or_b32 exec_lo, exec_lo, s12
.LBB14_3906:
	s_delay_alu instid0(SALU_CYCLE_1)
	s_or_b32 exec_lo, exec_lo, s11
.LBB14_3907:
	s_delay_alu instid0(SALU_CYCLE_1) | instskip(NEXT) | instid1(SALU_CYCLE_1)
	s_or_b32 exec_lo, exec_lo, s10
	s_or_b32 s0, s0, exec_lo
.LBB14_3908:
	s_or_b32 exec_lo, exec_lo, s6
	s_mov_b32 s10, 0
	s_mov_b32 s6, 0
	s_and_saveexec_b32 s11, s0
; %bb.3909:
	v_add_nc_u32_e32 v13, 0x200, v13
	s_mov_b32 s10, exec_lo
	s_delay_alu instid0(VALU_DEP_1)
	v_cmp_lt_i32_e32 vcc_lo, v13, v6
	s_and_b32 s6, vcc_lo, exec_lo
; %bb.3910:
	s_or_b32 exec_lo, exec_lo, s11
	s_delay_alu instid0(SALU_CYCLE_1)
	s_and_not1_b32 s11, s1, exec_lo
	s_and_b32 s9, s9, exec_lo
	s_and_b32 s0, s6, exec_lo
	s_or_b32 s6, s11, s9
	s_or_not1_b32 s12, s10, exec_lo
.LBB14_3911:
	s_or_b32 exec_lo, exec_lo, s7
	s_mov_b32 s9, 0
	s_mov_b32 s11, 0
                                        ; implicit-def: $vgpr8
                                        ; implicit-def: $vgpr7
                                        ; implicit-def: $vgpr38_vgpr39
	s_and_saveexec_b32 s7, s12
	s_cbranch_execz .LBB14_7763
; %bb.3912:
	s_mov_b32 s12, -1
	s_mov_b32 s10, 0
	s_mov_b32 s8, s6
	;; [unrolled: 1-line block ×3, first 2 shown]
	s_and_saveexec_b32 s9, s0
	s_cbranch_execz .LBB14_4040
; %bb.3913:
	v_dual_add_nc_u32 v7, s2, v13 :: v_dual_mov_b32 v9, 0
	s_wait_loadcnt 0xe
	v_mul_f32_e32 v10, v100, v101
	v_cmp_lt_f32_e32 vcc_lo, 0, v101
	s_mov_b32 s0, 0
	v_mul_lo_u32 v8, v7, v12
	v_and_b32_e32 v7, 0xff, v11
	s_mov_b32 s11, s6
	v_cndmask_b32_e32 v38, v10, v101, vcc_lo
	s_mov_b32 s8, exec_lo
	s_delay_alu instid0(VALU_DEP_3)
	v_add_nc_u64_e32 v[8:9], v[0:1], v[8:9]
	v_cmpx_lt_i16_e32 10, v7
	s_xor_b32 s8, exec_lo, s8
	s_cbranch_execz .LBB14_3995
; %bb.3914:
	s_mov_b32 s11, s6
	s_mov_b32 s12, exec_lo
	v_cmpx_lt_i16_e32 25, v7
	s_xor_b32 s12, exec_lo, s12
	s_cbranch_execz .LBB14_3950
; %bb.3915:
	s_mov_b32 s13, s6
	s_mov_b32 s11, exec_lo
	;; [unrolled: 6-line block ×3, first 2 shown]
	v_cmpx_lt_i16_e32 43, v7
	s_xor_b32 s13, exec_lo, s13
	s_cbranch_execz .LBB14_3928
; %bb.3917:
	s_mov_b32 s14, 0
	s_mov_b32 s15, s6
	s_mov_b32 s0, exec_lo
	v_cmpx_lt_i16_e32 45, v7
	s_xor_b32 s0, exec_lo, s0
	s_cbranch_execz .LBB14_3921
; %bb.3918:
	s_mov_b32 s16, -1
	s_mov_b32 s15, exec_lo
	v_cmpx_eq_u16_e32 46, v7
	s_cbranch_execz .LBB14_3920
; %bb.3919:
	v_bfe_u32 v7, v38, 16, 1
	v_cmp_o_f32_e32 vcc_lo, v38, v38
	s_mov_b32 s14, exec_lo
	s_xor_b32 s16, exec_lo, -1
	s_delay_alu instid0(VALU_DEP_2) | instskip(NEXT) | instid1(VALU_DEP_1)
	v_add3_u32 v7, v38, v7, 0x7fff
	v_lshrrev_b32_e32 v7, 16, v7
	s_delay_alu instid0(VALU_DEP_1)
	v_cndmask_b32_e32 v7, 0x7fc0, v7, vcc_lo
	flat_store_b32 v[8:9], v7
.LBB14_3920:
	s_wait_xcnt 0x0
	s_or_b32 exec_lo, exec_lo, s15
	s_delay_alu instid0(SALU_CYCLE_1)
	s_and_not1_b32 s15, s6, exec_lo
	s_and_b32 s16, s16, exec_lo
	s_and_b32 s14, s14, exec_lo
	s_or_b32 s15, s15, s16
                                        ; implicit-def: $vgpr7
                                        ; implicit-def: $vgpr8_vgpr9
                                        ; implicit-def: $vgpr38
.LBB14_3921:
	s_and_not1_saveexec_b32 s16, s0
	s_cbranch_execz .LBB14_3927
; %bb.3922:
	s_mov_b32 s18, -1
	s_mov_b32 s0, s14
	s_mov_b32 s17, exec_lo
	v_cmpx_eq_u16_e32 44, v7
	s_cbranch_execz .LBB14_3926
; %bb.3923:
	v_bfe_u32 v10, v38, 23, 8
	v_mov_b32_e32 v7, 0xff
	s_mov_b32 s18, exec_lo
	s_delay_alu instid0(VALU_DEP_2)
	v_cmpx_ne_u32_e32 0xff, v10
	s_cbranch_execz .LBB14_3925
; %bb.3924:
	v_and_b32_e32 v7, 0x400000, v38
	v_and_or_b32 v10, 0x3fffff, v38, v10
	s_delay_alu instid0(VALU_DEP_2) | instskip(NEXT) | instid1(VALU_DEP_2)
	v_cmp_ne_u32_e32 vcc_lo, 0, v7
	v_cmp_ne_u32_e64 s0, 0, v10
	v_lshrrev_b32_e32 v7, 23, v38
	s_and_b32 s0, vcc_lo, s0
	s_delay_alu instid0(SALU_CYCLE_1) | instskip(NEXT) | instid1(VALU_DEP_1)
	v_cndmask_b32_e64 v10, 0, 1, s0
	v_add_nc_u32_e32 v7, v7, v10
.LBB14_3925:
	s_or_b32 exec_lo, exec_lo, s18
	s_delay_alu instid0(SALU_CYCLE_1)
	s_xor_b32 s18, exec_lo, -1
	s_or_b32 s0, s14, exec_lo
	flat_store_b8 v[8:9], v7
.LBB14_3926:
	s_wait_xcnt 0x0
	s_or_b32 exec_lo, exec_lo, s17
	s_delay_alu instid0(SALU_CYCLE_1)
	s_and_not1_b32 s15, s15, exec_lo
	s_and_b32 s17, s18, exec_lo
	s_and_not1_b32 s14, s14, exec_lo
	s_and_b32 s0, s0, exec_lo
	s_or_b32 s15, s15, s17
	s_or_b32 s14, s14, s0
.LBB14_3927:
	s_or_b32 exec_lo, exec_lo, s16
	s_delay_alu instid0(SALU_CYCLE_1) | instskip(SKIP_1) | instid1(SALU_CYCLE_1)
	s_and_not1_b32 s0, s6, exec_lo
	s_and_b32 s15, s15, exec_lo
                                        ; implicit-def: $vgpr7
                                        ; implicit-def: $vgpr38
                                        ; implicit-def: $vgpr8_vgpr9
	s_or_b32 s15, s0, s15
	s_and_b32 s0, s14, exec_lo
.LBB14_3928:
	s_and_not1_saveexec_b32 s13, s13
	s_cbranch_execz .LBB14_3932
; %bb.3929:
	s_mov_b32 s17, -1
	s_mov_b32 s16, s0
	s_mov_b32 s14, exec_lo
	v_cmpx_eq_u16_e32 29, v7
	s_cbranch_execz .LBB14_3931
; %bb.3930:
	v_trunc_f32_e32 v7, v38
	s_xor_b32 s17, exec_lo, -1
	s_or_b32 s16, s0, exec_lo
	s_delay_alu instid0(VALU_DEP_1) | instskip(NEXT) | instid1(VALU_DEP_1)
	v_mul_f32_e32 v10, 0x2f800000, v7
	v_floor_f32_e32 v10, v10
	s_delay_alu instid0(VALU_DEP_1) | instskip(SKIP_1) | instid1(VALU_DEP_2)
	v_fmamk_f32 v7, v10, 0xcf800000, v7
	v_cvt_u32_f32_e32 v39, v10
	v_cvt_u32_f32_e32 v38, v7
	flat_store_b64 v[8:9], v[38:39]
.LBB14_3931:
	s_wait_xcnt 0x0
	s_or_b32 exec_lo, exec_lo, s14
	s_delay_alu instid0(SALU_CYCLE_1)
	s_and_not1_b32 s14, s15, exec_lo
	s_and_b32 s15, s17, exec_lo
	s_and_not1_b32 s0, s0, exec_lo
	s_and_b32 s16, s16, exec_lo
	s_or_b32 s15, s14, s15
	s_or_b32 s0, s0, s16
.LBB14_3932:
	s_or_b32 exec_lo, exec_lo, s13
	s_delay_alu instid0(SALU_CYCLE_1)
	s_and_not1_b32 s13, s6, exec_lo
	s_and_b32 s14, s15, exec_lo
	s_and_b32 s0, s0, exec_lo
	s_or_b32 s13, s13, s14
                                        ; implicit-def: $vgpr8_vgpr9
                                        ; implicit-def: $vgpr7
                                        ; implicit-def: $vgpr38
.LBB14_3933:
	s_and_not1_saveexec_b32 s11, s11
	s_cbranch_execz .LBB14_3949
; %bb.3934:
	s_mov_b32 s14, exec_lo
	v_cmpx_lt_i16_e32 26, v7
	s_xor_b32 s14, exec_lo, s14
	s_cbranch_execz .LBB14_3940
; %bb.3935:
	v_cmp_lt_i16_e32 vcc_lo, 27, v7
	v_cvt_u32_f32_e32 v7, v38
	s_and_saveexec_b32 s15, vcc_lo
	s_delay_alu instid0(SALU_CYCLE_1)
	s_xor_b32 s15, exec_lo, s15
	s_cbranch_execz .LBB14_3937
; %bb.3936:
	flat_store_b32 v[8:9], v7
                                        ; implicit-def: $vgpr8_vgpr9
                                        ; implicit-def: $vgpr7
.LBB14_3937:
	s_wait_xcnt 0x0
	s_and_not1_saveexec_b32 s15, s15
	s_cbranch_execz .LBB14_3939
; %bb.3938:
	flat_store_b16 v[8:9], v7
.LBB14_3939:
	s_wait_xcnt 0x0
	s_or_b32 exec_lo, exec_lo, s15
                                        ; implicit-def: $vgpr8_vgpr9
                                        ; implicit-def: $vgpr38
.LBB14_3940:
	s_and_not1_saveexec_b32 s14, s14
	s_cbranch_execz .LBB14_3948
; %bb.3941:
	v_and_b32_e32 v7, 0x7fffffff, v38
	v_mov_b32_e32 v10, 0x80
	s_mov_b32 s15, exec_lo
	s_delay_alu instid0(VALU_DEP_2)
	v_cmpx_gt_u32_e32 0x43800000, v7
	s_cbranch_execz .LBB14_3947
; %bb.3942:
	v_cmp_lt_u32_e32 vcc_lo, 0x3bffffff, v7
	s_mov_b32 s16, 0
                                        ; implicit-def: $vgpr7
	s_and_saveexec_b32 s17, vcc_lo
	s_delay_alu instid0(SALU_CYCLE_1)
	s_xor_b32 s17, exec_lo, s17
	s_cbranch_execnz .LBB14_7823
; %bb.3943:
	s_and_not1_saveexec_b32 s17, s17
	s_cbranch_execnz .LBB14_7824
.LBB14_3944:
	s_or_b32 exec_lo, exec_lo, s17
	v_mov_b32_e32 v10, 0
	s_and_saveexec_b32 s17, s16
.LBB14_3945:
	v_lshrrev_b32_e32 v10, 24, v38
	s_delay_alu instid0(VALU_DEP_1)
	v_and_or_b32 v10, 0x80, v10, v7
.LBB14_3946:
	s_or_b32 exec_lo, exec_lo, s17
.LBB14_3947:
	s_delay_alu instid0(SALU_CYCLE_1)
	s_or_b32 exec_lo, exec_lo, s15
	flat_store_b8 v[8:9], v10
.LBB14_3948:
	s_wait_xcnt 0x0
	s_or_b32 exec_lo, exec_lo, s14
	s_delay_alu instid0(SALU_CYCLE_1)
	s_or_b32 s0, s0, exec_lo
.LBB14_3949:
	s_or_b32 exec_lo, exec_lo, s11
	s_delay_alu instid0(SALU_CYCLE_1)
	s_and_not1_b32 s11, s6, exec_lo
	s_and_b32 s13, s13, exec_lo
	s_and_b32 s0, s0, exec_lo
	s_or_b32 s11, s11, s13
                                        ; implicit-def: $vgpr7
                                        ; implicit-def: $vgpr38
                                        ; implicit-def: $vgpr8_vgpr9
.LBB14_3950:
	s_and_not1_saveexec_b32 s12, s12
	s_cbranch_execz .LBB14_3994
; %bb.3951:
	s_mov_b32 s14, s0
	s_mov_b32 s13, exec_lo
	v_cmpx_lt_i16_e32 22, v7
	s_xor_b32 s13, exec_lo, s13
	s_cbranch_execz .LBB14_3983
; %bb.3952:
	s_mov_b32 s14, exec_lo
	v_cmpx_lt_i16_e32 23, v7
	s_xor_b32 s14, exec_lo, s14
	s_cbranch_execz .LBB14_3972
; %bb.3953:
	;; [unrolled: 5-line block ×3, first 2 shown]
	v_and_b32_e32 v7, 0x7fffffff, v38
	v_mov_b32_e32 v10, 0x80
	s_mov_b32 s16, exec_lo
	s_delay_alu instid0(VALU_DEP_2)
	v_cmpx_gt_u32_e32 0x47800000, v7
	s_cbranch_execz .LBB14_3960
; %bb.3955:
	v_cmp_lt_u32_e32 vcc_lo, 0x37ffffff, v7
	s_mov_b32 s17, 0
                                        ; implicit-def: $vgpr7
	s_and_saveexec_b32 s18, vcc_lo
	s_delay_alu instid0(SALU_CYCLE_1)
	s_xor_b32 s18, exec_lo, s18
	s_cbranch_execnz .LBB14_7825
; %bb.3956:
	s_and_not1_saveexec_b32 s18, s18
	s_cbranch_execnz .LBB14_7826
.LBB14_3957:
	s_or_b32 exec_lo, exec_lo, s18
	v_mov_b32_e32 v10, 0
	s_and_saveexec_b32 s18, s17
.LBB14_3958:
	v_lshrrev_b32_e32 v10, 24, v38
	s_delay_alu instid0(VALU_DEP_1)
	v_and_or_b32 v10, 0x80, v10, v7
.LBB14_3959:
	s_or_b32 exec_lo, exec_lo, s18
.LBB14_3960:
	s_delay_alu instid0(SALU_CYCLE_1)
	s_or_b32 exec_lo, exec_lo, s16
	flat_store_b8 v[8:9], v10
                                        ; implicit-def: $vgpr38
                                        ; implicit-def: $vgpr8_vgpr9
.LBB14_3961:
	s_wait_xcnt 0x0
	s_and_not1_saveexec_b32 s15, s15
	s_cbranch_execz .LBB14_3971
; %bb.3962:
	v_and_b32_e32 v10, 0x7fffffff, v38
	s_mov_b32 s16, exec_lo
                                        ; implicit-def: $vgpr7
	s_delay_alu instid0(VALU_DEP_1)
	v_cmpx_gt_u32_e32 0x43f00000, v10
	s_xor_b32 s16, exec_lo, s16
	s_cbranch_execz .LBB14_3968
; %bb.3963:
	s_mov_b32 s17, exec_lo
                                        ; implicit-def: $vgpr7
	v_cmpx_lt_u32_e32 0x3c7fffff, v10
	s_xor_b32 s17, exec_lo, s17
; %bb.3964:
	v_bfe_u32 v7, v38, 20, 1
	s_delay_alu instid0(VALU_DEP_1) | instskip(NEXT) | instid1(VALU_DEP_1)
	v_add3_u32 v7, v38, v7, 0x407ffff
	v_and_b32_e32 v10, 0xff00000, v7
	v_lshrrev_b32_e32 v7, 20, v7
	s_delay_alu instid0(VALU_DEP_2) | instskip(NEXT) | instid1(VALU_DEP_2)
	v_cmp_ne_u32_e32 vcc_lo, 0x7f00000, v10
	v_cndmask_b32_e32 v7, 0x7e, v7, vcc_lo
; %bb.3965:
	s_and_not1_saveexec_b32 s17, s17
; %bb.3966:
	v_add_f32_e64 v7, 0x46800000, |v38|
; %bb.3967:
	s_or_b32 exec_lo, exec_lo, s17
                                        ; implicit-def: $vgpr10
.LBB14_3968:
	s_and_not1_saveexec_b32 s16, s16
; %bb.3969:
	v_mov_b32_e32 v7, 0x7f
	v_cmp_lt_u32_e32 vcc_lo, 0x7f800000, v10
	s_delay_alu instid0(VALU_DEP_2)
	v_cndmask_b32_e32 v7, 0x7e, v7, vcc_lo
; %bb.3970:
	s_or_b32 exec_lo, exec_lo, s16
	v_lshrrev_b32_e32 v10, 24, v38
	s_delay_alu instid0(VALU_DEP_1)
	v_and_or_b32 v7, 0x80, v10, v7
	flat_store_b8 v[8:9], v7
.LBB14_3971:
	s_wait_xcnt 0x0
	s_or_b32 exec_lo, exec_lo, s15
                                        ; implicit-def: $vgpr38
                                        ; implicit-def: $vgpr8_vgpr9
.LBB14_3972:
	s_and_not1_saveexec_b32 s14, s14
	s_cbranch_execz .LBB14_3982
; %bb.3973:
	v_and_b32_e32 v10, 0x7fffffff, v38
	s_mov_b32 s15, exec_lo
                                        ; implicit-def: $vgpr7
	s_delay_alu instid0(VALU_DEP_1)
	v_cmpx_gt_u32_e32 0x47800000, v10
	s_xor_b32 s15, exec_lo, s15
	s_cbranch_execz .LBB14_3979
; %bb.3974:
	s_mov_b32 s16, exec_lo
                                        ; implicit-def: $vgpr7
	v_cmpx_lt_u32_e32 0x387fffff, v10
	s_xor_b32 s16, exec_lo, s16
; %bb.3975:
	v_bfe_u32 v7, v38, 21, 1
	s_delay_alu instid0(VALU_DEP_1) | instskip(NEXT) | instid1(VALU_DEP_1)
	v_add3_u32 v7, v38, v7, 0x80fffff
	v_lshrrev_b32_e32 v7, 21, v7
; %bb.3976:
	s_and_not1_saveexec_b32 s16, s16
; %bb.3977:
	v_add_f32_e64 v7, 0x43000000, |v38|
; %bb.3978:
	s_or_b32 exec_lo, exec_lo, s16
                                        ; implicit-def: $vgpr10
.LBB14_3979:
	s_and_not1_saveexec_b32 s15, s15
; %bb.3980:
	v_mov_b32_e32 v7, 0x7f
	v_cmp_lt_u32_e32 vcc_lo, 0x7f800000, v10
	s_delay_alu instid0(VALU_DEP_2)
	v_cndmask_b32_e32 v7, 0x7c, v7, vcc_lo
; %bb.3981:
	s_or_b32 exec_lo, exec_lo, s15
	v_lshrrev_b32_e32 v10, 24, v38
	s_delay_alu instid0(VALU_DEP_1)
	v_and_or_b32 v7, 0x80, v10, v7
	flat_store_b8 v[8:9], v7
.LBB14_3982:
	s_wait_xcnt 0x0
	s_or_b32 exec_lo, exec_lo, s14
	s_delay_alu instid0(SALU_CYCLE_1)
	s_or_b32 s14, s0, exec_lo
                                        ; implicit-def: $vgpr7
                                        ; implicit-def: $vgpr38
                                        ; implicit-def: $vgpr8_vgpr9
.LBB14_3983:
	s_or_saveexec_b32 s13, s13
	s_mov_b32 s15, s11
	s_xor_b32 exec_lo, exec_lo, s13
	s_cbranch_execz .LBB14_3993
; %bb.3984:
	s_mov_b32 s15, s14
	s_mov_b32 s16, s11
	s_mov_b32 s17, exec_lo
	v_cmpx_lt_i16_e32 14, v7
	s_xor_b32 s17, exec_lo, s17
	s_cbranch_execz .LBB14_3988
; %bb.3985:
	s_mov_b32 s18, -1
	s_mov_b32 s15, s14
	s_mov_b32 s16, exec_lo
	v_cmpx_eq_u16_e32 15, v7
	s_cbranch_execz .LBB14_3987
; %bb.3986:
	v_bfe_u32 v7, v38, 16, 1
	v_cmp_o_f32_e32 vcc_lo, v38, v38
	s_xor_b32 s18, exec_lo, -1
	s_or_b32 s15, s14, exec_lo
	s_delay_alu instid0(VALU_DEP_2) | instskip(NEXT) | instid1(VALU_DEP_1)
	v_add3_u32 v7, v38, v7, 0x7fff
	v_lshrrev_b32_e32 v7, 16, v7
	s_delay_alu instid0(VALU_DEP_1)
	v_cndmask_b32_e32 v7, 0x7fc0, v7, vcc_lo
	flat_store_b16 v[8:9], v7
.LBB14_3987:
	s_wait_xcnt 0x0
	s_or_b32 exec_lo, exec_lo, s16
	s_delay_alu instid0(SALU_CYCLE_1)
	s_and_not1_b32 s16, s11, exec_lo
	s_and_b32 s18, s18, exec_lo
	s_and_not1_b32 s19, s14, exec_lo
	s_and_b32 s15, s15, exec_lo
	s_or_b32 s16, s16, s18
	s_or_b32 s15, s19, s15
                                        ; implicit-def: $vgpr7
                                        ; implicit-def: $vgpr38
                                        ; implicit-def: $vgpr8_vgpr9
.LBB14_3988:
	s_and_not1_saveexec_b32 s17, s17
	s_cbranch_execz .LBB14_3992
; %bb.3989:
	s_mov_b32 s19, -1
	s_mov_b32 s18, s15
	s_mov_b32 s20, exec_lo
	v_cmpx_eq_u16_e32 11, v7
	s_cbranch_execz .LBB14_3991
; %bb.3990:
	v_cmp_neq_f32_e32 vcc_lo, 0, v38
	s_xor_b32 s19, exec_lo, -1
	s_or_b32 s18, s15, exec_lo
	v_cndmask_b32_e64 v7, 0, 1, vcc_lo
	flat_store_b8 v[8:9], v7
.LBB14_3991:
	s_wait_xcnt 0x0
	s_or_b32 exec_lo, exec_lo, s20
	s_delay_alu instid0(SALU_CYCLE_1)
	s_and_not1_b32 s16, s16, exec_lo
	s_and_b32 s19, s19, exec_lo
	s_and_not1_b32 s15, s15, exec_lo
	s_and_b32 s18, s18, exec_lo
	s_or_b32 s16, s16, s19
	s_or_b32 s15, s15, s18
.LBB14_3992:
	s_or_b32 exec_lo, exec_lo, s17
	s_delay_alu instid0(SALU_CYCLE_1)
	s_and_not1_b32 s17, s11, exec_lo
	s_and_b32 s16, s16, exec_lo
	s_and_not1_b32 s14, s14, exec_lo
	s_and_b32 s18, s15, exec_lo
	s_or_b32 s15, s17, s16
	s_or_b32 s14, s14, s18
.LBB14_3993:
	s_or_b32 exec_lo, exec_lo, s13
	s_delay_alu instid0(SALU_CYCLE_1)
	s_and_not1_b32 s11, s11, exec_lo
	s_and_b32 s13, s15, exec_lo
	s_and_not1_b32 s0, s0, exec_lo
	s_and_b32 s14, s14, exec_lo
	s_or_b32 s11, s11, s13
	s_or_b32 s0, s0, s14
.LBB14_3994:
	s_or_b32 exec_lo, exec_lo, s12
	s_delay_alu instid0(SALU_CYCLE_1)
	s_and_not1_b32 s12, s6, exec_lo
	s_and_b32 s11, s11, exec_lo
	s_and_b32 s0, s0, exec_lo
	s_or_b32 s11, s12, s11
                                        ; implicit-def: $vgpr7
                                        ; implicit-def: $vgpr38
                                        ; implicit-def: $vgpr8_vgpr9
.LBB14_3995:
	s_and_not1_saveexec_b32 s8, s8
	s_cbranch_execz .LBB14_4037
; %bb.3996:
	s_mov_b32 s12, exec_lo
	v_cmpx_lt_i16_e32 4, v7
	s_xor_b32 s12, exec_lo, s12
	s_cbranch_execz .LBB14_4018
; %bb.3997:
	s_mov_b32 s13, exec_lo
	v_cmpx_lt_i16_e32 7, v7
	s_xor_b32 s13, exec_lo, s13
	;; [unrolled: 5-line block ×4, first 2 shown]
	s_cbranch_execz .LBB14_4001
; %bb.4000:
	v_cvt_f64_f32_e32 v[112:113], v38
	v_mov_b32_e32 v114, 0
                                        ; implicit-def: $vgpr38
	s_delay_alu instid0(VALU_DEP_1)
	v_mov_b32_e32 v115, v114
	flat_store_b128 v[8:9], v[112:115]
                                        ; implicit-def: $vgpr8_vgpr9
.LBB14_4001:
	s_wait_xcnt 0x0
	s_and_not1_saveexec_b32 s15, s15
	s_cbranch_execz .LBB14_4003
; %bb.4002:
	v_mov_b32_e32 v39, 0
	flat_store_b64 v[8:9], v[38:39]
.LBB14_4003:
	s_wait_xcnt 0x0
	s_or_b32 exec_lo, exec_lo, s15
                                        ; implicit-def: $vgpr38
                                        ; implicit-def: $vgpr8_vgpr9
.LBB14_4004:
	s_and_not1_saveexec_b32 s14, s14
	s_cbranch_execz .LBB14_4006
; %bb.4005:
	v_cvt_f16_f32_e32 v7, v38
	s_delay_alu instid0(VALU_DEP_1)
	v_and_b32_e32 v7, 0xffff, v7
	flat_store_b32 v[8:9], v7
.LBB14_4006:
	s_wait_xcnt 0x0
	s_or_b32 exec_lo, exec_lo, s14
                                        ; implicit-def: $vgpr38
                                        ; implicit-def: $vgpr8_vgpr9
                                        ; implicit-def: $vgpr7
.LBB14_4007:
	s_and_not1_saveexec_b32 s13, s13
	s_cbranch_execz .LBB14_4017
; %bb.4008:
	s_mov_b32 s14, exec_lo
	v_cmpx_lt_i16_e32 5, v7
	s_xor_b32 s14, exec_lo, s14
	s_cbranch_execz .LBB14_4014
; %bb.4009:
	s_mov_b32 s15, exec_lo
	v_cmpx_lt_i16_e32 6, v7
	s_xor_b32 s15, exec_lo, s15
	s_cbranch_execz .LBB14_4011
; %bb.4010:
	v_cvt_f64_f32_e32 v[38:39], v38
	flat_store_b64 v[8:9], v[38:39]
                                        ; implicit-def: $vgpr8_vgpr9
                                        ; implicit-def: $vgpr38
.LBB14_4011:
	s_wait_xcnt 0x0
	s_and_not1_saveexec_b32 s15, s15
	s_cbranch_execz .LBB14_4013
; %bb.4012:
	flat_store_b32 v[8:9], v38
.LBB14_4013:
	s_wait_xcnt 0x0
	s_or_b32 exec_lo, exec_lo, s15
                                        ; implicit-def: $vgpr38
                                        ; implicit-def: $vgpr8_vgpr9
.LBB14_4014:
	s_and_not1_saveexec_b32 s14, s14
	s_cbranch_execz .LBB14_4016
; %bb.4015:
	v_cvt_f16_f32_e32 v7, v38
	flat_store_b16 v[8:9], v7
.LBB14_4016:
	s_wait_xcnt 0x0
	s_or_b32 exec_lo, exec_lo, s14
.LBB14_4017:
	s_delay_alu instid0(SALU_CYCLE_1)
	s_or_b32 exec_lo, exec_lo, s13
                                        ; implicit-def: $vgpr7
                                        ; implicit-def: $vgpr38
                                        ; implicit-def: $vgpr8_vgpr9
.LBB14_4018:
	s_and_not1_saveexec_b32 s12, s12
	s_cbranch_execz .LBB14_4036
; %bb.4019:
	s_mov_b32 s13, exec_lo
	v_cmpx_lt_i16_e32 1, v7
	s_xor_b32 s13, exec_lo, s13
	s_cbranch_execz .LBB14_4029
; %bb.4020:
	s_mov_b32 s14, exec_lo
	v_cmpx_lt_i16_e32 2, v7
	s_xor_b32 s14, exec_lo, s14
	;; [unrolled: 5-line block ×3, first 2 shown]
	s_cbranch_execz .LBB14_4023
; %bb.4022:
	v_trunc_f32_e32 v7, v38
	s_delay_alu instid0(VALU_DEP_1) | instskip(SKIP_1) | instid1(VALU_DEP_2)
	v_mul_f32_e64 v10, 0x2f800000, |v7|
	v_ashrrev_i32_e32 v38, 31, v7
	v_floor_f32_e32 v10, v10
	s_delay_alu instid0(VALU_DEP_1) | instskip(SKIP_1) | instid1(VALU_DEP_2)
	v_fma_f32 v39, 0xcf800000, v10, |v7|
	v_cvt_u32_f32_e32 v7, v10
	v_cvt_u32_f32_e32 v10, v39
	s_delay_alu instid0(VALU_DEP_2) | instskip(NEXT) | instid1(VALU_DEP_2)
	v_dual_mov_b32 v39, v38 :: v_dual_bitop2_b32 v101, v7, v38 bitop3:0x14
	v_xor_b32_e32 v100, v10, v38
	s_delay_alu instid0(VALU_DEP_1)
	v_sub_nc_u64_e32 v[38:39], v[100:101], v[38:39]
	flat_store_b64 v[8:9], v[38:39]
                                        ; implicit-def: $vgpr38
                                        ; implicit-def: $vgpr8_vgpr9
.LBB14_4023:
	s_wait_xcnt 0x0
	s_and_not1_saveexec_b32 s15, s15
	s_cbranch_execz .LBB14_4025
; %bb.4024:
	v_cvt_i32_f32_e32 v7, v38
	flat_store_b32 v[8:9], v7
.LBB14_4025:
	s_wait_xcnt 0x0
	s_or_b32 exec_lo, exec_lo, s15
                                        ; implicit-def: $vgpr38
                                        ; implicit-def: $vgpr8_vgpr9
.LBB14_4026:
	s_and_not1_saveexec_b32 s14, s14
	s_cbranch_execz .LBB14_4028
; %bb.4027:
	v_cvt_i32_f32_e32 v7, v38
	flat_store_b16 v[8:9], v7
.LBB14_4028:
	s_wait_xcnt 0x0
	s_or_b32 exec_lo, exec_lo, s14
                                        ; implicit-def: $vgpr38
                                        ; implicit-def: $vgpr8_vgpr9
                                        ; implicit-def: $vgpr7
.LBB14_4029:
	s_and_not1_saveexec_b32 s13, s13
	s_cbranch_execz .LBB14_4035
; %bb.4030:
	s_mov_b32 s14, exec_lo
	v_cmpx_lt_i16_e32 0, v7
	s_xor_b32 s14, exec_lo, s14
	s_cbranch_execz .LBB14_4032
; %bb.4031:
	v_cvt_i32_f32_e32 v7, v38
                                        ; implicit-def: $vgpr38
	flat_store_b8 v[8:9], v7
                                        ; implicit-def: $vgpr8_vgpr9
.LBB14_4032:
	s_wait_xcnt 0x0
	s_and_not1_saveexec_b32 s14, s14
	s_cbranch_execz .LBB14_4034
; %bb.4033:
	v_trunc_f32_e32 v7, v38
	s_delay_alu instid0(VALU_DEP_1) | instskip(NEXT) | instid1(VALU_DEP_1)
	v_mul_f32_e64 v10, 0x2f800000, |v7|
	v_floor_f32_e32 v10, v10
	s_delay_alu instid0(VALU_DEP_1) | instskip(SKIP_1) | instid1(VALU_DEP_2)
	v_fma_f32 v10, 0xcf800000, v10, |v7|
	v_ashrrev_i32_e32 v7, 31, v7
	v_cvt_u32_f32_e32 v10, v10
	s_delay_alu instid0(VALU_DEP_1) | instskip(NEXT) | instid1(VALU_DEP_1)
	v_xor_b32_e32 v10, v10, v7
	v_sub_nc_u32_e32 v7, v10, v7
	flat_store_b8 v[8:9], v7
.LBB14_4034:
	s_wait_xcnt 0x0
	s_or_b32 exec_lo, exec_lo, s14
.LBB14_4035:
	s_delay_alu instid0(SALU_CYCLE_1)
	s_or_b32 exec_lo, exec_lo, s13
.LBB14_4036:
	s_delay_alu instid0(SALU_CYCLE_1) | instskip(NEXT) | instid1(SALU_CYCLE_1)
	s_or_b32 exec_lo, exec_lo, s12
	s_or_b32 s0, s0, exec_lo
.LBB14_4037:
	s_or_b32 exec_lo, exec_lo, s8
	s_mov_b32 s12, 0
	s_mov_b32 s8, 0
	s_and_saveexec_b32 s13, s0
; %bb.4038:
	v_add_nc_u32_e32 v13, 0x200, v13
	s_mov_b32 s12, exec_lo
	s_delay_alu instid0(VALU_DEP_1)
	v_cmp_lt_i32_e32 vcc_lo, v13, v6
	s_and_b32 s8, vcc_lo, exec_lo
; %bb.4039:
	s_or_b32 exec_lo, exec_lo, s13
	s_delay_alu instid0(SALU_CYCLE_1)
	s_and_not1_b32 s0, s6, exec_lo
	s_and_b32 s11, s11, exec_lo
	s_and_b32 s13, s8, exec_lo
	s_or_b32 s8, s0, s11
	s_or_not1_b32 s12, s12, exec_lo
.LBB14_4040:
	s_or_b32 exec_lo, exec_lo, s9
	s_mov_b32 s0, 0
	s_mov_b32 s11, 0
                                        ; implicit-def: $vgpr8
                                        ; implicit-def: $vgpr7
                                        ; implicit-def: $vgpr38_vgpr39
	s_and_saveexec_b32 s9, s12
	s_cbranch_execz .LBB14_7762
; %bb.4041:
	s_mov_b32 s14, -1
	s_mov_b32 s12, 0
	s_mov_b32 s10, s8
	s_and_saveexec_b32 s11, s13
	s_cbranch_execz .LBB14_4169
; %bb.4042:
	v_dual_add_nc_u32 v7, s2, v13 :: v_dual_mov_b32 v9, 0
	s_wait_loadcnt 0xe
	v_mul_f32_e32 v10, v102, v103
	v_cmp_lt_f32_e32 vcc_lo, 0, v103
	s_mov_b32 s13, s8
	v_mul_lo_u32 v8, v7, v12
	v_and_b32_e32 v7, 0xff, v11
	s_mov_b32 s10, exec_lo
	v_cndmask_b32_e32 v38, v10, v103, vcc_lo
	s_delay_alu instid0(VALU_DEP_3) | instskip(NEXT) | instid1(VALU_DEP_3)
	v_add_nc_u64_e32 v[8:9], v[0:1], v[8:9]
	v_cmpx_lt_i16_e32 10, v7
	s_xor_b32 s10, exec_lo, s10
	s_cbranch_execz .LBB14_4124
; %bb.4043:
	s_mov_b32 s13, s8
	s_mov_b32 s14, exec_lo
	v_cmpx_lt_i16_e32 25, v7
	s_xor_b32 s14, exec_lo, s14
	s_cbranch_execz .LBB14_4079
; %bb.4044:
	s_mov_b32 s15, s8
	s_mov_b32 s13, exec_lo
	;; [unrolled: 6-line block ×3, first 2 shown]
	v_cmpx_lt_i16_e32 43, v7
	s_xor_b32 s15, exec_lo, s15
	s_cbranch_execz .LBB14_4057
; %bb.4046:
	s_mov_b32 s16, 0
	s_mov_b32 s17, s8
	s_mov_b32 s0, exec_lo
	v_cmpx_lt_i16_e32 45, v7
	s_xor_b32 s0, exec_lo, s0
	s_cbranch_execz .LBB14_4050
; %bb.4047:
	s_mov_b32 s18, -1
	s_mov_b32 s17, exec_lo
	v_cmpx_eq_u16_e32 46, v7
	s_cbranch_execz .LBB14_4049
; %bb.4048:
	v_bfe_u32 v7, v38, 16, 1
	v_cmp_o_f32_e32 vcc_lo, v38, v38
	s_mov_b32 s16, exec_lo
	s_xor_b32 s18, exec_lo, -1
	s_delay_alu instid0(VALU_DEP_2) | instskip(NEXT) | instid1(VALU_DEP_1)
	v_add3_u32 v7, v38, v7, 0x7fff
	v_lshrrev_b32_e32 v7, 16, v7
	s_delay_alu instid0(VALU_DEP_1)
	v_cndmask_b32_e32 v7, 0x7fc0, v7, vcc_lo
	flat_store_b32 v[8:9], v7
.LBB14_4049:
	s_wait_xcnt 0x0
	s_or_b32 exec_lo, exec_lo, s17
	s_delay_alu instid0(SALU_CYCLE_1)
	s_and_not1_b32 s17, s8, exec_lo
	s_and_b32 s18, s18, exec_lo
	s_and_b32 s16, s16, exec_lo
	s_or_b32 s17, s17, s18
                                        ; implicit-def: $vgpr7
                                        ; implicit-def: $vgpr8_vgpr9
                                        ; implicit-def: $vgpr38
.LBB14_4050:
	s_and_not1_saveexec_b32 s18, s0
	s_cbranch_execz .LBB14_4056
; %bb.4051:
	s_mov_b32 s20, -1
	s_mov_b32 s0, s16
	s_mov_b32 s19, exec_lo
	v_cmpx_eq_u16_e32 44, v7
	s_cbranch_execz .LBB14_4055
; %bb.4052:
	v_bfe_u32 v10, v38, 23, 8
	v_mov_b32_e32 v7, 0xff
	s_mov_b32 s20, exec_lo
	s_delay_alu instid0(VALU_DEP_2)
	v_cmpx_ne_u32_e32 0xff, v10
	s_cbranch_execz .LBB14_4054
; %bb.4053:
	v_and_b32_e32 v7, 0x400000, v38
	v_and_or_b32 v10, 0x3fffff, v38, v10
	s_delay_alu instid0(VALU_DEP_2) | instskip(NEXT) | instid1(VALU_DEP_2)
	v_cmp_ne_u32_e32 vcc_lo, 0, v7
	v_cmp_ne_u32_e64 s0, 0, v10
	v_lshrrev_b32_e32 v7, 23, v38
	s_and_b32 s0, vcc_lo, s0
	s_delay_alu instid0(SALU_CYCLE_1) | instskip(NEXT) | instid1(VALU_DEP_1)
	v_cndmask_b32_e64 v10, 0, 1, s0
	v_add_nc_u32_e32 v7, v7, v10
.LBB14_4054:
	s_or_b32 exec_lo, exec_lo, s20
	s_delay_alu instid0(SALU_CYCLE_1)
	s_xor_b32 s20, exec_lo, -1
	s_or_b32 s0, s16, exec_lo
	flat_store_b8 v[8:9], v7
.LBB14_4055:
	s_wait_xcnt 0x0
	s_or_b32 exec_lo, exec_lo, s19
	s_delay_alu instid0(SALU_CYCLE_1)
	s_and_not1_b32 s17, s17, exec_lo
	s_and_b32 s19, s20, exec_lo
	s_and_not1_b32 s16, s16, exec_lo
	s_and_b32 s0, s0, exec_lo
	s_or_b32 s17, s17, s19
	s_or_b32 s16, s16, s0
.LBB14_4056:
	s_or_b32 exec_lo, exec_lo, s18
	s_delay_alu instid0(SALU_CYCLE_1) | instskip(SKIP_1) | instid1(SALU_CYCLE_1)
	s_and_not1_b32 s0, s8, exec_lo
	s_and_b32 s17, s17, exec_lo
                                        ; implicit-def: $vgpr7
                                        ; implicit-def: $vgpr38
                                        ; implicit-def: $vgpr8_vgpr9
	s_or_b32 s17, s0, s17
	s_and_b32 s0, s16, exec_lo
.LBB14_4057:
	s_and_not1_saveexec_b32 s15, s15
	s_cbranch_execz .LBB14_4061
; %bb.4058:
	s_mov_b32 s19, -1
	s_mov_b32 s18, s0
	s_mov_b32 s16, exec_lo
	v_cmpx_eq_u16_e32 29, v7
	s_cbranch_execz .LBB14_4060
; %bb.4059:
	v_trunc_f32_e32 v7, v38
	s_xor_b32 s19, exec_lo, -1
	s_or_b32 s18, s0, exec_lo
	s_delay_alu instid0(VALU_DEP_1) | instskip(NEXT) | instid1(VALU_DEP_1)
	v_mul_f32_e32 v10, 0x2f800000, v7
	v_floor_f32_e32 v10, v10
	s_delay_alu instid0(VALU_DEP_1) | instskip(SKIP_1) | instid1(VALU_DEP_2)
	v_fmamk_f32 v7, v10, 0xcf800000, v7
	v_cvt_u32_f32_e32 v39, v10
	v_cvt_u32_f32_e32 v38, v7
	flat_store_b64 v[8:9], v[38:39]
.LBB14_4060:
	s_wait_xcnt 0x0
	s_or_b32 exec_lo, exec_lo, s16
	s_delay_alu instid0(SALU_CYCLE_1)
	s_and_not1_b32 s16, s17, exec_lo
	s_and_b32 s17, s19, exec_lo
	s_and_not1_b32 s0, s0, exec_lo
	s_and_b32 s18, s18, exec_lo
	s_or_b32 s17, s16, s17
	s_or_b32 s0, s0, s18
.LBB14_4061:
	s_or_b32 exec_lo, exec_lo, s15
	s_delay_alu instid0(SALU_CYCLE_1)
	s_and_not1_b32 s15, s8, exec_lo
	s_and_b32 s16, s17, exec_lo
	s_and_b32 s0, s0, exec_lo
	s_or_b32 s15, s15, s16
                                        ; implicit-def: $vgpr8_vgpr9
                                        ; implicit-def: $vgpr7
                                        ; implicit-def: $vgpr38
.LBB14_4062:
	s_and_not1_saveexec_b32 s13, s13
	s_cbranch_execz .LBB14_4078
; %bb.4063:
	s_mov_b32 s16, exec_lo
	v_cmpx_lt_i16_e32 26, v7
	s_xor_b32 s16, exec_lo, s16
	s_cbranch_execz .LBB14_4069
; %bb.4064:
	v_cmp_lt_i16_e32 vcc_lo, 27, v7
	v_cvt_u32_f32_e32 v7, v38
	s_and_saveexec_b32 s17, vcc_lo
	s_delay_alu instid0(SALU_CYCLE_1)
	s_xor_b32 s17, exec_lo, s17
	s_cbranch_execz .LBB14_4066
; %bb.4065:
	flat_store_b32 v[8:9], v7
                                        ; implicit-def: $vgpr8_vgpr9
                                        ; implicit-def: $vgpr7
.LBB14_4066:
	s_wait_xcnt 0x0
	s_and_not1_saveexec_b32 s17, s17
	s_cbranch_execz .LBB14_4068
; %bb.4067:
	flat_store_b16 v[8:9], v7
.LBB14_4068:
	s_wait_xcnt 0x0
	s_or_b32 exec_lo, exec_lo, s17
                                        ; implicit-def: $vgpr8_vgpr9
                                        ; implicit-def: $vgpr38
.LBB14_4069:
	s_and_not1_saveexec_b32 s16, s16
	s_cbranch_execz .LBB14_4077
; %bb.4070:
	v_and_b32_e32 v7, 0x7fffffff, v38
	v_mov_b32_e32 v10, 0x80
	s_mov_b32 s17, exec_lo
	s_delay_alu instid0(VALU_DEP_2)
	v_cmpx_gt_u32_e32 0x43800000, v7
	s_cbranch_execz .LBB14_4076
; %bb.4071:
	v_cmp_lt_u32_e32 vcc_lo, 0x3bffffff, v7
	s_mov_b32 s18, 0
                                        ; implicit-def: $vgpr7
	s_and_saveexec_b32 s19, vcc_lo
	s_delay_alu instid0(SALU_CYCLE_1)
	s_xor_b32 s19, exec_lo, s19
	s_cbranch_execnz .LBB14_7827
; %bb.4072:
	s_and_not1_saveexec_b32 s19, s19
	s_cbranch_execnz .LBB14_7828
.LBB14_4073:
	s_or_b32 exec_lo, exec_lo, s19
	v_mov_b32_e32 v10, 0
	s_and_saveexec_b32 s19, s18
.LBB14_4074:
	v_lshrrev_b32_e32 v10, 24, v38
	s_delay_alu instid0(VALU_DEP_1)
	v_and_or_b32 v10, 0x80, v10, v7
.LBB14_4075:
	s_or_b32 exec_lo, exec_lo, s19
.LBB14_4076:
	s_delay_alu instid0(SALU_CYCLE_1)
	s_or_b32 exec_lo, exec_lo, s17
	flat_store_b8 v[8:9], v10
.LBB14_4077:
	s_wait_xcnt 0x0
	s_or_b32 exec_lo, exec_lo, s16
	s_delay_alu instid0(SALU_CYCLE_1)
	s_or_b32 s0, s0, exec_lo
.LBB14_4078:
	s_or_b32 exec_lo, exec_lo, s13
	s_delay_alu instid0(SALU_CYCLE_1)
	s_and_not1_b32 s13, s8, exec_lo
	s_and_b32 s15, s15, exec_lo
	s_and_b32 s0, s0, exec_lo
	s_or_b32 s13, s13, s15
                                        ; implicit-def: $vgpr7
                                        ; implicit-def: $vgpr38
                                        ; implicit-def: $vgpr8_vgpr9
.LBB14_4079:
	s_and_not1_saveexec_b32 s14, s14
	s_cbranch_execz .LBB14_4123
; %bb.4080:
	s_mov_b32 s16, s0
	s_mov_b32 s15, exec_lo
	v_cmpx_lt_i16_e32 22, v7
	s_xor_b32 s15, exec_lo, s15
	s_cbranch_execz .LBB14_4112
; %bb.4081:
	s_mov_b32 s16, exec_lo
	v_cmpx_lt_i16_e32 23, v7
	s_xor_b32 s16, exec_lo, s16
	s_cbranch_execz .LBB14_4101
; %bb.4082:
	;; [unrolled: 5-line block ×3, first 2 shown]
	v_and_b32_e32 v7, 0x7fffffff, v38
	v_mov_b32_e32 v10, 0x80
	s_mov_b32 s18, exec_lo
	s_delay_alu instid0(VALU_DEP_2)
	v_cmpx_gt_u32_e32 0x47800000, v7
	s_cbranch_execz .LBB14_4089
; %bb.4084:
	v_cmp_lt_u32_e32 vcc_lo, 0x37ffffff, v7
	s_mov_b32 s19, 0
                                        ; implicit-def: $vgpr7
	s_and_saveexec_b32 s20, vcc_lo
	s_delay_alu instid0(SALU_CYCLE_1)
	s_xor_b32 s20, exec_lo, s20
	s_cbranch_execnz .LBB14_7829
; %bb.4085:
	s_and_not1_saveexec_b32 s20, s20
	s_cbranch_execnz .LBB14_7830
.LBB14_4086:
	s_or_b32 exec_lo, exec_lo, s20
	v_mov_b32_e32 v10, 0
	s_and_saveexec_b32 s20, s19
.LBB14_4087:
	v_lshrrev_b32_e32 v10, 24, v38
	s_delay_alu instid0(VALU_DEP_1)
	v_and_or_b32 v10, 0x80, v10, v7
.LBB14_4088:
	s_or_b32 exec_lo, exec_lo, s20
.LBB14_4089:
	s_delay_alu instid0(SALU_CYCLE_1)
	s_or_b32 exec_lo, exec_lo, s18
	flat_store_b8 v[8:9], v10
                                        ; implicit-def: $vgpr38
                                        ; implicit-def: $vgpr8_vgpr9
.LBB14_4090:
	s_wait_xcnt 0x0
	s_and_not1_saveexec_b32 s17, s17
	s_cbranch_execz .LBB14_4100
; %bb.4091:
	v_and_b32_e32 v10, 0x7fffffff, v38
	s_mov_b32 s18, exec_lo
                                        ; implicit-def: $vgpr7
	s_delay_alu instid0(VALU_DEP_1)
	v_cmpx_gt_u32_e32 0x43f00000, v10
	s_xor_b32 s18, exec_lo, s18
	s_cbranch_execz .LBB14_4097
; %bb.4092:
	s_mov_b32 s19, exec_lo
                                        ; implicit-def: $vgpr7
	v_cmpx_lt_u32_e32 0x3c7fffff, v10
	s_xor_b32 s19, exec_lo, s19
; %bb.4093:
	v_bfe_u32 v7, v38, 20, 1
	s_delay_alu instid0(VALU_DEP_1) | instskip(NEXT) | instid1(VALU_DEP_1)
	v_add3_u32 v7, v38, v7, 0x407ffff
	v_and_b32_e32 v10, 0xff00000, v7
	v_lshrrev_b32_e32 v7, 20, v7
	s_delay_alu instid0(VALU_DEP_2) | instskip(NEXT) | instid1(VALU_DEP_2)
	v_cmp_ne_u32_e32 vcc_lo, 0x7f00000, v10
	v_cndmask_b32_e32 v7, 0x7e, v7, vcc_lo
; %bb.4094:
	s_and_not1_saveexec_b32 s19, s19
; %bb.4095:
	v_add_f32_e64 v7, 0x46800000, |v38|
; %bb.4096:
	s_or_b32 exec_lo, exec_lo, s19
                                        ; implicit-def: $vgpr10
.LBB14_4097:
	s_and_not1_saveexec_b32 s18, s18
; %bb.4098:
	v_mov_b32_e32 v7, 0x7f
	v_cmp_lt_u32_e32 vcc_lo, 0x7f800000, v10
	s_delay_alu instid0(VALU_DEP_2)
	v_cndmask_b32_e32 v7, 0x7e, v7, vcc_lo
; %bb.4099:
	s_or_b32 exec_lo, exec_lo, s18
	v_lshrrev_b32_e32 v10, 24, v38
	s_delay_alu instid0(VALU_DEP_1)
	v_and_or_b32 v7, 0x80, v10, v7
	flat_store_b8 v[8:9], v7
.LBB14_4100:
	s_wait_xcnt 0x0
	s_or_b32 exec_lo, exec_lo, s17
                                        ; implicit-def: $vgpr38
                                        ; implicit-def: $vgpr8_vgpr9
.LBB14_4101:
	s_and_not1_saveexec_b32 s16, s16
	s_cbranch_execz .LBB14_4111
; %bb.4102:
	v_and_b32_e32 v10, 0x7fffffff, v38
	s_mov_b32 s17, exec_lo
                                        ; implicit-def: $vgpr7
	s_delay_alu instid0(VALU_DEP_1)
	v_cmpx_gt_u32_e32 0x47800000, v10
	s_xor_b32 s17, exec_lo, s17
	s_cbranch_execz .LBB14_4108
; %bb.4103:
	s_mov_b32 s18, exec_lo
                                        ; implicit-def: $vgpr7
	v_cmpx_lt_u32_e32 0x387fffff, v10
	s_xor_b32 s18, exec_lo, s18
; %bb.4104:
	v_bfe_u32 v7, v38, 21, 1
	s_delay_alu instid0(VALU_DEP_1) | instskip(NEXT) | instid1(VALU_DEP_1)
	v_add3_u32 v7, v38, v7, 0x80fffff
	v_lshrrev_b32_e32 v7, 21, v7
; %bb.4105:
	s_and_not1_saveexec_b32 s18, s18
; %bb.4106:
	v_add_f32_e64 v7, 0x43000000, |v38|
; %bb.4107:
	s_or_b32 exec_lo, exec_lo, s18
                                        ; implicit-def: $vgpr10
.LBB14_4108:
	s_and_not1_saveexec_b32 s17, s17
; %bb.4109:
	v_mov_b32_e32 v7, 0x7f
	v_cmp_lt_u32_e32 vcc_lo, 0x7f800000, v10
	s_delay_alu instid0(VALU_DEP_2)
	v_cndmask_b32_e32 v7, 0x7c, v7, vcc_lo
; %bb.4110:
	s_or_b32 exec_lo, exec_lo, s17
	v_lshrrev_b32_e32 v10, 24, v38
	s_delay_alu instid0(VALU_DEP_1)
	v_and_or_b32 v7, 0x80, v10, v7
	flat_store_b8 v[8:9], v7
.LBB14_4111:
	s_wait_xcnt 0x0
	s_or_b32 exec_lo, exec_lo, s16
	s_delay_alu instid0(SALU_CYCLE_1)
	s_or_b32 s16, s0, exec_lo
                                        ; implicit-def: $vgpr7
                                        ; implicit-def: $vgpr38
                                        ; implicit-def: $vgpr8_vgpr9
.LBB14_4112:
	s_or_saveexec_b32 s15, s15
	s_mov_b32 s17, s13
	s_xor_b32 exec_lo, exec_lo, s15
	s_cbranch_execz .LBB14_4122
; %bb.4113:
	s_mov_b32 s17, s16
	s_mov_b32 s18, s13
	s_mov_b32 s19, exec_lo
	v_cmpx_lt_i16_e32 14, v7
	s_xor_b32 s19, exec_lo, s19
	s_cbranch_execz .LBB14_4117
; %bb.4114:
	s_mov_b32 s20, -1
	s_mov_b32 s17, s16
	s_mov_b32 s18, exec_lo
	v_cmpx_eq_u16_e32 15, v7
	s_cbranch_execz .LBB14_4116
; %bb.4115:
	v_bfe_u32 v7, v38, 16, 1
	v_cmp_o_f32_e32 vcc_lo, v38, v38
	s_xor_b32 s20, exec_lo, -1
	s_or_b32 s17, s16, exec_lo
	s_delay_alu instid0(VALU_DEP_2) | instskip(NEXT) | instid1(VALU_DEP_1)
	v_add3_u32 v7, v38, v7, 0x7fff
	v_lshrrev_b32_e32 v7, 16, v7
	s_delay_alu instid0(VALU_DEP_1)
	v_cndmask_b32_e32 v7, 0x7fc0, v7, vcc_lo
	flat_store_b16 v[8:9], v7
.LBB14_4116:
	s_wait_xcnt 0x0
	s_or_b32 exec_lo, exec_lo, s18
	s_delay_alu instid0(SALU_CYCLE_1)
	s_and_not1_b32 s18, s13, exec_lo
	s_and_b32 s20, s20, exec_lo
	s_and_not1_b32 s21, s16, exec_lo
	s_and_b32 s17, s17, exec_lo
	s_or_b32 s18, s18, s20
	s_or_b32 s17, s21, s17
                                        ; implicit-def: $vgpr7
                                        ; implicit-def: $vgpr38
                                        ; implicit-def: $vgpr8_vgpr9
.LBB14_4117:
	s_and_not1_saveexec_b32 s19, s19
	s_cbranch_execz .LBB14_4121
; %bb.4118:
	s_mov_b32 s21, -1
	s_mov_b32 s20, s17
	s_mov_b32 s22, exec_lo
	v_cmpx_eq_u16_e32 11, v7
	s_cbranch_execz .LBB14_4120
; %bb.4119:
	v_cmp_neq_f32_e32 vcc_lo, 0, v38
	s_xor_b32 s21, exec_lo, -1
	s_or_b32 s20, s17, exec_lo
	v_cndmask_b32_e64 v7, 0, 1, vcc_lo
	flat_store_b8 v[8:9], v7
.LBB14_4120:
	s_wait_xcnt 0x0
	s_or_b32 exec_lo, exec_lo, s22
	s_delay_alu instid0(SALU_CYCLE_1)
	s_and_not1_b32 s18, s18, exec_lo
	s_and_b32 s21, s21, exec_lo
	s_and_not1_b32 s17, s17, exec_lo
	s_and_b32 s20, s20, exec_lo
	s_or_b32 s18, s18, s21
	s_or_b32 s17, s17, s20
.LBB14_4121:
	s_or_b32 exec_lo, exec_lo, s19
	s_delay_alu instid0(SALU_CYCLE_1)
	s_and_not1_b32 s19, s13, exec_lo
	s_and_b32 s18, s18, exec_lo
	s_and_not1_b32 s16, s16, exec_lo
	s_and_b32 s20, s17, exec_lo
	s_or_b32 s17, s19, s18
	s_or_b32 s16, s16, s20
.LBB14_4122:
	s_or_b32 exec_lo, exec_lo, s15
	s_delay_alu instid0(SALU_CYCLE_1)
	s_and_not1_b32 s13, s13, exec_lo
	s_and_b32 s15, s17, exec_lo
	s_and_not1_b32 s0, s0, exec_lo
	s_and_b32 s16, s16, exec_lo
	s_or_b32 s13, s13, s15
	s_or_b32 s0, s0, s16
.LBB14_4123:
	s_or_b32 exec_lo, exec_lo, s14
	s_delay_alu instid0(SALU_CYCLE_1)
	s_and_not1_b32 s14, s8, exec_lo
	s_and_b32 s13, s13, exec_lo
	s_and_b32 s0, s0, exec_lo
	s_or_b32 s13, s14, s13
                                        ; implicit-def: $vgpr7
                                        ; implicit-def: $vgpr38
                                        ; implicit-def: $vgpr8_vgpr9
.LBB14_4124:
	s_and_not1_saveexec_b32 s10, s10
	s_cbranch_execz .LBB14_4166
; %bb.4125:
	s_mov_b32 s14, exec_lo
	v_cmpx_lt_i16_e32 4, v7
	s_xor_b32 s14, exec_lo, s14
	s_cbranch_execz .LBB14_4147
; %bb.4126:
	s_mov_b32 s15, exec_lo
	v_cmpx_lt_i16_e32 7, v7
	s_xor_b32 s15, exec_lo, s15
	;; [unrolled: 5-line block ×4, first 2 shown]
	s_cbranch_execz .LBB14_4130
; %bb.4129:
	v_cvt_f64_f32_e32 v[100:101], v38
	v_mov_b32_e32 v102, 0
                                        ; implicit-def: $vgpr38
	s_delay_alu instid0(VALU_DEP_1)
	v_mov_b32_e32 v103, v102
	flat_store_b128 v[8:9], v[100:103]
                                        ; implicit-def: $vgpr8_vgpr9
.LBB14_4130:
	s_wait_xcnt 0x0
	s_and_not1_saveexec_b32 s17, s17
	s_cbranch_execz .LBB14_4132
; %bb.4131:
	v_mov_b32_e32 v39, 0
	flat_store_b64 v[8:9], v[38:39]
.LBB14_4132:
	s_wait_xcnt 0x0
	s_or_b32 exec_lo, exec_lo, s17
                                        ; implicit-def: $vgpr38
                                        ; implicit-def: $vgpr8_vgpr9
.LBB14_4133:
	s_and_not1_saveexec_b32 s16, s16
	s_cbranch_execz .LBB14_4135
; %bb.4134:
	v_cvt_f16_f32_e32 v7, v38
	s_delay_alu instid0(VALU_DEP_1)
	v_and_b32_e32 v7, 0xffff, v7
	flat_store_b32 v[8:9], v7
.LBB14_4135:
	s_wait_xcnt 0x0
	s_or_b32 exec_lo, exec_lo, s16
                                        ; implicit-def: $vgpr38
                                        ; implicit-def: $vgpr8_vgpr9
                                        ; implicit-def: $vgpr7
.LBB14_4136:
	s_and_not1_saveexec_b32 s15, s15
	s_cbranch_execz .LBB14_4146
; %bb.4137:
	s_mov_b32 s16, exec_lo
	v_cmpx_lt_i16_e32 5, v7
	s_xor_b32 s16, exec_lo, s16
	s_cbranch_execz .LBB14_4143
; %bb.4138:
	s_mov_b32 s17, exec_lo
	v_cmpx_lt_i16_e32 6, v7
	s_xor_b32 s17, exec_lo, s17
	s_cbranch_execz .LBB14_4140
; %bb.4139:
	v_cvt_f64_f32_e32 v[38:39], v38
	flat_store_b64 v[8:9], v[38:39]
                                        ; implicit-def: $vgpr8_vgpr9
                                        ; implicit-def: $vgpr38
.LBB14_4140:
	s_wait_xcnt 0x0
	s_and_not1_saveexec_b32 s17, s17
	s_cbranch_execz .LBB14_4142
; %bb.4141:
	flat_store_b32 v[8:9], v38
.LBB14_4142:
	s_wait_xcnt 0x0
	s_or_b32 exec_lo, exec_lo, s17
                                        ; implicit-def: $vgpr38
                                        ; implicit-def: $vgpr8_vgpr9
.LBB14_4143:
	s_and_not1_saveexec_b32 s16, s16
	s_cbranch_execz .LBB14_4145
; %bb.4144:
	v_cvt_f16_f32_e32 v7, v38
	flat_store_b16 v[8:9], v7
.LBB14_4145:
	s_wait_xcnt 0x0
	s_or_b32 exec_lo, exec_lo, s16
.LBB14_4146:
	s_delay_alu instid0(SALU_CYCLE_1)
	s_or_b32 exec_lo, exec_lo, s15
                                        ; implicit-def: $vgpr7
                                        ; implicit-def: $vgpr38
                                        ; implicit-def: $vgpr8_vgpr9
.LBB14_4147:
	s_and_not1_saveexec_b32 s14, s14
	s_cbranch_execz .LBB14_4165
; %bb.4148:
	s_mov_b32 s15, exec_lo
	v_cmpx_lt_i16_e32 1, v7
	s_xor_b32 s15, exec_lo, s15
	s_cbranch_execz .LBB14_4158
; %bb.4149:
	s_mov_b32 s16, exec_lo
	v_cmpx_lt_i16_e32 2, v7
	s_xor_b32 s16, exec_lo, s16
	;; [unrolled: 5-line block ×3, first 2 shown]
	s_cbranch_execz .LBB14_4152
; %bb.4151:
	v_trunc_f32_e32 v7, v38
	s_delay_alu instid0(VALU_DEP_1) | instskip(SKIP_1) | instid1(VALU_DEP_2)
	v_mul_f32_e64 v10, 0x2f800000, |v7|
	v_ashrrev_i32_e32 v38, 31, v7
	v_floor_f32_e32 v10, v10
	s_delay_alu instid0(VALU_DEP_1) | instskip(SKIP_1) | instid1(VALU_DEP_2)
	v_fma_f32 v39, 0xcf800000, v10, |v7|
	v_cvt_u32_f32_e32 v7, v10
	v_cvt_u32_f32_e32 v10, v39
	s_delay_alu instid0(VALU_DEP_2) | instskip(NEXT) | instid1(VALU_DEP_2)
	v_dual_mov_b32 v39, v38 :: v_dual_bitop2_b32 v101, v7, v38 bitop3:0x14
	v_xor_b32_e32 v100, v10, v38
	s_delay_alu instid0(VALU_DEP_1)
	v_sub_nc_u64_e32 v[38:39], v[100:101], v[38:39]
	flat_store_b64 v[8:9], v[38:39]
                                        ; implicit-def: $vgpr38
                                        ; implicit-def: $vgpr8_vgpr9
.LBB14_4152:
	s_wait_xcnt 0x0
	s_and_not1_saveexec_b32 s17, s17
	s_cbranch_execz .LBB14_4154
; %bb.4153:
	v_cvt_i32_f32_e32 v7, v38
	flat_store_b32 v[8:9], v7
.LBB14_4154:
	s_wait_xcnt 0x0
	s_or_b32 exec_lo, exec_lo, s17
                                        ; implicit-def: $vgpr38
                                        ; implicit-def: $vgpr8_vgpr9
.LBB14_4155:
	s_and_not1_saveexec_b32 s16, s16
	s_cbranch_execz .LBB14_4157
; %bb.4156:
	v_cvt_i32_f32_e32 v7, v38
	flat_store_b16 v[8:9], v7
.LBB14_4157:
	s_wait_xcnt 0x0
	s_or_b32 exec_lo, exec_lo, s16
                                        ; implicit-def: $vgpr38
                                        ; implicit-def: $vgpr8_vgpr9
                                        ; implicit-def: $vgpr7
.LBB14_4158:
	s_and_not1_saveexec_b32 s15, s15
	s_cbranch_execz .LBB14_4164
; %bb.4159:
	s_mov_b32 s16, exec_lo
	v_cmpx_lt_i16_e32 0, v7
	s_xor_b32 s16, exec_lo, s16
	s_cbranch_execz .LBB14_4161
; %bb.4160:
	v_cvt_i32_f32_e32 v7, v38
                                        ; implicit-def: $vgpr38
	flat_store_b8 v[8:9], v7
                                        ; implicit-def: $vgpr8_vgpr9
.LBB14_4161:
	s_wait_xcnt 0x0
	s_and_not1_saveexec_b32 s16, s16
	s_cbranch_execz .LBB14_4163
; %bb.4162:
	v_trunc_f32_e32 v7, v38
	s_delay_alu instid0(VALU_DEP_1) | instskip(NEXT) | instid1(VALU_DEP_1)
	v_mul_f32_e64 v10, 0x2f800000, |v7|
	v_floor_f32_e32 v10, v10
	s_delay_alu instid0(VALU_DEP_1) | instskip(SKIP_1) | instid1(VALU_DEP_2)
	v_fma_f32 v10, 0xcf800000, v10, |v7|
	v_ashrrev_i32_e32 v7, 31, v7
	v_cvt_u32_f32_e32 v10, v10
	s_delay_alu instid0(VALU_DEP_1) | instskip(NEXT) | instid1(VALU_DEP_1)
	v_xor_b32_e32 v10, v10, v7
	v_sub_nc_u32_e32 v7, v10, v7
	flat_store_b8 v[8:9], v7
.LBB14_4163:
	s_wait_xcnt 0x0
	s_or_b32 exec_lo, exec_lo, s16
.LBB14_4164:
	s_delay_alu instid0(SALU_CYCLE_1)
	s_or_b32 exec_lo, exec_lo, s15
.LBB14_4165:
	s_delay_alu instid0(SALU_CYCLE_1) | instskip(NEXT) | instid1(SALU_CYCLE_1)
	s_or_b32 exec_lo, exec_lo, s14
	s_or_b32 s0, s0, exec_lo
.LBB14_4166:
	s_or_b32 exec_lo, exec_lo, s10
	s_mov_b32 s14, 0
	s_mov_b32 s10, 0
	s_and_saveexec_b32 s15, s0
; %bb.4167:
	v_add_nc_u32_e32 v13, 0x200, v13
	s_mov_b32 s14, exec_lo
	s_delay_alu instid0(VALU_DEP_1)
	v_cmp_lt_i32_e32 vcc_lo, v13, v6
	s_and_b32 s10, vcc_lo, exec_lo
; %bb.4168:
	s_or_b32 exec_lo, exec_lo, s15
	s_delay_alu instid0(SALU_CYCLE_1)
	s_and_not1_b32 s15, s8, exec_lo
	s_and_b32 s13, s13, exec_lo
	s_and_b32 s0, s10, exec_lo
	s_or_b32 s10, s15, s13
	s_or_not1_b32 s14, s14, exec_lo
.LBB14_4169:
	s_or_b32 exec_lo, exec_lo, s11
	s_mov_b32 s13, 0
	s_mov_b32 s15, 0
                                        ; implicit-def: $vgpr8
                                        ; implicit-def: $vgpr7
                                        ; implicit-def: $vgpr38_vgpr39
	s_and_saveexec_b32 s11, s14
	s_cbranch_execz .LBB14_7761
; %bb.4170:
	s_mov_b32 s16, -1
	s_mov_b32 s14, 0
	s_mov_b32 s12, s10
	;; [unrolled: 1-line block ×3, first 2 shown]
	s_and_saveexec_b32 s13, s0
	s_cbranch_execz .LBB14_4298
; %bb.4171:
	v_dual_add_nc_u32 v7, s2, v13 :: v_dual_mov_b32 v9, 0
	s_wait_loadcnt 0xd
	v_mul_f32_e32 v10, v96, v97
	v_cmp_lt_f32_e32 vcc_lo, 0, v97
	s_mov_b32 s0, 0
	v_mul_lo_u32 v8, v7, v12
	v_and_b32_e32 v7, 0xff, v11
	s_mov_b32 s15, s10
	v_cndmask_b32_e32 v38, v10, v97, vcc_lo
	s_mov_b32 s12, exec_lo
	s_delay_alu instid0(VALU_DEP_3)
	v_add_nc_u64_e32 v[8:9], v[0:1], v[8:9]
	v_cmpx_lt_i16_e32 10, v7
	s_xor_b32 s12, exec_lo, s12
	s_cbranch_execz .LBB14_4253
; %bb.4172:
	s_mov_b32 s15, s10
	s_mov_b32 s16, exec_lo
	v_cmpx_lt_i16_e32 25, v7
	s_xor_b32 s16, exec_lo, s16
	s_cbranch_execz .LBB14_4208
; %bb.4173:
	s_mov_b32 s17, s10
	s_mov_b32 s15, exec_lo
	;; [unrolled: 6-line block ×3, first 2 shown]
	v_cmpx_lt_i16_e32 43, v7
	s_xor_b32 s17, exec_lo, s17
	s_cbranch_execz .LBB14_4186
; %bb.4175:
	s_mov_b32 s18, 0
	s_mov_b32 s19, s10
	s_mov_b32 s0, exec_lo
	v_cmpx_lt_i16_e32 45, v7
	s_xor_b32 s0, exec_lo, s0
	s_cbranch_execz .LBB14_4179
; %bb.4176:
	s_mov_b32 s20, -1
	s_mov_b32 s19, exec_lo
	v_cmpx_eq_u16_e32 46, v7
	s_cbranch_execz .LBB14_4178
; %bb.4177:
	v_bfe_u32 v7, v38, 16, 1
	v_cmp_o_f32_e32 vcc_lo, v38, v38
	s_mov_b32 s18, exec_lo
	s_xor_b32 s20, exec_lo, -1
	s_delay_alu instid0(VALU_DEP_2) | instskip(NEXT) | instid1(VALU_DEP_1)
	v_add3_u32 v7, v38, v7, 0x7fff
	v_lshrrev_b32_e32 v7, 16, v7
	s_delay_alu instid0(VALU_DEP_1)
	v_cndmask_b32_e32 v7, 0x7fc0, v7, vcc_lo
	flat_store_b32 v[8:9], v7
.LBB14_4178:
	s_wait_xcnt 0x0
	s_or_b32 exec_lo, exec_lo, s19
	s_delay_alu instid0(SALU_CYCLE_1)
	s_and_not1_b32 s19, s10, exec_lo
	s_and_b32 s20, s20, exec_lo
	s_and_b32 s18, s18, exec_lo
	s_or_b32 s19, s19, s20
                                        ; implicit-def: $vgpr7
                                        ; implicit-def: $vgpr8_vgpr9
                                        ; implicit-def: $vgpr38
.LBB14_4179:
	s_and_not1_saveexec_b32 s20, s0
	s_cbranch_execz .LBB14_4185
; %bb.4180:
	s_mov_b32 s22, -1
	s_mov_b32 s0, s18
	s_mov_b32 s21, exec_lo
	v_cmpx_eq_u16_e32 44, v7
	s_cbranch_execz .LBB14_4184
; %bb.4181:
	v_bfe_u32 v10, v38, 23, 8
	v_mov_b32_e32 v7, 0xff
	s_mov_b32 s22, exec_lo
	s_delay_alu instid0(VALU_DEP_2)
	v_cmpx_ne_u32_e32 0xff, v10
	s_cbranch_execz .LBB14_4183
; %bb.4182:
	v_and_b32_e32 v7, 0x400000, v38
	v_and_or_b32 v10, 0x3fffff, v38, v10
	s_delay_alu instid0(VALU_DEP_2) | instskip(NEXT) | instid1(VALU_DEP_2)
	v_cmp_ne_u32_e32 vcc_lo, 0, v7
	v_cmp_ne_u32_e64 s0, 0, v10
	v_lshrrev_b32_e32 v7, 23, v38
	s_and_b32 s0, vcc_lo, s0
	s_delay_alu instid0(SALU_CYCLE_1) | instskip(NEXT) | instid1(VALU_DEP_1)
	v_cndmask_b32_e64 v10, 0, 1, s0
	v_add_nc_u32_e32 v7, v7, v10
.LBB14_4183:
	s_or_b32 exec_lo, exec_lo, s22
	s_delay_alu instid0(SALU_CYCLE_1)
	s_xor_b32 s22, exec_lo, -1
	s_or_b32 s0, s18, exec_lo
	flat_store_b8 v[8:9], v7
.LBB14_4184:
	s_wait_xcnt 0x0
	s_or_b32 exec_lo, exec_lo, s21
	s_delay_alu instid0(SALU_CYCLE_1)
	s_and_not1_b32 s19, s19, exec_lo
	s_and_b32 s21, s22, exec_lo
	s_and_not1_b32 s18, s18, exec_lo
	s_and_b32 s0, s0, exec_lo
	s_or_b32 s19, s19, s21
	s_or_b32 s18, s18, s0
.LBB14_4185:
	s_or_b32 exec_lo, exec_lo, s20
	s_delay_alu instid0(SALU_CYCLE_1) | instskip(SKIP_1) | instid1(SALU_CYCLE_1)
	s_and_not1_b32 s0, s10, exec_lo
	s_and_b32 s19, s19, exec_lo
                                        ; implicit-def: $vgpr7
                                        ; implicit-def: $vgpr38
                                        ; implicit-def: $vgpr8_vgpr9
	s_or_b32 s19, s0, s19
	s_and_b32 s0, s18, exec_lo
.LBB14_4186:
	s_and_not1_saveexec_b32 s17, s17
	s_cbranch_execz .LBB14_4190
; %bb.4187:
	s_mov_b32 s21, -1
	s_mov_b32 s20, s0
	s_mov_b32 s18, exec_lo
	v_cmpx_eq_u16_e32 29, v7
	s_cbranch_execz .LBB14_4189
; %bb.4188:
	v_trunc_f32_e32 v7, v38
	s_xor_b32 s21, exec_lo, -1
	s_or_b32 s20, s0, exec_lo
	s_delay_alu instid0(VALU_DEP_1) | instskip(NEXT) | instid1(VALU_DEP_1)
	v_mul_f32_e32 v10, 0x2f800000, v7
	v_floor_f32_e32 v10, v10
	s_delay_alu instid0(VALU_DEP_1) | instskip(SKIP_1) | instid1(VALU_DEP_2)
	v_fmamk_f32 v7, v10, 0xcf800000, v7
	v_cvt_u32_f32_e32 v39, v10
	v_cvt_u32_f32_e32 v38, v7
	flat_store_b64 v[8:9], v[38:39]
.LBB14_4189:
	s_wait_xcnt 0x0
	s_or_b32 exec_lo, exec_lo, s18
	s_delay_alu instid0(SALU_CYCLE_1)
	s_and_not1_b32 s18, s19, exec_lo
	s_and_b32 s19, s21, exec_lo
	s_and_not1_b32 s0, s0, exec_lo
	s_and_b32 s20, s20, exec_lo
	s_or_b32 s19, s18, s19
	s_or_b32 s0, s0, s20
.LBB14_4190:
	s_or_b32 exec_lo, exec_lo, s17
	s_delay_alu instid0(SALU_CYCLE_1)
	s_and_not1_b32 s17, s10, exec_lo
	s_and_b32 s18, s19, exec_lo
	s_and_b32 s0, s0, exec_lo
	s_or_b32 s17, s17, s18
                                        ; implicit-def: $vgpr8_vgpr9
                                        ; implicit-def: $vgpr7
                                        ; implicit-def: $vgpr38
.LBB14_4191:
	s_and_not1_saveexec_b32 s15, s15
	s_cbranch_execz .LBB14_4207
; %bb.4192:
	s_mov_b32 s18, exec_lo
	v_cmpx_lt_i16_e32 26, v7
	s_xor_b32 s18, exec_lo, s18
	s_cbranch_execz .LBB14_4198
; %bb.4193:
	v_cmp_lt_i16_e32 vcc_lo, 27, v7
	v_cvt_u32_f32_e32 v7, v38
	s_and_saveexec_b32 s19, vcc_lo
	s_delay_alu instid0(SALU_CYCLE_1)
	s_xor_b32 s19, exec_lo, s19
	s_cbranch_execz .LBB14_4195
; %bb.4194:
	flat_store_b32 v[8:9], v7
                                        ; implicit-def: $vgpr8_vgpr9
                                        ; implicit-def: $vgpr7
.LBB14_4195:
	s_wait_xcnt 0x0
	s_and_not1_saveexec_b32 s19, s19
	s_cbranch_execz .LBB14_4197
; %bb.4196:
	flat_store_b16 v[8:9], v7
.LBB14_4197:
	s_wait_xcnt 0x0
	s_or_b32 exec_lo, exec_lo, s19
                                        ; implicit-def: $vgpr8_vgpr9
                                        ; implicit-def: $vgpr38
.LBB14_4198:
	s_and_not1_saveexec_b32 s18, s18
	s_cbranch_execz .LBB14_4206
; %bb.4199:
	v_and_b32_e32 v7, 0x7fffffff, v38
	v_mov_b32_e32 v10, 0x80
	s_mov_b32 s19, exec_lo
	s_delay_alu instid0(VALU_DEP_2)
	v_cmpx_gt_u32_e32 0x43800000, v7
	s_cbranch_execz .LBB14_4205
; %bb.4200:
	v_cmp_lt_u32_e32 vcc_lo, 0x3bffffff, v7
	s_mov_b32 s20, 0
                                        ; implicit-def: $vgpr7
	s_and_saveexec_b32 s21, vcc_lo
	s_delay_alu instid0(SALU_CYCLE_1)
	s_xor_b32 s21, exec_lo, s21
	s_cbranch_execnz .LBB14_7831
; %bb.4201:
	s_and_not1_saveexec_b32 s21, s21
	s_cbranch_execnz .LBB14_7832
.LBB14_4202:
	s_or_b32 exec_lo, exec_lo, s21
	v_mov_b32_e32 v10, 0
	s_and_saveexec_b32 s21, s20
.LBB14_4203:
	v_lshrrev_b32_e32 v10, 24, v38
	s_delay_alu instid0(VALU_DEP_1)
	v_and_or_b32 v10, 0x80, v10, v7
.LBB14_4204:
	s_or_b32 exec_lo, exec_lo, s21
.LBB14_4205:
	s_delay_alu instid0(SALU_CYCLE_1)
	s_or_b32 exec_lo, exec_lo, s19
	flat_store_b8 v[8:9], v10
.LBB14_4206:
	s_wait_xcnt 0x0
	s_or_b32 exec_lo, exec_lo, s18
	s_delay_alu instid0(SALU_CYCLE_1)
	s_or_b32 s0, s0, exec_lo
.LBB14_4207:
	s_or_b32 exec_lo, exec_lo, s15
	s_delay_alu instid0(SALU_CYCLE_1)
	s_and_not1_b32 s15, s10, exec_lo
	s_and_b32 s17, s17, exec_lo
	s_and_b32 s0, s0, exec_lo
	s_or_b32 s15, s15, s17
                                        ; implicit-def: $vgpr7
                                        ; implicit-def: $vgpr38
                                        ; implicit-def: $vgpr8_vgpr9
.LBB14_4208:
	s_and_not1_saveexec_b32 s16, s16
	s_cbranch_execz .LBB14_4252
; %bb.4209:
	s_mov_b32 s18, s0
	s_mov_b32 s17, exec_lo
	v_cmpx_lt_i16_e32 22, v7
	s_xor_b32 s17, exec_lo, s17
	s_cbranch_execz .LBB14_4241
; %bb.4210:
	s_mov_b32 s18, exec_lo
	v_cmpx_lt_i16_e32 23, v7
	s_xor_b32 s18, exec_lo, s18
	s_cbranch_execz .LBB14_4230
; %bb.4211:
	;; [unrolled: 5-line block ×3, first 2 shown]
	v_and_b32_e32 v7, 0x7fffffff, v38
	v_mov_b32_e32 v10, 0x80
	s_mov_b32 s20, exec_lo
	s_delay_alu instid0(VALU_DEP_2)
	v_cmpx_gt_u32_e32 0x47800000, v7
	s_cbranch_execz .LBB14_4218
; %bb.4213:
	v_cmp_lt_u32_e32 vcc_lo, 0x37ffffff, v7
	s_mov_b32 s21, 0
                                        ; implicit-def: $vgpr7
	s_and_saveexec_b32 s22, vcc_lo
	s_delay_alu instid0(SALU_CYCLE_1)
	s_xor_b32 s22, exec_lo, s22
	s_cbranch_execnz .LBB14_7833
; %bb.4214:
	s_and_not1_saveexec_b32 s22, s22
	s_cbranch_execnz .LBB14_7834
.LBB14_4215:
	s_or_b32 exec_lo, exec_lo, s22
	v_mov_b32_e32 v10, 0
	s_and_saveexec_b32 s22, s21
.LBB14_4216:
	v_lshrrev_b32_e32 v10, 24, v38
	s_delay_alu instid0(VALU_DEP_1)
	v_and_or_b32 v10, 0x80, v10, v7
.LBB14_4217:
	s_or_b32 exec_lo, exec_lo, s22
.LBB14_4218:
	s_delay_alu instid0(SALU_CYCLE_1)
	s_or_b32 exec_lo, exec_lo, s20
	flat_store_b8 v[8:9], v10
                                        ; implicit-def: $vgpr38
                                        ; implicit-def: $vgpr8_vgpr9
.LBB14_4219:
	s_wait_xcnt 0x0
	s_and_not1_saveexec_b32 s19, s19
	s_cbranch_execz .LBB14_4229
; %bb.4220:
	v_and_b32_e32 v10, 0x7fffffff, v38
	s_mov_b32 s20, exec_lo
                                        ; implicit-def: $vgpr7
	s_delay_alu instid0(VALU_DEP_1)
	v_cmpx_gt_u32_e32 0x43f00000, v10
	s_xor_b32 s20, exec_lo, s20
	s_cbranch_execz .LBB14_4226
; %bb.4221:
	s_mov_b32 s21, exec_lo
                                        ; implicit-def: $vgpr7
	v_cmpx_lt_u32_e32 0x3c7fffff, v10
	s_xor_b32 s21, exec_lo, s21
; %bb.4222:
	v_bfe_u32 v7, v38, 20, 1
	s_delay_alu instid0(VALU_DEP_1) | instskip(NEXT) | instid1(VALU_DEP_1)
	v_add3_u32 v7, v38, v7, 0x407ffff
	v_and_b32_e32 v10, 0xff00000, v7
	v_lshrrev_b32_e32 v7, 20, v7
	s_delay_alu instid0(VALU_DEP_2) | instskip(NEXT) | instid1(VALU_DEP_2)
	v_cmp_ne_u32_e32 vcc_lo, 0x7f00000, v10
	v_cndmask_b32_e32 v7, 0x7e, v7, vcc_lo
; %bb.4223:
	s_and_not1_saveexec_b32 s21, s21
; %bb.4224:
	v_add_f32_e64 v7, 0x46800000, |v38|
; %bb.4225:
	s_or_b32 exec_lo, exec_lo, s21
                                        ; implicit-def: $vgpr10
.LBB14_4226:
	s_and_not1_saveexec_b32 s20, s20
; %bb.4227:
	v_mov_b32_e32 v7, 0x7f
	v_cmp_lt_u32_e32 vcc_lo, 0x7f800000, v10
	s_delay_alu instid0(VALU_DEP_2)
	v_cndmask_b32_e32 v7, 0x7e, v7, vcc_lo
; %bb.4228:
	s_or_b32 exec_lo, exec_lo, s20
	v_lshrrev_b32_e32 v10, 24, v38
	s_delay_alu instid0(VALU_DEP_1)
	v_and_or_b32 v7, 0x80, v10, v7
	flat_store_b8 v[8:9], v7
.LBB14_4229:
	s_wait_xcnt 0x0
	s_or_b32 exec_lo, exec_lo, s19
                                        ; implicit-def: $vgpr38
                                        ; implicit-def: $vgpr8_vgpr9
.LBB14_4230:
	s_and_not1_saveexec_b32 s18, s18
	s_cbranch_execz .LBB14_4240
; %bb.4231:
	v_and_b32_e32 v10, 0x7fffffff, v38
	s_mov_b32 s19, exec_lo
                                        ; implicit-def: $vgpr7
	s_delay_alu instid0(VALU_DEP_1)
	v_cmpx_gt_u32_e32 0x47800000, v10
	s_xor_b32 s19, exec_lo, s19
	s_cbranch_execz .LBB14_4237
; %bb.4232:
	s_mov_b32 s20, exec_lo
                                        ; implicit-def: $vgpr7
	v_cmpx_lt_u32_e32 0x387fffff, v10
	s_xor_b32 s20, exec_lo, s20
; %bb.4233:
	v_bfe_u32 v7, v38, 21, 1
	s_delay_alu instid0(VALU_DEP_1) | instskip(NEXT) | instid1(VALU_DEP_1)
	v_add3_u32 v7, v38, v7, 0x80fffff
	v_lshrrev_b32_e32 v7, 21, v7
; %bb.4234:
	s_and_not1_saveexec_b32 s20, s20
; %bb.4235:
	v_add_f32_e64 v7, 0x43000000, |v38|
; %bb.4236:
	s_or_b32 exec_lo, exec_lo, s20
                                        ; implicit-def: $vgpr10
.LBB14_4237:
	s_and_not1_saveexec_b32 s19, s19
; %bb.4238:
	v_mov_b32_e32 v7, 0x7f
	v_cmp_lt_u32_e32 vcc_lo, 0x7f800000, v10
	s_delay_alu instid0(VALU_DEP_2)
	v_cndmask_b32_e32 v7, 0x7c, v7, vcc_lo
; %bb.4239:
	s_or_b32 exec_lo, exec_lo, s19
	v_lshrrev_b32_e32 v10, 24, v38
	s_delay_alu instid0(VALU_DEP_1)
	v_and_or_b32 v7, 0x80, v10, v7
	flat_store_b8 v[8:9], v7
.LBB14_4240:
	s_wait_xcnt 0x0
	s_or_b32 exec_lo, exec_lo, s18
	s_delay_alu instid0(SALU_CYCLE_1)
	s_or_b32 s18, s0, exec_lo
                                        ; implicit-def: $vgpr7
                                        ; implicit-def: $vgpr38
                                        ; implicit-def: $vgpr8_vgpr9
.LBB14_4241:
	s_or_saveexec_b32 s17, s17
	s_mov_b32 s19, s15
	s_xor_b32 exec_lo, exec_lo, s17
	s_cbranch_execz .LBB14_4251
; %bb.4242:
	s_mov_b32 s19, s18
	s_mov_b32 s20, s15
	s_mov_b32 s21, exec_lo
	v_cmpx_lt_i16_e32 14, v7
	s_xor_b32 s21, exec_lo, s21
	s_cbranch_execz .LBB14_4246
; %bb.4243:
	s_mov_b32 s22, -1
	s_mov_b32 s19, s18
	s_mov_b32 s20, exec_lo
	v_cmpx_eq_u16_e32 15, v7
	s_cbranch_execz .LBB14_4245
; %bb.4244:
	v_bfe_u32 v7, v38, 16, 1
	v_cmp_o_f32_e32 vcc_lo, v38, v38
	s_xor_b32 s22, exec_lo, -1
	s_or_b32 s19, s18, exec_lo
	s_delay_alu instid0(VALU_DEP_2) | instskip(NEXT) | instid1(VALU_DEP_1)
	v_add3_u32 v7, v38, v7, 0x7fff
	v_lshrrev_b32_e32 v7, 16, v7
	s_delay_alu instid0(VALU_DEP_1)
	v_cndmask_b32_e32 v7, 0x7fc0, v7, vcc_lo
	flat_store_b16 v[8:9], v7
.LBB14_4245:
	s_wait_xcnt 0x0
	s_or_b32 exec_lo, exec_lo, s20
	s_delay_alu instid0(SALU_CYCLE_1)
	s_and_not1_b32 s20, s15, exec_lo
	s_and_b32 s22, s22, exec_lo
	s_and_not1_b32 s23, s18, exec_lo
	s_and_b32 s19, s19, exec_lo
	s_or_b32 s20, s20, s22
	s_or_b32 s19, s23, s19
                                        ; implicit-def: $vgpr7
                                        ; implicit-def: $vgpr38
                                        ; implicit-def: $vgpr8_vgpr9
.LBB14_4246:
	s_and_not1_saveexec_b32 s21, s21
	s_cbranch_execz .LBB14_4250
; %bb.4247:
	s_mov_b32 s23, -1
	s_mov_b32 s22, s19
	s_mov_b32 s24, exec_lo
	v_cmpx_eq_u16_e32 11, v7
	s_cbranch_execz .LBB14_4249
; %bb.4248:
	v_cmp_neq_f32_e32 vcc_lo, 0, v38
	s_xor_b32 s23, exec_lo, -1
	s_or_b32 s22, s19, exec_lo
	v_cndmask_b32_e64 v7, 0, 1, vcc_lo
	flat_store_b8 v[8:9], v7
.LBB14_4249:
	s_wait_xcnt 0x0
	s_or_b32 exec_lo, exec_lo, s24
	s_delay_alu instid0(SALU_CYCLE_1)
	s_and_not1_b32 s20, s20, exec_lo
	s_and_b32 s23, s23, exec_lo
	s_and_not1_b32 s19, s19, exec_lo
	s_and_b32 s22, s22, exec_lo
	s_or_b32 s20, s20, s23
	s_or_b32 s19, s19, s22
.LBB14_4250:
	s_or_b32 exec_lo, exec_lo, s21
	s_delay_alu instid0(SALU_CYCLE_1)
	s_and_not1_b32 s21, s15, exec_lo
	s_and_b32 s20, s20, exec_lo
	s_and_not1_b32 s18, s18, exec_lo
	s_and_b32 s22, s19, exec_lo
	s_or_b32 s19, s21, s20
	s_or_b32 s18, s18, s22
.LBB14_4251:
	s_or_b32 exec_lo, exec_lo, s17
	s_delay_alu instid0(SALU_CYCLE_1)
	s_and_not1_b32 s15, s15, exec_lo
	s_and_b32 s17, s19, exec_lo
	s_and_not1_b32 s0, s0, exec_lo
	s_and_b32 s18, s18, exec_lo
	s_or_b32 s15, s15, s17
	s_or_b32 s0, s0, s18
.LBB14_4252:
	s_or_b32 exec_lo, exec_lo, s16
	s_delay_alu instid0(SALU_CYCLE_1)
	s_and_not1_b32 s16, s10, exec_lo
	s_and_b32 s15, s15, exec_lo
	s_and_b32 s0, s0, exec_lo
	s_or_b32 s15, s16, s15
                                        ; implicit-def: $vgpr7
                                        ; implicit-def: $vgpr38
                                        ; implicit-def: $vgpr8_vgpr9
.LBB14_4253:
	s_and_not1_saveexec_b32 s12, s12
	s_cbranch_execz .LBB14_4295
; %bb.4254:
	s_mov_b32 s16, exec_lo
	v_cmpx_lt_i16_e32 4, v7
	s_xor_b32 s16, exec_lo, s16
	s_cbranch_execz .LBB14_4276
; %bb.4255:
	s_mov_b32 s17, exec_lo
	v_cmpx_lt_i16_e32 7, v7
	s_xor_b32 s17, exec_lo, s17
	;; [unrolled: 5-line block ×4, first 2 shown]
	s_cbranch_execz .LBB14_4259
; %bb.4258:
	v_cvt_f64_f32_e32 v[100:101], v38
	v_mov_b32_e32 v102, 0
                                        ; implicit-def: $vgpr38
	s_delay_alu instid0(VALU_DEP_1)
	v_mov_b32_e32 v103, v102
	flat_store_b128 v[8:9], v[100:103]
                                        ; implicit-def: $vgpr8_vgpr9
.LBB14_4259:
	s_wait_xcnt 0x0
	s_and_not1_saveexec_b32 s19, s19
	s_cbranch_execz .LBB14_4261
; %bb.4260:
	v_mov_b32_e32 v39, 0
	flat_store_b64 v[8:9], v[38:39]
.LBB14_4261:
	s_wait_xcnt 0x0
	s_or_b32 exec_lo, exec_lo, s19
                                        ; implicit-def: $vgpr38
                                        ; implicit-def: $vgpr8_vgpr9
.LBB14_4262:
	s_and_not1_saveexec_b32 s18, s18
	s_cbranch_execz .LBB14_4264
; %bb.4263:
	v_cvt_f16_f32_e32 v7, v38
	s_delay_alu instid0(VALU_DEP_1)
	v_and_b32_e32 v7, 0xffff, v7
	flat_store_b32 v[8:9], v7
.LBB14_4264:
	s_wait_xcnt 0x0
	s_or_b32 exec_lo, exec_lo, s18
                                        ; implicit-def: $vgpr38
                                        ; implicit-def: $vgpr8_vgpr9
                                        ; implicit-def: $vgpr7
.LBB14_4265:
	s_and_not1_saveexec_b32 s17, s17
	s_cbranch_execz .LBB14_4275
; %bb.4266:
	s_mov_b32 s18, exec_lo
	v_cmpx_lt_i16_e32 5, v7
	s_xor_b32 s18, exec_lo, s18
	s_cbranch_execz .LBB14_4272
; %bb.4267:
	s_mov_b32 s19, exec_lo
	v_cmpx_lt_i16_e32 6, v7
	s_xor_b32 s19, exec_lo, s19
	s_cbranch_execz .LBB14_4269
; %bb.4268:
	v_cvt_f64_f32_e32 v[38:39], v38
	flat_store_b64 v[8:9], v[38:39]
                                        ; implicit-def: $vgpr8_vgpr9
                                        ; implicit-def: $vgpr38
.LBB14_4269:
	s_wait_xcnt 0x0
	s_and_not1_saveexec_b32 s19, s19
	s_cbranch_execz .LBB14_4271
; %bb.4270:
	flat_store_b32 v[8:9], v38
.LBB14_4271:
	s_wait_xcnt 0x0
	s_or_b32 exec_lo, exec_lo, s19
                                        ; implicit-def: $vgpr38
                                        ; implicit-def: $vgpr8_vgpr9
.LBB14_4272:
	s_and_not1_saveexec_b32 s18, s18
	s_cbranch_execz .LBB14_4274
; %bb.4273:
	v_cvt_f16_f32_e32 v7, v38
	flat_store_b16 v[8:9], v7
.LBB14_4274:
	s_wait_xcnt 0x0
	s_or_b32 exec_lo, exec_lo, s18
.LBB14_4275:
	s_delay_alu instid0(SALU_CYCLE_1)
	s_or_b32 exec_lo, exec_lo, s17
                                        ; implicit-def: $vgpr7
                                        ; implicit-def: $vgpr38
                                        ; implicit-def: $vgpr8_vgpr9
.LBB14_4276:
	s_and_not1_saveexec_b32 s16, s16
	s_cbranch_execz .LBB14_4294
; %bb.4277:
	s_mov_b32 s17, exec_lo
	v_cmpx_lt_i16_e32 1, v7
	s_xor_b32 s17, exec_lo, s17
	s_cbranch_execz .LBB14_4287
; %bb.4278:
	s_mov_b32 s18, exec_lo
	v_cmpx_lt_i16_e32 2, v7
	s_xor_b32 s18, exec_lo, s18
	;; [unrolled: 5-line block ×3, first 2 shown]
	s_cbranch_execz .LBB14_4281
; %bb.4280:
	v_trunc_f32_e32 v7, v38
	s_delay_alu instid0(VALU_DEP_1) | instskip(SKIP_1) | instid1(VALU_DEP_2)
	v_mul_f32_e64 v10, 0x2f800000, |v7|
	v_ashrrev_i32_e32 v38, 31, v7
	v_floor_f32_e32 v10, v10
	s_delay_alu instid0(VALU_DEP_1) | instskip(SKIP_1) | instid1(VALU_DEP_2)
	v_fma_f32 v39, 0xcf800000, v10, |v7|
	v_cvt_u32_f32_e32 v7, v10
	v_cvt_u32_f32_e32 v10, v39
	s_delay_alu instid0(VALU_DEP_2) | instskip(NEXT) | instid1(VALU_DEP_2)
	v_dual_mov_b32 v39, v38 :: v_dual_bitop2_b32 v97, v7, v38 bitop3:0x14
	v_xor_b32_e32 v96, v10, v38
	s_delay_alu instid0(VALU_DEP_1)
	v_sub_nc_u64_e32 v[38:39], v[96:97], v[38:39]
	flat_store_b64 v[8:9], v[38:39]
                                        ; implicit-def: $vgpr38
                                        ; implicit-def: $vgpr8_vgpr9
.LBB14_4281:
	s_wait_xcnt 0x0
	s_and_not1_saveexec_b32 s19, s19
	s_cbranch_execz .LBB14_4283
; %bb.4282:
	v_cvt_i32_f32_e32 v7, v38
	flat_store_b32 v[8:9], v7
.LBB14_4283:
	s_wait_xcnt 0x0
	s_or_b32 exec_lo, exec_lo, s19
                                        ; implicit-def: $vgpr38
                                        ; implicit-def: $vgpr8_vgpr9
.LBB14_4284:
	s_and_not1_saveexec_b32 s18, s18
	s_cbranch_execz .LBB14_4286
; %bb.4285:
	v_cvt_i32_f32_e32 v7, v38
	flat_store_b16 v[8:9], v7
.LBB14_4286:
	s_wait_xcnt 0x0
	s_or_b32 exec_lo, exec_lo, s18
                                        ; implicit-def: $vgpr38
                                        ; implicit-def: $vgpr8_vgpr9
                                        ; implicit-def: $vgpr7
.LBB14_4287:
	s_and_not1_saveexec_b32 s17, s17
	s_cbranch_execz .LBB14_4293
; %bb.4288:
	s_mov_b32 s18, exec_lo
	v_cmpx_lt_i16_e32 0, v7
	s_xor_b32 s18, exec_lo, s18
	s_cbranch_execz .LBB14_4290
; %bb.4289:
	v_cvt_i32_f32_e32 v7, v38
                                        ; implicit-def: $vgpr38
	flat_store_b8 v[8:9], v7
                                        ; implicit-def: $vgpr8_vgpr9
.LBB14_4290:
	s_wait_xcnt 0x0
	s_and_not1_saveexec_b32 s18, s18
	s_cbranch_execz .LBB14_4292
; %bb.4291:
	v_trunc_f32_e32 v7, v38
	s_delay_alu instid0(VALU_DEP_1) | instskip(NEXT) | instid1(VALU_DEP_1)
	v_mul_f32_e64 v10, 0x2f800000, |v7|
	v_floor_f32_e32 v10, v10
	s_delay_alu instid0(VALU_DEP_1) | instskip(SKIP_1) | instid1(VALU_DEP_2)
	v_fma_f32 v10, 0xcf800000, v10, |v7|
	v_ashrrev_i32_e32 v7, 31, v7
	v_cvt_u32_f32_e32 v10, v10
	s_delay_alu instid0(VALU_DEP_1) | instskip(NEXT) | instid1(VALU_DEP_1)
	v_xor_b32_e32 v10, v10, v7
	v_sub_nc_u32_e32 v7, v10, v7
	flat_store_b8 v[8:9], v7
.LBB14_4292:
	s_wait_xcnt 0x0
	s_or_b32 exec_lo, exec_lo, s18
.LBB14_4293:
	s_delay_alu instid0(SALU_CYCLE_1)
	s_or_b32 exec_lo, exec_lo, s17
.LBB14_4294:
	s_delay_alu instid0(SALU_CYCLE_1) | instskip(NEXT) | instid1(SALU_CYCLE_1)
	s_or_b32 exec_lo, exec_lo, s16
	s_or_b32 s0, s0, exec_lo
.LBB14_4295:
	s_or_b32 exec_lo, exec_lo, s12
	s_mov_b32 s16, 0
	s_mov_b32 s12, 0
	s_and_saveexec_b32 s17, s0
; %bb.4296:
	v_add_nc_u32_e32 v13, 0x200, v13
	s_mov_b32 s16, exec_lo
	s_delay_alu instid0(VALU_DEP_1)
	v_cmp_lt_i32_e32 vcc_lo, v13, v6
	s_and_b32 s12, vcc_lo, exec_lo
; %bb.4297:
	s_or_b32 exec_lo, exec_lo, s17
	s_delay_alu instid0(SALU_CYCLE_1)
	s_and_not1_b32 s0, s10, exec_lo
	s_and_b32 s15, s15, exec_lo
	s_and_b32 s17, s12, exec_lo
	s_or_b32 s12, s0, s15
	s_or_not1_b32 s16, s16, exec_lo
.LBB14_4298:
	s_or_b32 exec_lo, exec_lo, s13
	s_mov_b32 s0, 0
	s_mov_b32 s15, 0
                                        ; implicit-def: $vgpr8
                                        ; implicit-def: $vgpr7
                                        ; implicit-def: $vgpr38_vgpr39
	s_and_saveexec_b32 s13, s16
	s_cbranch_execz .LBB14_7760
; %bb.4299:
	s_mov_b32 s18, -1
	s_mov_b32 s16, 0
	s_mov_b32 s14, s12
	s_and_saveexec_b32 s15, s17
	s_cbranch_execz .LBB14_4427
; %bb.4300:
	v_dual_add_nc_u32 v7, s2, v13 :: v_dual_mov_b32 v9, 0
	s_wait_loadcnt 0xd
	v_mul_f32_e32 v10, v98, v99
	v_cmp_lt_f32_e32 vcc_lo, 0, v99
	s_mov_b32 s17, s12
	v_mul_lo_u32 v8, v7, v12
	v_and_b32_e32 v7, 0xff, v11
	s_mov_b32 s14, exec_lo
	v_cndmask_b32_e32 v38, v10, v99, vcc_lo
	s_delay_alu instid0(VALU_DEP_3) | instskip(NEXT) | instid1(VALU_DEP_3)
	v_add_nc_u64_e32 v[8:9], v[0:1], v[8:9]
	v_cmpx_lt_i16_e32 10, v7
	s_xor_b32 s14, exec_lo, s14
	s_cbranch_execz .LBB14_4382
; %bb.4301:
	s_mov_b32 s17, s12
	s_mov_b32 s18, exec_lo
	v_cmpx_lt_i16_e32 25, v7
	s_xor_b32 s18, exec_lo, s18
	s_cbranch_execz .LBB14_4337
; %bb.4302:
	s_mov_b32 s19, s12
	s_mov_b32 s17, exec_lo
	;; [unrolled: 6-line block ×3, first 2 shown]
	v_cmpx_lt_i16_e32 43, v7
	s_xor_b32 s19, exec_lo, s19
	s_cbranch_execz .LBB14_4315
; %bb.4304:
	s_mov_b32 s20, 0
	s_mov_b32 s21, s12
	s_mov_b32 s0, exec_lo
	v_cmpx_lt_i16_e32 45, v7
	s_xor_b32 s0, exec_lo, s0
	s_cbranch_execz .LBB14_4308
; %bb.4305:
	s_mov_b32 s22, -1
	s_mov_b32 s21, exec_lo
	v_cmpx_eq_u16_e32 46, v7
	s_cbranch_execz .LBB14_4307
; %bb.4306:
	v_bfe_u32 v7, v38, 16, 1
	v_cmp_o_f32_e32 vcc_lo, v38, v38
	s_mov_b32 s20, exec_lo
	s_xor_b32 s22, exec_lo, -1
	s_delay_alu instid0(VALU_DEP_2) | instskip(NEXT) | instid1(VALU_DEP_1)
	v_add3_u32 v7, v38, v7, 0x7fff
	v_lshrrev_b32_e32 v7, 16, v7
	s_delay_alu instid0(VALU_DEP_1)
	v_cndmask_b32_e32 v7, 0x7fc0, v7, vcc_lo
	flat_store_b32 v[8:9], v7
.LBB14_4307:
	s_wait_xcnt 0x0
	s_or_b32 exec_lo, exec_lo, s21
	s_delay_alu instid0(SALU_CYCLE_1)
	s_and_not1_b32 s21, s12, exec_lo
	s_and_b32 s22, s22, exec_lo
	s_and_b32 s20, s20, exec_lo
	s_or_b32 s21, s21, s22
                                        ; implicit-def: $vgpr7
                                        ; implicit-def: $vgpr8_vgpr9
                                        ; implicit-def: $vgpr38
.LBB14_4308:
	s_and_not1_saveexec_b32 s22, s0
	s_cbranch_execz .LBB14_4314
; %bb.4309:
	s_mov_b32 s24, -1
	s_mov_b32 s0, s20
	s_mov_b32 s23, exec_lo
	v_cmpx_eq_u16_e32 44, v7
	s_cbranch_execz .LBB14_4313
; %bb.4310:
	v_bfe_u32 v10, v38, 23, 8
	v_mov_b32_e32 v7, 0xff
	s_mov_b32 s24, exec_lo
	s_delay_alu instid0(VALU_DEP_2)
	v_cmpx_ne_u32_e32 0xff, v10
	s_cbranch_execz .LBB14_4312
; %bb.4311:
	v_and_b32_e32 v7, 0x400000, v38
	v_and_or_b32 v10, 0x3fffff, v38, v10
	s_delay_alu instid0(VALU_DEP_2) | instskip(NEXT) | instid1(VALU_DEP_2)
	v_cmp_ne_u32_e32 vcc_lo, 0, v7
	v_cmp_ne_u32_e64 s0, 0, v10
	v_lshrrev_b32_e32 v7, 23, v38
	s_and_b32 s0, vcc_lo, s0
	s_delay_alu instid0(SALU_CYCLE_1) | instskip(NEXT) | instid1(VALU_DEP_1)
	v_cndmask_b32_e64 v10, 0, 1, s0
	v_add_nc_u32_e32 v7, v7, v10
.LBB14_4312:
	s_or_b32 exec_lo, exec_lo, s24
	s_delay_alu instid0(SALU_CYCLE_1)
	s_xor_b32 s24, exec_lo, -1
	s_or_b32 s0, s20, exec_lo
	flat_store_b8 v[8:9], v7
.LBB14_4313:
	s_wait_xcnt 0x0
	s_or_b32 exec_lo, exec_lo, s23
	s_delay_alu instid0(SALU_CYCLE_1)
	s_and_not1_b32 s21, s21, exec_lo
	s_and_b32 s23, s24, exec_lo
	s_and_not1_b32 s20, s20, exec_lo
	s_and_b32 s0, s0, exec_lo
	s_or_b32 s21, s21, s23
	s_or_b32 s20, s20, s0
.LBB14_4314:
	s_or_b32 exec_lo, exec_lo, s22
	s_delay_alu instid0(SALU_CYCLE_1) | instskip(SKIP_1) | instid1(SALU_CYCLE_1)
	s_and_not1_b32 s0, s12, exec_lo
	s_and_b32 s21, s21, exec_lo
                                        ; implicit-def: $vgpr7
                                        ; implicit-def: $vgpr38
                                        ; implicit-def: $vgpr8_vgpr9
	s_or_b32 s21, s0, s21
	s_and_b32 s0, s20, exec_lo
.LBB14_4315:
	s_and_not1_saveexec_b32 s19, s19
	s_cbranch_execz .LBB14_4319
; %bb.4316:
	s_mov_b32 s23, -1
	s_mov_b32 s22, s0
	s_mov_b32 s20, exec_lo
	v_cmpx_eq_u16_e32 29, v7
	s_cbranch_execz .LBB14_4318
; %bb.4317:
	v_trunc_f32_e32 v7, v38
	s_xor_b32 s23, exec_lo, -1
	s_or_b32 s22, s0, exec_lo
	s_delay_alu instid0(VALU_DEP_1) | instskip(NEXT) | instid1(VALU_DEP_1)
	v_mul_f32_e32 v10, 0x2f800000, v7
	v_floor_f32_e32 v10, v10
	s_delay_alu instid0(VALU_DEP_1) | instskip(SKIP_1) | instid1(VALU_DEP_2)
	v_fmamk_f32 v7, v10, 0xcf800000, v7
	v_cvt_u32_f32_e32 v39, v10
	v_cvt_u32_f32_e32 v38, v7
	flat_store_b64 v[8:9], v[38:39]
.LBB14_4318:
	s_wait_xcnt 0x0
	s_or_b32 exec_lo, exec_lo, s20
	s_delay_alu instid0(SALU_CYCLE_1)
	s_and_not1_b32 s20, s21, exec_lo
	s_and_b32 s21, s23, exec_lo
	s_and_not1_b32 s0, s0, exec_lo
	s_and_b32 s22, s22, exec_lo
	s_or_b32 s21, s20, s21
	s_or_b32 s0, s0, s22
.LBB14_4319:
	s_or_b32 exec_lo, exec_lo, s19
	s_delay_alu instid0(SALU_CYCLE_1)
	s_and_not1_b32 s19, s12, exec_lo
	s_and_b32 s20, s21, exec_lo
	s_and_b32 s0, s0, exec_lo
	s_or_b32 s19, s19, s20
                                        ; implicit-def: $vgpr8_vgpr9
                                        ; implicit-def: $vgpr7
                                        ; implicit-def: $vgpr38
.LBB14_4320:
	s_and_not1_saveexec_b32 s17, s17
	s_cbranch_execz .LBB14_4336
; %bb.4321:
	s_mov_b32 s20, exec_lo
	v_cmpx_lt_i16_e32 26, v7
	s_xor_b32 s20, exec_lo, s20
	s_cbranch_execz .LBB14_4327
; %bb.4322:
	v_cmp_lt_i16_e32 vcc_lo, 27, v7
	v_cvt_u32_f32_e32 v7, v38
	s_and_saveexec_b32 s21, vcc_lo
	s_delay_alu instid0(SALU_CYCLE_1)
	s_xor_b32 s21, exec_lo, s21
	s_cbranch_execz .LBB14_4324
; %bb.4323:
	flat_store_b32 v[8:9], v7
                                        ; implicit-def: $vgpr8_vgpr9
                                        ; implicit-def: $vgpr7
.LBB14_4324:
	s_wait_xcnt 0x0
	s_and_not1_saveexec_b32 s21, s21
	s_cbranch_execz .LBB14_4326
; %bb.4325:
	flat_store_b16 v[8:9], v7
.LBB14_4326:
	s_wait_xcnt 0x0
	s_or_b32 exec_lo, exec_lo, s21
                                        ; implicit-def: $vgpr8_vgpr9
                                        ; implicit-def: $vgpr38
.LBB14_4327:
	s_and_not1_saveexec_b32 s20, s20
	s_cbranch_execz .LBB14_4335
; %bb.4328:
	v_and_b32_e32 v7, 0x7fffffff, v38
	v_mov_b32_e32 v10, 0x80
	s_mov_b32 s21, exec_lo
	s_delay_alu instid0(VALU_DEP_2)
	v_cmpx_gt_u32_e32 0x43800000, v7
	s_cbranch_execz .LBB14_4334
; %bb.4329:
	v_cmp_lt_u32_e32 vcc_lo, 0x3bffffff, v7
	s_mov_b32 s22, 0
                                        ; implicit-def: $vgpr7
	s_and_saveexec_b32 s23, vcc_lo
	s_delay_alu instid0(SALU_CYCLE_1)
	s_xor_b32 s23, exec_lo, s23
	s_cbranch_execnz .LBB14_7835
; %bb.4330:
	s_and_not1_saveexec_b32 s23, s23
	s_cbranch_execnz .LBB14_7836
.LBB14_4331:
	s_or_b32 exec_lo, exec_lo, s23
	v_mov_b32_e32 v10, 0
	s_and_saveexec_b32 s23, s22
.LBB14_4332:
	v_lshrrev_b32_e32 v10, 24, v38
	s_delay_alu instid0(VALU_DEP_1)
	v_and_or_b32 v10, 0x80, v10, v7
.LBB14_4333:
	s_or_b32 exec_lo, exec_lo, s23
.LBB14_4334:
	s_delay_alu instid0(SALU_CYCLE_1)
	s_or_b32 exec_lo, exec_lo, s21
	flat_store_b8 v[8:9], v10
.LBB14_4335:
	s_wait_xcnt 0x0
	s_or_b32 exec_lo, exec_lo, s20
	s_delay_alu instid0(SALU_CYCLE_1)
	s_or_b32 s0, s0, exec_lo
.LBB14_4336:
	s_or_b32 exec_lo, exec_lo, s17
	s_delay_alu instid0(SALU_CYCLE_1)
	s_and_not1_b32 s17, s12, exec_lo
	s_and_b32 s19, s19, exec_lo
	s_and_b32 s0, s0, exec_lo
	s_or_b32 s17, s17, s19
                                        ; implicit-def: $vgpr7
                                        ; implicit-def: $vgpr38
                                        ; implicit-def: $vgpr8_vgpr9
.LBB14_4337:
	s_and_not1_saveexec_b32 s18, s18
	s_cbranch_execz .LBB14_4381
; %bb.4338:
	s_mov_b32 s20, s0
	s_mov_b32 s19, exec_lo
	v_cmpx_lt_i16_e32 22, v7
	s_xor_b32 s19, exec_lo, s19
	s_cbranch_execz .LBB14_4370
; %bb.4339:
	s_mov_b32 s20, exec_lo
	v_cmpx_lt_i16_e32 23, v7
	s_xor_b32 s20, exec_lo, s20
	s_cbranch_execz .LBB14_4359
; %bb.4340:
	;; [unrolled: 5-line block ×3, first 2 shown]
	v_and_b32_e32 v7, 0x7fffffff, v38
	v_mov_b32_e32 v10, 0x80
	s_mov_b32 s22, exec_lo
	s_delay_alu instid0(VALU_DEP_2)
	v_cmpx_gt_u32_e32 0x47800000, v7
	s_cbranch_execz .LBB14_4347
; %bb.4342:
	v_cmp_lt_u32_e32 vcc_lo, 0x37ffffff, v7
	s_mov_b32 s23, 0
                                        ; implicit-def: $vgpr7
	s_and_saveexec_b32 s24, vcc_lo
	s_delay_alu instid0(SALU_CYCLE_1)
	s_xor_b32 s24, exec_lo, s24
	s_cbranch_execnz .LBB14_7837
; %bb.4343:
	s_and_not1_saveexec_b32 s24, s24
	s_cbranch_execnz .LBB14_7838
.LBB14_4344:
	s_or_b32 exec_lo, exec_lo, s24
	v_mov_b32_e32 v10, 0
	s_and_saveexec_b32 s24, s23
.LBB14_4345:
	v_lshrrev_b32_e32 v10, 24, v38
	s_delay_alu instid0(VALU_DEP_1)
	v_and_or_b32 v10, 0x80, v10, v7
.LBB14_4346:
	s_or_b32 exec_lo, exec_lo, s24
.LBB14_4347:
	s_delay_alu instid0(SALU_CYCLE_1)
	s_or_b32 exec_lo, exec_lo, s22
	flat_store_b8 v[8:9], v10
                                        ; implicit-def: $vgpr38
                                        ; implicit-def: $vgpr8_vgpr9
.LBB14_4348:
	s_wait_xcnt 0x0
	s_and_not1_saveexec_b32 s21, s21
	s_cbranch_execz .LBB14_4358
; %bb.4349:
	v_and_b32_e32 v10, 0x7fffffff, v38
	s_mov_b32 s22, exec_lo
                                        ; implicit-def: $vgpr7
	s_delay_alu instid0(VALU_DEP_1)
	v_cmpx_gt_u32_e32 0x43f00000, v10
	s_xor_b32 s22, exec_lo, s22
	s_cbranch_execz .LBB14_4355
; %bb.4350:
	s_mov_b32 s23, exec_lo
                                        ; implicit-def: $vgpr7
	v_cmpx_lt_u32_e32 0x3c7fffff, v10
	s_xor_b32 s23, exec_lo, s23
; %bb.4351:
	v_bfe_u32 v7, v38, 20, 1
	s_delay_alu instid0(VALU_DEP_1) | instskip(NEXT) | instid1(VALU_DEP_1)
	v_add3_u32 v7, v38, v7, 0x407ffff
	v_and_b32_e32 v10, 0xff00000, v7
	v_lshrrev_b32_e32 v7, 20, v7
	s_delay_alu instid0(VALU_DEP_2) | instskip(NEXT) | instid1(VALU_DEP_2)
	v_cmp_ne_u32_e32 vcc_lo, 0x7f00000, v10
	v_cndmask_b32_e32 v7, 0x7e, v7, vcc_lo
; %bb.4352:
	s_and_not1_saveexec_b32 s23, s23
; %bb.4353:
	v_add_f32_e64 v7, 0x46800000, |v38|
; %bb.4354:
	s_or_b32 exec_lo, exec_lo, s23
                                        ; implicit-def: $vgpr10
.LBB14_4355:
	s_and_not1_saveexec_b32 s22, s22
; %bb.4356:
	v_mov_b32_e32 v7, 0x7f
	v_cmp_lt_u32_e32 vcc_lo, 0x7f800000, v10
	s_delay_alu instid0(VALU_DEP_2)
	v_cndmask_b32_e32 v7, 0x7e, v7, vcc_lo
; %bb.4357:
	s_or_b32 exec_lo, exec_lo, s22
	v_lshrrev_b32_e32 v10, 24, v38
	s_delay_alu instid0(VALU_DEP_1)
	v_and_or_b32 v7, 0x80, v10, v7
	flat_store_b8 v[8:9], v7
.LBB14_4358:
	s_wait_xcnt 0x0
	s_or_b32 exec_lo, exec_lo, s21
                                        ; implicit-def: $vgpr38
                                        ; implicit-def: $vgpr8_vgpr9
.LBB14_4359:
	s_and_not1_saveexec_b32 s20, s20
	s_cbranch_execz .LBB14_4369
; %bb.4360:
	v_and_b32_e32 v10, 0x7fffffff, v38
	s_mov_b32 s21, exec_lo
                                        ; implicit-def: $vgpr7
	s_delay_alu instid0(VALU_DEP_1)
	v_cmpx_gt_u32_e32 0x47800000, v10
	s_xor_b32 s21, exec_lo, s21
	s_cbranch_execz .LBB14_4366
; %bb.4361:
	s_mov_b32 s22, exec_lo
                                        ; implicit-def: $vgpr7
	v_cmpx_lt_u32_e32 0x387fffff, v10
	s_xor_b32 s22, exec_lo, s22
; %bb.4362:
	v_bfe_u32 v7, v38, 21, 1
	s_delay_alu instid0(VALU_DEP_1) | instskip(NEXT) | instid1(VALU_DEP_1)
	v_add3_u32 v7, v38, v7, 0x80fffff
	v_lshrrev_b32_e32 v7, 21, v7
; %bb.4363:
	s_and_not1_saveexec_b32 s22, s22
; %bb.4364:
	v_add_f32_e64 v7, 0x43000000, |v38|
; %bb.4365:
	s_or_b32 exec_lo, exec_lo, s22
                                        ; implicit-def: $vgpr10
.LBB14_4366:
	s_and_not1_saveexec_b32 s21, s21
; %bb.4367:
	v_mov_b32_e32 v7, 0x7f
	v_cmp_lt_u32_e32 vcc_lo, 0x7f800000, v10
	s_delay_alu instid0(VALU_DEP_2)
	v_cndmask_b32_e32 v7, 0x7c, v7, vcc_lo
; %bb.4368:
	s_or_b32 exec_lo, exec_lo, s21
	v_lshrrev_b32_e32 v10, 24, v38
	s_delay_alu instid0(VALU_DEP_1)
	v_and_or_b32 v7, 0x80, v10, v7
	flat_store_b8 v[8:9], v7
.LBB14_4369:
	s_wait_xcnt 0x0
	s_or_b32 exec_lo, exec_lo, s20
	s_delay_alu instid0(SALU_CYCLE_1)
	s_or_b32 s20, s0, exec_lo
                                        ; implicit-def: $vgpr7
                                        ; implicit-def: $vgpr38
                                        ; implicit-def: $vgpr8_vgpr9
.LBB14_4370:
	s_or_saveexec_b32 s19, s19
	s_mov_b32 s21, s17
	s_xor_b32 exec_lo, exec_lo, s19
	s_cbranch_execz .LBB14_4380
; %bb.4371:
	s_mov_b32 s21, s20
	s_mov_b32 s22, s17
	s_mov_b32 s23, exec_lo
	v_cmpx_lt_i16_e32 14, v7
	s_xor_b32 s23, exec_lo, s23
	s_cbranch_execz .LBB14_4375
; %bb.4372:
	s_mov_b32 s24, -1
	s_mov_b32 s21, s20
	s_mov_b32 s22, exec_lo
	v_cmpx_eq_u16_e32 15, v7
	s_cbranch_execz .LBB14_4374
; %bb.4373:
	v_bfe_u32 v7, v38, 16, 1
	v_cmp_o_f32_e32 vcc_lo, v38, v38
	s_xor_b32 s24, exec_lo, -1
	s_or_b32 s21, s20, exec_lo
	s_delay_alu instid0(VALU_DEP_2) | instskip(NEXT) | instid1(VALU_DEP_1)
	v_add3_u32 v7, v38, v7, 0x7fff
	v_lshrrev_b32_e32 v7, 16, v7
	s_delay_alu instid0(VALU_DEP_1)
	v_cndmask_b32_e32 v7, 0x7fc0, v7, vcc_lo
	flat_store_b16 v[8:9], v7
.LBB14_4374:
	s_wait_xcnt 0x0
	s_or_b32 exec_lo, exec_lo, s22
	s_delay_alu instid0(SALU_CYCLE_1)
	s_and_not1_b32 s22, s17, exec_lo
	s_and_b32 s24, s24, exec_lo
	s_and_not1_b32 s25, s20, exec_lo
	s_and_b32 s21, s21, exec_lo
	s_or_b32 s22, s22, s24
	s_or_b32 s21, s25, s21
                                        ; implicit-def: $vgpr7
                                        ; implicit-def: $vgpr38
                                        ; implicit-def: $vgpr8_vgpr9
.LBB14_4375:
	s_and_not1_saveexec_b32 s23, s23
	s_cbranch_execz .LBB14_4379
; %bb.4376:
	s_mov_b32 s25, -1
	s_mov_b32 s24, s21
	s_mov_b32 s26, exec_lo
	v_cmpx_eq_u16_e32 11, v7
	s_cbranch_execz .LBB14_4378
; %bb.4377:
	v_cmp_neq_f32_e32 vcc_lo, 0, v38
	s_xor_b32 s25, exec_lo, -1
	s_or_b32 s24, s21, exec_lo
	v_cndmask_b32_e64 v7, 0, 1, vcc_lo
	flat_store_b8 v[8:9], v7
.LBB14_4378:
	s_wait_xcnt 0x0
	s_or_b32 exec_lo, exec_lo, s26
	s_delay_alu instid0(SALU_CYCLE_1)
	s_and_not1_b32 s22, s22, exec_lo
	s_and_b32 s25, s25, exec_lo
	s_and_not1_b32 s21, s21, exec_lo
	s_and_b32 s24, s24, exec_lo
	s_or_b32 s22, s22, s25
	s_or_b32 s21, s21, s24
.LBB14_4379:
	s_or_b32 exec_lo, exec_lo, s23
	s_delay_alu instid0(SALU_CYCLE_1)
	s_and_not1_b32 s23, s17, exec_lo
	s_and_b32 s22, s22, exec_lo
	s_and_not1_b32 s20, s20, exec_lo
	s_and_b32 s24, s21, exec_lo
	s_or_b32 s21, s23, s22
	s_or_b32 s20, s20, s24
.LBB14_4380:
	s_or_b32 exec_lo, exec_lo, s19
	s_delay_alu instid0(SALU_CYCLE_1)
	s_and_not1_b32 s17, s17, exec_lo
	s_and_b32 s19, s21, exec_lo
	s_and_not1_b32 s0, s0, exec_lo
	s_and_b32 s20, s20, exec_lo
	s_or_b32 s17, s17, s19
	s_or_b32 s0, s0, s20
.LBB14_4381:
	s_or_b32 exec_lo, exec_lo, s18
	s_delay_alu instid0(SALU_CYCLE_1)
	s_and_not1_b32 s18, s12, exec_lo
	s_and_b32 s17, s17, exec_lo
	s_and_b32 s0, s0, exec_lo
	s_or_b32 s17, s18, s17
                                        ; implicit-def: $vgpr7
                                        ; implicit-def: $vgpr38
                                        ; implicit-def: $vgpr8_vgpr9
.LBB14_4382:
	s_and_not1_saveexec_b32 s14, s14
	s_cbranch_execz .LBB14_4424
; %bb.4383:
	s_mov_b32 s18, exec_lo
	v_cmpx_lt_i16_e32 4, v7
	s_xor_b32 s18, exec_lo, s18
	s_cbranch_execz .LBB14_4405
; %bb.4384:
	s_mov_b32 s19, exec_lo
	v_cmpx_lt_i16_e32 7, v7
	s_xor_b32 s19, exec_lo, s19
	;; [unrolled: 5-line block ×4, first 2 shown]
	s_cbranch_execz .LBB14_4388
; %bb.4387:
	v_cvt_f64_f32_e32 v[96:97], v38
	v_mov_b32_e32 v98, 0
                                        ; implicit-def: $vgpr38
	s_delay_alu instid0(VALU_DEP_1)
	v_mov_b32_e32 v99, v98
	flat_store_b128 v[8:9], v[96:99]
                                        ; implicit-def: $vgpr8_vgpr9
.LBB14_4388:
	s_wait_xcnt 0x0
	s_and_not1_saveexec_b32 s21, s21
	s_cbranch_execz .LBB14_4390
; %bb.4389:
	v_mov_b32_e32 v39, 0
	flat_store_b64 v[8:9], v[38:39]
.LBB14_4390:
	s_wait_xcnt 0x0
	s_or_b32 exec_lo, exec_lo, s21
                                        ; implicit-def: $vgpr38
                                        ; implicit-def: $vgpr8_vgpr9
.LBB14_4391:
	s_and_not1_saveexec_b32 s20, s20
	s_cbranch_execz .LBB14_4393
; %bb.4392:
	v_cvt_f16_f32_e32 v7, v38
	s_delay_alu instid0(VALU_DEP_1)
	v_and_b32_e32 v7, 0xffff, v7
	flat_store_b32 v[8:9], v7
.LBB14_4393:
	s_wait_xcnt 0x0
	s_or_b32 exec_lo, exec_lo, s20
                                        ; implicit-def: $vgpr38
                                        ; implicit-def: $vgpr8_vgpr9
                                        ; implicit-def: $vgpr7
.LBB14_4394:
	s_and_not1_saveexec_b32 s19, s19
	s_cbranch_execz .LBB14_4404
; %bb.4395:
	s_mov_b32 s20, exec_lo
	v_cmpx_lt_i16_e32 5, v7
	s_xor_b32 s20, exec_lo, s20
	s_cbranch_execz .LBB14_4401
; %bb.4396:
	s_mov_b32 s21, exec_lo
	v_cmpx_lt_i16_e32 6, v7
	s_xor_b32 s21, exec_lo, s21
	s_cbranch_execz .LBB14_4398
; %bb.4397:
	v_cvt_f64_f32_e32 v[38:39], v38
	flat_store_b64 v[8:9], v[38:39]
                                        ; implicit-def: $vgpr8_vgpr9
                                        ; implicit-def: $vgpr38
.LBB14_4398:
	s_wait_xcnt 0x0
	s_and_not1_saveexec_b32 s21, s21
	s_cbranch_execz .LBB14_4400
; %bb.4399:
	flat_store_b32 v[8:9], v38
.LBB14_4400:
	s_wait_xcnt 0x0
	s_or_b32 exec_lo, exec_lo, s21
                                        ; implicit-def: $vgpr38
                                        ; implicit-def: $vgpr8_vgpr9
.LBB14_4401:
	s_and_not1_saveexec_b32 s20, s20
	s_cbranch_execz .LBB14_4403
; %bb.4402:
	v_cvt_f16_f32_e32 v7, v38
	flat_store_b16 v[8:9], v7
.LBB14_4403:
	s_wait_xcnt 0x0
	s_or_b32 exec_lo, exec_lo, s20
.LBB14_4404:
	s_delay_alu instid0(SALU_CYCLE_1)
	s_or_b32 exec_lo, exec_lo, s19
                                        ; implicit-def: $vgpr7
                                        ; implicit-def: $vgpr38
                                        ; implicit-def: $vgpr8_vgpr9
.LBB14_4405:
	s_and_not1_saveexec_b32 s18, s18
	s_cbranch_execz .LBB14_4423
; %bb.4406:
	s_mov_b32 s19, exec_lo
	v_cmpx_lt_i16_e32 1, v7
	s_xor_b32 s19, exec_lo, s19
	s_cbranch_execz .LBB14_4416
; %bb.4407:
	s_mov_b32 s20, exec_lo
	v_cmpx_lt_i16_e32 2, v7
	s_xor_b32 s20, exec_lo, s20
	;; [unrolled: 5-line block ×3, first 2 shown]
	s_cbranch_execz .LBB14_4410
; %bb.4409:
	v_trunc_f32_e32 v7, v38
	s_delay_alu instid0(VALU_DEP_1) | instskip(SKIP_1) | instid1(VALU_DEP_2)
	v_mul_f32_e64 v10, 0x2f800000, |v7|
	v_ashrrev_i32_e32 v38, 31, v7
	v_floor_f32_e32 v10, v10
	s_delay_alu instid0(VALU_DEP_1) | instskip(SKIP_1) | instid1(VALU_DEP_2)
	v_fma_f32 v39, 0xcf800000, v10, |v7|
	v_cvt_u32_f32_e32 v7, v10
	v_cvt_u32_f32_e32 v10, v39
	s_delay_alu instid0(VALU_DEP_2) | instskip(NEXT) | instid1(VALU_DEP_2)
	v_dual_mov_b32 v39, v38 :: v_dual_bitop2_b32 v97, v7, v38 bitop3:0x14
	v_xor_b32_e32 v96, v10, v38
	s_delay_alu instid0(VALU_DEP_1)
	v_sub_nc_u64_e32 v[38:39], v[96:97], v[38:39]
	flat_store_b64 v[8:9], v[38:39]
                                        ; implicit-def: $vgpr38
                                        ; implicit-def: $vgpr8_vgpr9
.LBB14_4410:
	s_wait_xcnt 0x0
	s_and_not1_saveexec_b32 s21, s21
	s_cbranch_execz .LBB14_4412
; %bb.4411:
	v_cvt_i32_f32_e32 v7, v38
	flat_store_b32 v[8:9], v7
.LBB14_4412:
	s_wait_xcnt 0x0
	s_or_b32 exec_lo, exec_lo, s21
                                        ; implicit-def: $vgpr38
                                        ; implicit-def: $vgpr8_vgpr9
.LBB14_4413:
	s_and_not1_saveexec_b32 s20, s20
	s_cbranch_execz .LBB14_4415
; %bb.4414:
	v_cvt_i32_f32_e32 v7, v38
	flat_store_b16 v[8:9], v7
.LBB14_4415:
	s_wait_xcnt 0x0
	s_or_b32 exec_lo, exec_lo, s20
                                        ; implicit-def: $vgpr38
                                        ; implicit-def: $vgpr8_vgpr9
                                        ; implicit-def: $vgpr7
.LBB14_4416:
	s_and_not1_saveexec_b32 s19, s19
	s_cbranch_execz .LBB14_4422
; %bb.4417:
	s_mov_b32 s20, exec_lo
	v_cmpx_lt_i16_e32 0, v7
	s_xor_b32 s20, exec_lo, s20
	s_cbranch_execz .LBB14_4419
; %bb.4418:
	v_cvt_i32_f32_e32 v7, v38
                                        ; implicit-def: $vgpr38
	flat_store_b8 v[8:9], v7
                                        ; implicit-def: $vgpr8_vgpr9
.LBB14_4419:
	s_wait_xcnt 0x0
	s_and_not1_saveexec_b32 s20, s20
	s_cbranch_execz .LBB14_4421
; %bb.4420:
	v_trunc_f32_e32 v7, v38
	s_delay_alu instid0(VALU_DEP_1) | instskip(NEXT) | instid1(VALU_DEP_1)
	v_mul_f32_e64 v10, 0x2f800000, |v7|
	v_floor_f32_e32 v10, v10
	s_delay_alu instid0(VALU_DEP_1) | instskip(SKIP_1) | instid1(VALU_DEP_2)
	v_fma_f32 v10, 0xcf800000, v10, |v7|
	v_ashrrev_i32_e32 v7, 31, v7
	v_cvt_u32_f32_e32 v10, v10
	s_delay_alu instid0(VALU_DEP_1) | instskip(NEXT) | instid1(VALU_DEP_1)
	v_xor_b32_e32 v10, v10, v7
	v_sub_nc_u32_e32 v7, v10, v7
	flat_store_b8 v[8:9], v7
.LBB14_4421:
	s_wait_xcnt 0x0
	s_or_b32 exec_lo, exec_lo, s20
.LBB14_4422:
	s_delay_alu instid0(SALU_CYCLE_1)
	s_or_b32 exec_lo, exec_lo, s19
.LBB14_4423:
	s_delay_alu instid0(SALU_CYCLE_1) | instskip(NEXT) | instid1(SALU_CYCLE_1)
	s_or_b32 exec_lo, exec_lo, s18
	s_or_b32 s0, s0, exec_lo
.LBB14_4424:
	s_or_b32 exec_lo, exec_lo, s14
	s_mov_b32 s18, 0
	s_mov_b32 s14, 0
	s_and_saveexec_b32 s19, s0
; %bb.4425:
	v_add_nc_u32_e32 v13, 0x200, v13
	s_mov_b32 s18, exec_lo
	s_delay_alu instid0(VALU_DEP_1)
	v_cmp_lt_i32_e32 vcc_lo, v13, v6
	s_and_b32 s14, vcc_lo, exec_lo
; %bb.4426:
	s_or_b32 exec_lo, exec_lo, s19
	s_delay_alu instid0(SALU_CYCLE_1)
	s_and_not1_b32 s19, s12, exec_lo
	s_and_b32 s17, s17, exec_lo
	s_and_b32 s0, s14, exec_lo
	s_or_b32 s14, s19, s17
	s_or_not1_b32 s18, s18, exec_lo
.LBB14_4427:
	s_or_b32 exec_lo, exec_lo, s15
	s_mov_b32 s17, 0
	s_mov_b32 s19, 0
                                        ; implicit-def: $vgpr8
                                        ; implicit-def: $vgpr7
                                        ; implicit-def: $vgpr38_vgpr39
	s_and_saveexec_b32 s15, s18
	s_cbranch_execz .LBB14_7759
; %bb.4428:
	s_mov_b32 s20, -1
	s_mov_b32 s18, 0
	s_mov_b32 s16, s14
	;; [unrolled: 1-line block ×3, first 2 shown]
	s_and_saveexec_b32 s17, s0
	s_cbranch_execz .LBB14_4556
; %bb.4429:
	v_dual_add_nc_u32 v7, s2, v13 :: v_dual_mov_b32 v9, 0
	s_wait_loadcnt 0xc
	v_mul_f32_e32 v10, v84, v85
	v_cmp_lt_f32_e32 vcc_lo, 0, v85
	s_mov_b32 s0, 0
	v_mul_lo_u32 v8, v7, v12
	v_and_b32_e32 v7, 0xff, v11
	s_mov_b32 s19, s14
	v_cndmask_b32_e32 v38, v10, v85, vcc_lo
	s_mov_b32 s16, exec_lo
	s_delay_alu instid0(VALU_DEP_3)
	v_add_nc_u64_e32 v[8:9], v[0:1], v[8:9]
	v_cmpx_lt_i16_e32 10, v7
	s_xor_b32 s16, exec_lo, s16
	s_cbranch_execz .LBB14_4511
; %bb.4430:
	s_mov_b32 s19, s14
	s_mov_b32 s20, exec_lo
	v_cmpx_lt_i16_e32 25, v7
	s_xor_b32 s20, exec_lo, s20
	s_cbranch_execz .LBB14_4466
; %bb.4431:
	s_mov_b32 s21, s14
	s_mov_b32 s19, exec_lo
	;; [unrolled: 6-line block ×3, first 2 shown]
	v_cmpx_lt_i16_e32 43, v7
	s_xor_b32 s21, exec_lo, s21
	s_cbranch_execz .LBB14_4444
; %bb.4433:
	s_mov_b32 s22, 0
	s_mov_b32 s23, s14
	s_mov_b32 s0, exec_lo
	v_cmpx_lt_i16_e32 45, v7
	s_xor_b32 s0, exec_lo, s0
	s_cbranch_execz .LBB14_4437
; %bb.4434:
	s_mov_b32 s24, -1
	s_mov_b32 s23, exec_lo
	v_cmpx_eq_u16_e32 46, v7
	s_cbranch_execz .LBB14_4436
; %bb.4435:
	v_bfe_u32 v7, v38, 16, 1
	v_cmp_o_f32_e32 vcc_lo, v38, v38
	s_mov_b32 s22, exec_lo
	s_xor_b32 s24, exec_lo, -1
	s_delay_alu instid0(VALU_DEP_2) | instskip(NEXT) | instid1(VALU_DEP_1)
	v_add3_u32 v7, v38, v7, 0x7fff
	v_lshrrev_b32_e32 v7, 16, v7
	s_delay_alu instid0(VALU_DEP_1)
	v_cndmask_b32_e32 v7, 0x7fc0, v7, vcc_lo
	flat_store_b32 v[8:9], v7
.LBB14_4436:
	s_wait_xcnt 0x0
	s_or_b32 exec_lo, exec_lo, s23
	s_delay_alu instid0(SALU_CYCLE_1)
	s_and_not1_b32 s23, s14, exec_lo
	s_and_b32 s24, s24, exec_lo
	s_and_b32 s22, s22, exec_lo
	s_or_b32 s23, s23, s24
                                        ; implicit-def: $vgpr7
                                        ; implicit-def: $vgpr8_vgpr9
                                        ; implicit-def: $vgpr38
.LBB14_4437:
	s_and_not1_saveexec_b32 s24, s0
	s_cbranch_execz .LBB14_4443
; %bb.4438:
	s_mov_b32 s26, -1
	s_mov_b32 s0, s22
	s_mov_b32 s25, exec_lo
	v_cmpx_eq_u16_e32 44, v7
	s_cbranch_execz .LBB14_4442
; %bb.4439:
	v_bfe_u32 v10, v38, 23, 8
	v_mov_b32_e32 v7, 0xff
	s_mov_b32 s26, exec_lo
	s_delay_alu instid0(VALU_DEP_2)
	v_cmpx_ne_u32_e32 0xff, v10
	s_cbranch_execz .LBB14_4441
; %bb.4440:
	v_and_b32_e32 v7, 0x400000, v38
	v_and_or_b32 v10, 0x3fffff, v38, v10
	s_delay_alu instid0(VALU_DEP_2) | instskip(NEXT) | instid1(VALU_DEP_2)
	v_cmp_ne_u32_e32 vcc_lo, 0, v7
	v_cmp_ne_u32_e64 s0, 0, v10
	v_lshrrev_b32_e32 v7, 23, v38
	s_and_b32 s0, vcc_lo, s0
	s_delay_alu instid0(SALU_CYCLE_1) | instskip(NEXT) | instid1(VALU_DEP_1)
	v_cndmask_b32_e64 v10, 0, 1, s0
	v_add_nc_u32_e32 v7, v7, v10
.LBB14_4441:
	s_or_b32 exec_lo, exec_lo, s26
	s_delay_alu instid0(SALU_CYCLE_1)
	s_xor_b32 s26, exec_lo, -1
	s_or_b32 s0, s22, exec_lo
	flat_store_b8 v[8:9], v7
.LBB14_4442:
	s_wait_xcnt 0x0
	s_or_b32 exec_lo, exec_lo, s25
	s_delay_alu instid0(SALU_CYCLE_1)
	s_and_not1_b32 s23, s23, exec_lo
	s_and_b32 s25, s26, exec_lo
	s_and_not1_b32 s22, s22, exec_lo
	s_and_b32 s0, s0, exec_lo
	s_or_b32 s23, s23, s25
	s_or_b32 s22, s22, s0
.LBB14_4443:
	s_or_b32 exec_lo, exec_lo, s24
	s_delay_alu instid0(SALU_CYCLE_1) | instskip(SKIP_1) | instid1(SALU_CYCLE_1)
	s_and_not1_b32 s0, s14, exec_lo
	s_and_b32 s23, s23, exec_lo
                                        ; implicit-def: $vgpr7
                                        ; implicit-def: $vgpr38
                                        ; implicit-def: $vgpr8_vgpr9
	s_or_b32 s23, s0, s23
	s_and_b32 s0, s22, exec_lo
.LBB14_4444:
	s_and_not1_saveexec_b32 s21, s21
	s_cbranch_execz .LBB14_4448
; %bb.4445:
	s_mov_b32 s25, -1
	s_mov_b32 s24, s0
	s_mov_b32 s22, exec_lo
	v_cmpx_eq_u16_e32 29, v7
	s_cbranch_execz .LBB14_4447
; %bb.4446:
	v_trunc_f32_e32 v7, v38
	s_xor_b32 s25, exec_lo, -1
	s_or_b32 s24, s0, exec_lo
	s_delay_alu instid0(VALU_DEP_1) | instskip(NEXT) | instid1(VALU_DEP_1)
	v_mul_f32_e32 v10, 0x2f800000, v7
	v_floor_f32_e32 v10, v10
	s_delay_alu instid0(VALU_DEP_1) | instskip(SKIP_1) | instid1(VALU_DEP_2)
	v_fmamk_f32 v7, v10, 0xcf800000, v7
	v_cvt_u32_f32_e32 v39, v10
	v_cvt_u32_f32_e32 v38, v7
	flat_store_b64 v[8:9], v[38:39]
.LBB14_4447:
	s_wait_xcnt 0x0
	s_or_b32 exec_lo, exec_lo, s22
	s_delay_alu instid0(SALU_CYCLE_1)
	s_and_not1_b32 s22, s23, exec_lo
	s_and_b32 s23, s25, exec_lo
	s_and_not1_b32 s0, s0, exec_lo
	s_and_b32 s24, s24, exec_lo
	s_or_b32 s23, s22, s23
	s_or_b32 s0, s0, s24
.LBB14_4448:
	s_or_b32 exec_lo, exec_lo, s21
	s_delay_alu instid0(SALU_CYCLE_1)
	s_and_not1_b32 s21, s14, exec_lo
	s_and_b32 s22, s23, exec_lo
	s_and_b32 s0, s0, exec_lo
	s_or_b32 s21, s21, s22
                                        ; implicit-def: $vgpr8_vgpr9
                                        ; implicit-def: $vgpr7
                                        ; implicit-def: $vgpr38
.LBB14_4449:
	s_and_not1_saveexec_b32 s19, s19
	s_cbranch_execz .LBB14_4465
; %bb.4450:
	s_mov_b32 s22, exec_lo
	v_cmpx_lt_i16_e32 26, v7
	s_xor_b32 s22, exec_lo, s22
	s_cbranch_execz .LBB14_4456
; %bb.4451:
	v_cmp_lt_i16_e32 vcc_lo, 27, v7
	v_cvt_u32_f32_e32 v7, v38
	s_and_saveexec_b32 s23, vcc_lo
	s_delay_alu instid0(SALU_CYCLE_1)
	s_xor_b32 s23, exec_lo, s23
	s_cbranch_execz .LBB14_4453
; %bb.4452:
	flat_store_b32 v[8:9], v7
                                        ; implicit-def: $vgpr8_vgpr9
                                        ; implicit-def: $vgpr7
.LBB14_4453:
	s_wait_xcnt 0x0
	s_and_not1_saveexec_b32 s23, s23
	s_cbranch_execz .LBB14_4455
; %bb.4454:
	flat_store_b16 v[8:9], v7
.LBB14_4455:
	s_wait_xcnt 0x0
	s_or_b32 exec_lo, exec_lo, s23
                                        ; implicit-def: $vgpr8_vgpr9
                                        ; implicit-def: $vgpr38
.LBB14_4456:
	s_and_not1_saveexec_b32 s22, s22
	s_cbranch_execz .LBB14_4464
; %bb.4457:
	v_and_b32_e32 v7, 0x7fffffff, v38
	v_mov_b32_e32 v10, 0x80
	s_mov_b32 s23, exec_lo
	s_delay_alu instid0(VALU_DEP_2)
	v_cmpx_gt_u32_e32 0x43800000, v7
	s_cbranch_execz .LBB14_4463
; %bb.4458:
	v_cmp_lt_u32_e32 vcc_lo, 0x3bffffff, v7
	s_mov_b32 s24, 0
                                        ; implicit-def: $vgpr7
	s_and_saveexec_b32 s25, vcc_lo
	s_delay_alu instid0(SALU_CYCLE_1)
	s_xor_b32 s25, exec_lo, s25
	s_cbranch_execnz .LBB14_7839
; %bb.4459:
	s_and_not1_saveexec_b32 s25, s25
	s_cbranch_execnz .LBB14_7840
.LBB14_4460:
	s_or_b32 exec_lo, exec_lo, s25
	v_mov_b32_e32 v10, 0
	s_and_saveexec_b32 s25, s24
.LBB14_4461:
	v_lshrrev_b32_e32 v10, 24, v38
	s_delay_alu instid0(VALU_DEP_1)
	v_and_or_b32 v10, 0x80, v10, v7
.LBB14_4462:
	s_or_b32 exec_lo, exec_lo, s25
.LBB14_4463:
	s_delay_alu instid0(SALU_CYCLE_1)
	s_or_b32 exec_lo, exec_lo, s23
	flat_store_b8 v[8:9], v10
.LBB14_4464:
	s_wait_xcnt 0x0
	s_or_b32 exec_lo, exec_lo, s22
	s_delay_alu instid0(SALU_CYCLE_1)
	s_or_b32 s0, s0, exec_lo
.LBB14_4465:
	s_or_b32 exec_lo, exec_lo, s19
	s_delay_alu instid0(SALU_CYCLE_1)
	s_and_not1_b32 s19, s14, exec_lo
	s_and_b32 s21, s21, exec_lo
	s_and_b32 s0, s0, exec_lo
	s_or_b32 s19, s19, s21
                                        ; implicit-def: $vgpr7
                                        ; implicit-def: $vgpr38
                                        ; implicit-def: $vgpr8_vgpr9
.LBB14_4466:
	s_and_not1_saveexec_b32 s20, s20
	s_cbranch_execz .LBB14_4510
; %bb.4467:
	s_mov_b32 s22, s0
	s_mov_b32 s21, exec_lo
	v_cmpx_lt_i16_e32 22, v7
	s_xor_b32 s21, exec_lo, s21
	s_cbranch_execz .LBB14_4499
; %bb.4468:
	s_mov_b32 s22, exec_lo
	v_cmpx_lt_i16_e32 23, v7
	s_xor_b32 s22, exec_lo, s22
	s_cbranch_execz .LBB14_4488
; %bb.4469:
	;; [unrolled: 5-line block ×3, first 2 shown]
	v_and_b32_e32 v7, 0x7fffffff, v38
	v_mov_b32_e32 v10, 0x80
	s_mov_b32 s24, exec_lo
	s_delay_alu instid0(VALU_DEP_2)
	v_cmpx_gt_u32_e32 0x47800000, v7
	s_cbranch_execz .LBB14_4476
; %bb.4471:
	v_cmp_lt_u32_e32 vcc_lo, 0x37ffffff, v7
	s_mov_b32 s25, 0
                                        ; implicit-def: $vgpr7
	s_and_saveexec_b32 s26, vcc_lo
	s_delay_alu instid0(SALU_CYCLE_1)
	s_xor_b32 s26, exec_lo, s26
	s_cbranch_execnz .LBB14_7841
; %bb.4472:
	s_and_not1_saveexec_b32 s26, s26
	s_cbranch_execnz .LBB14_7842
.LBB14_4473:
	s_or_b32 exec_lo, exec_lo, s26
	v_mov_b32_e32 v10, 0
	s_and_saveexec_b32 s26, s25
.LBB14_4474:
	v_lshrrev_b32_e32 v10, 24, v38
	s_delay_alu instid0(VALU_DEP_1)
	v_and_or_b32 v10, 0x80, v10, v7
.LBB14_4475:
	s_or_b32 exec_lo, exec_lo, s26
.LBB14_4476:
	s_delay_alu instid0(SALU_CYCLE_1)
	s_or_b32 exec_lo, exec_lo, s24
	flat_store_b8 v[8:9], v10
                                        ; implicit-def: $vgpr38
                                        ; implicit-def: $vgpr8_vgpr9
.LBB14_4477:
	s_wait_xcnt 0x0
	s_and_not1_saveexec_b32 s23, s23
	s_cbranch_execz .LBB14_4487
; %bb.4478:
	v_and_b32_e32 v10, 0x7fffffff, v38
	s_mov_b32 s24, exec_lo
                                        ; implicit-def: $vgpr7
	s_delay_alu instid0(VALU_DEP_1)
	v_cmpx_gt_u32_e32 0x43f00000, v10
	s_xor_b32 s24, exec_lo, s24
	s_cbranch_execz .LBB14_4484
; %bb.4479:
	s_mov_b32 s25, exec_lo
                                        ; implicit-def: $vgpr7
	v_cmpx_lt_u32_e32 0x3c7fffff, v10
	s_xor_b32 s25, exec_lo, s25
; %bb.4480:
	v_bfe_u32 v7, v38, 20, 1
	s_delay_alu instid0(VALU_DEP_1) | instskip(NEXT) | instid1(VALU_DEP_1)
	v_add3_u32 v7, v38, v7, 0x407ffff
	v_and_b32_e32 v10, 0xff00000, v7
	v_lshrrev_b32_e32 v7, 20, v7
	s_delay_alu instid0(VALU_DEP_2) | instskip(NEXT) | instid1(VALU_DEP_2)
	v_cmp_ne_u32_e32 vcc_lo, 0x7f00000, v10
	v_cndmask_b32_e32 v7, 0x7e, v7, vcc_lo
; %bb.4481:
	s_and_not1_saveexec_b32 s25, s25
; %bb.4482:
	v_add_f32_e64 v7, 0x46800000, |v38|
; %bb.4483:
	s_or_b32 exec_lo, exec_lo, s25
                                        ; implicit-def: $vgpr10
.LBB14_4484:
	s_and_not1_saveexec_b32 s24, s24
; %bb.4485:
	v_mov_b32_e32 v7, 0x7f
	v_cmp_lt_u32_e32 vcc_lo, 0x7f800000, v10
	s_delay_alu instid0(VALU_DEP_2)
	v_cndmask_b32_e32 v7, 0x7e, v7, vcc_lo
; %bb.4486:
	s_or_b32 exec_lo, exec_lo, s24
	v_lshrrev_b32_e32 v10, 24, v38
	s_delay_alu instid0(VALU_DEP_1)
	v_and_or_b32 v7, 0x80, v10, v7
	flat_store_b8 v[8:9], v7
.LBB14_4487:
	s_wait_xcnt 0x0
	s_or_b32 exec_lo, exec_lo, s23
                                        ; implicit-def: $vgpr38
                                        ; implicit-def: $vgpr8_vgpr9
.LBB14_4488:
	s_and_not1_saveexec_b32 s22, s22
	s_cbranch_execz .LBB14_4498
; %bb.4489:
	v_and_b32_e32 v10, 0x7fffffff, v38
	s_mov_b32 s23, exec_lo
                                        ; implicit-def: $vgpr7
	s_delay_alu instid0(VALU_DEP_1)
	v_cmpx_gt_u32_e32 0x47800000, v10
	s_xor_b32 s23, exec_lo, s23
	s_cbranch_execz .LBB14_4495
; %bb.4490:
	s_mov_b32 s24, exec_lo
                                        ; implicit-def: $vgpr7
	v_cmpx_lt_u32_e32 0x387fffff, v10
	s_xor_b32 s24, exec_lo, s24
; %bb.4491:
	v_bfe_u32 v7, v38, 21, 1
	s_delay_alu instid0(VALU_DEP_1) | instskip(NEXT) | instid1(VALU_DEP_1)
	v_add3_u32 v7, v38, v7, 0x80fffff
	v_lshrrev_b32_e32 v7, 21, v7
; %bb.4492:
	s_and_not1_saveexec_b32 s24, s24
; %bb.4493:
	v_add_f32_e64 v7, 0x43000000, |v38|
; %bb.4494:
	s_or_b32 exec_lo, exec_lo, s24
                                        ; implicit-def: $vgpr10
.LBB14_4495:
	s_and_not1_saveexec_b32 s23, s23
; %bb.4496:
	v_mov_b32_e32 v7, 0x7f
	v_cmp_lt_u32_e32 vcc_lo, 0x7f800000, v10
	s_delay_alu instid0(VALU_DEP_2)
	v_cndmask_b32_e32 v7, 0x7c, v7, vcc_lo
; %bb.4497:
	s_or_b32 exec_lo, exec_lo, s23
	v_lshrrev_b32_e32 v10, 24, v38
	s_delay_alu instid0(VALU_DEP_1)
	v_and_or_b32 v7, 0x80, v10, v7
	flat_store_b8 v[8:9], v7
.LBB14_4498:
	s_wait_xcnt 0x0
	s_or_b32 exec_lo, exec_lo, s22
	s_delay_alu instid0(SALU_CYCLE_1)
	s_or_b32 s22, s0, exec_lo
                                        ; implicit-def: $vgpr7
                                        ; implicit-def: $vgpr38
                                        ; implicit-def: $vgpr8_vgpr9
.LBB14_4499:
	s_or_saveexec_b32 s21, s21
	s_mov_b32 s23, s19
	s_xor_b32 exec_lo, exec_lo, s21
	s_cbranch_execz .LBB14_4509
; %bb.4500:
	s_mov_b32 s23, s22
	s_mov_b32 s24, s19
	s_mov_b32 s25, exec_lo
	v_cmpx_lt_i16_e32 14, v7
	s_xor_b32 s25, exec_lo, s25
	s_cbranch_execz .LBB14_4504
; %bb.4501:
	s_mov_b32 s26, -1
	s_mov_b32 s23, s22
	s_mov_b32 s24, exec_lo
	v_cmpx_eq_u16_e32 15, v7
	s_cbranch_execz .LBB14_4503
; %bb.4502:
	v_bfe_u32 v7, v38, 16, 1
	v_cmp_o_f32_e32 vcc_lo, v38, v38
	s_xor_b32 s26, exec_lo, -1
	s_or_b32 s23, s22, exec_lo
	s_delay_alu instid0(VALU_DEP_2) | instskip(NEXT) | instid1(VALU_DEP_1)
	v_add3_u32 v7, v38, v7, 0x7fff
	v_lshrrev_b32_e32 v7, 16, v7
	s_delay_alu instid0(VALU_DEP_1)
	v_cndmask_b32_e32 v7, 0x7fc0, v7, vcc_lo
	flat_store_b16 v[8:9], v7
.LBB14_4503:
	s_wait_xcnt 0x0
	s_or_b32 exec_lo, exec_lo, s24
	s_delay_alu instid0(SALU_CYCLE_1)
	s_and_not1_b32 s24, s19, exec_lo
	s_and_b32 s26, s26, exec_lo
	s_and_not1_b32 s27, s22, exec_lo
	s_and_b32 s23, s23, exec_lo
	s_or_b32 s24, s24, s26
	s_or_b32 s23, s27, s23
                                        ; implicit-def: $vgpr7
                                        ; implicit-def: $vgpr38
                                        ; implicit-def: $vgpr8_vgpr9
.LBB14_4504:
	s_and_not1_saveexec_b32 s25, s25
	s_cbranch_execz .LBB14_4508
; %bb.4505:
	s_mov_b32 s27, -1
	s_mov_b32 s26, s23
	s_mov_b32 s28, exec_lo
	v_cmpx_eq_u16_e32 11, v7
	s_cbranch_execz .LBB14_4507
; %bb.4506:
	v_cmp_neq_f32_e32 vcc_lo, 0, v38
	s_xor_b32 s27, exec_lo, -1
	s_or_b32 s26, s23, exec_lo
	v_cndmask_b32_e64 v7, 0, 1, vcc_lo
	flat_store_b8 v[8:9], v7
.LBB14_4507:
	s_wait_xcnt 0x0
	s_or_b32 exec_lo, exec_lo, s28
	s_delay_alu instid0(SALU_CYCLE_1)
	s_and_not1_b32 s24, s24, exec_lo
	s_and_b32 s27, s27, exec_lo
	s_and_not1_b32 s23, s23, exec_lo
	s_and_b32 s26, s26, exec_lo
	s_or_b32 s24, s24, s27
	s_or_b32 s23, s23, s26
.LBB14_4508:
	s_or_b32 exec_lo, exec_lo, s25
	s_delay_alu instid0(SALU_CYCLE_1)
	s_and_not1_b32 s25, s19, exec_lo
	s_and_b32 s24, s24, exec_lo
	s_and_not1_b32 s22, s22, exec_lo
	s_and_b32 s26, s23, exec_lo
	s_or_b32 s23, s25, s24
	s_or_b32 s22, s22, s26
.LBB14_4509:
	s_or_b32 exec_lo, exec_lo, s21
	s_delay_alu instid0(SALU_CYCLE_1)
	s_and_not1_b32 s19, s19, exec_lo
	s_and_b32 s21, s23, exec_lo
	s_and_not1_b32 s0, s0, exec_lo
	s_and_b32 s22, s22, exec_lo
	s_or_b32 s19, s19, s21
	s_or_b32 s0, s0, s22
.LBB14_4510:
	s_or_b32 exec_lo, exec_lo, s20
	s_delay_alu instid0(SALU_CYCLE_1)
	s_and_not1_b32 s20, s14, exec_lo
	s_and_b32 s19, s19, exec_lo
	s_and_b32 s0, s0, exec_lo
	s_or_b32 s19, s20, s19
                                        ; implicit-def: $vgpr7
                                        ; implicit-def: $vgpr38
                                        ; implicit-def: $vgpr8_vgpr9
.LBB14_4511:
	s_and_not1_saveexec_b32 s16, s16
	s_cbranch_execz .LBB14_4553
; %bb.4512:
	s_mov_b32 s20, exec_lo
	v_cmpx_lt_i16_e32 4, v7
	s_xor_b32 s20, exec_lo, s20
	s_cbranch_execz .LBB14_4534
; %bb.4513:
	s_mov_b32 s21, exec_lo
	v_cmpx_lt_i16_e32 7, v7
	s_xor_b32 s21, exec_lo, s21
	;; [unrolled: 5-line block ×4, first 2 shown]
	s_cbranch_execz .LBB14_4517
; %bb.4516:
	v_cvt_f64_f32_e32 v[96:97], v38
	v_mov_b32_e32 v98, 0
                                        ; implicit-def: $vgpr38
	s_delay_alu instid0(VALU_DEP_1)
	v_mov_b32_e32 v99, v98
	flat_store_b128 v[8:9], v[96:99]
                                        ; implicit-def: $vgpr8_vgpr9
.LBB14_4517:
	s_wait_xcnt 0x0
	s_and_not1_saveexec_b32 s23, s23
	s_cbranch_execz .LBB14_4519
; %bb.4518:
	v_mov_b32_e32 v39, 0
	flat_store_b64 v[8:9], v[38:39]
.LBB14_4519:
	s_wait_xcnt 0x0
	s_or_b32 exec_lo, exec_lo, s23
                                        ; implicit-def: $vgpr38
                                        ; implicit-def: $vgpr8_vgpr9
.LBB14_4520:
	s_and_not1_saveexec_b32 s22, s22
	s_cbranch_execz .LBB14_4522
; %bb.4521:
	v_cvt_f16_f32_e32 v7, v38
	s_delay_alu instid0(VALU_DEP_1)
	v_and_b32_e32 v7, 0xffff, v7
	flat_store_b32 v[8:9], v7
.LBB14_4522:
	s_wait_xcnt 0x0
	s_or_b32 exec_lo, exec_lo, s22
                                        ; implicit-def: $vgpr38
                                        ; implicit-def: $vgpr8_vgpr9
                                        ; implicit-def: $vgpr7
.LBB14_4523:
	s_and_not1_saveexec_b32 s21, s21
	s_cbranch_execz .LBB14_4533
; %bb.4524:
	s_mov_b32 s22, exec_lo
	v_cmpx_lt_i16_e32 5, v7
	s_xor_b32 s22, exec_lo, s22
	s_cbranch_execz .LBB14_4530
; %bb.4525:
	s_mov_b32 s23, exec_lo
	v_cmpx_lt_i16_e32 6, v7
	s_xor_b32 s23, exec_lo, s23
	s_cbranch_execz .LBB14_4527
; %bb.4526:
	v_cvt_f64_f32_e32 v[38:39], v38
	flat_store_b64 v[8:9], v[38:39]
                                        ; implicit-def: $vgpr8_vgpr9
                                        ; implicit-def: $vgpr38
.LBB14_4527:
	s_wait_xcnt 0x0
	s_and_not1_saveexec_b32 s23, s23
	s_cbranch_execz .LBB14_4529
; %bb.4528:
	flat_store_b32 v[8:9], v38
.LBB14_4529:
	s_wait_xcnt 0x0
	s_or_b32 exec_lo, exec_lo, s23
                                        ; implicit-def: $vgpr38
                                        ; implicit-def: $vgpr8_vgpr9
.LBB14_4530:
	s_and_not1_saveexec_b32 s22, s22
	s_cbranch_execz .LBB14_4532
; %bb.4531:
	v_cvt_f16_f32_e32 v7, v38
	flat_store_b16 v[8:9], v7
.LBB14_4532:
	s_wait_xcnt 0x0
	s_or_b32 exec_lo, exec_lo, s22
.LBB14_4533:
	s_delay_alu instid0(SALU_CYCLE_1)
	s_or_b32 exec_lo, exec_lo, s21
                                        ; implicit-def: $vgpr7
                                        ; implicit-def: $vgpr38
                                        ; implicit-def: $vgpr8_vgpr9
.LBB14_4534:
	s_and_not1_saveexec_b32 s20, s20
	s_cbranch_execz .LBB14_4552
; %bb.4535:
	s_mov_b32 s21, exec_lo
	v_cmpx_lt_i16_e32 1, v7
	s_xor_b32 s21, exec_lo, s21
	s_cbranch_execz .LBB14_4545
; %bb.4536:
	s_mov_b32 s22, exec_lo
	v_cmpx_lt_i16_e32 2, v7
	s_xor_b32 s22, exec_lo, s22
	;; [unrolled: 5-line block ×3, first 2 shown]
	s_cbranch_execz .LBB14_4539
; %bb.4538:
	v_trunc_f32_e32 v7, v38
	s_delay_alu instid0(VALU_DEP_1) | instskip(SKIP_1) | instid1(VALU_DEP_2)
	v_mul_f32_e64 v10, 0x2f800000, |v7|
	v_ashrrev_i32_e32 v38, 31, v7
	v_floor_f32_e32 v10, v10
	s_delay_alu instid0(VALU_DEP_1) | instskip(SKIP_1) | instid1(VALU_DEP_2)
	v_fma_f32 v39, 0xcf800000, v10, |v7|
	v_cvt_u32_f32_e32 v7, v10
	v_cvt_u32_f32_e32 v10, v39
	s_delay_alu instid0(VALU_DEP_2) | instskip(NEXT) | instid1(VALU_DEP_2)
	v_dual_mov_b32 v39, v38 :: v_dual_bitop2_b32 v85, v7, v38 bitop3:0x14
	v_xor_b32_e32 v84, v10, v38
	s_delay_alu instid0(VALU_DEP_1)
	v_sub_nc_u64_e32 v[38:39], v[84:85], v[38:39]
	flat_store_b64 v[8:9], v[38:39]
                                        ; implicit-def: $vgpr38
                                        ; implicit-def: $vgpr8_vgpr9
.LBB14_4539:
	s_wait_xcnt 0x0
	s_and_not1_saveexec_b32 s23, s23
	s_cbranch_execz .LBB14_4541
; %bb.4540:
	v_cvt_i32_f32_e32 v7, v38
	flat_store_b32 v[8:9], v7
.LBB14_4541:
	s_wait_xcnt 0x0
	s_or_b32 exec_lo, exec_lo, s23
                                        ; implicit-def: $vgpr38
                                        ; implicit-def: $vgpr8_vgpr9
.LBB14_4542:
	s_and_not1_saveexec_b32 s22, s22
	s_cbranch_execz .LBB14_4544
; %bb.4543:
	v_cvt_i32_f32_e32 v7, v38
	flat_store_b16 v[8:9], v7
.LBB14_4544:
	s_wait_xcnt 0x0
	s_or_b32 exec_lo, exec_lo, s22
                                        ; implicit-def: $vgpr38
                                        ; implicit-def: $vgpr8_vgpr9
                                        ; implicit-def: $vgpr7
.LBB14_4545:
	s_and_not1_saveexec_b32 s21, s21
	s_cbranch_execz .LBB14_4551
; %bb.4546:
	s_mov_b32 s22, exec_lo
	v_cmpx_lt_i16_e32 0, v7
	s_xor_b32 s22, exec_lo, s22
	s_cbranch_execz .LBB14_4548
; %bb.4547:
	v_cvt_i32_f32_e32 v7, v38
                                        ; implicit-def: $vgpr38
	flat_store_b8 v[8:9], v7
                                        ; implicit-def: $vgpr8_vgpr9
.LBB14_4548:
	s_wait_xcnt 0x0
	s_and_not1_saveexec_b32 s22, s22
	s_cbranch_execz .LBB14_4550
; %bb.4549:
	v_trunc_f32_e32 v7, v38
	s_delay_alu instid0(VALU_DEP_1) | instskip(NEXT) | instid1(VALU_DEP_1)
	v_mul_f32_e64 v10, 0x2f800000, |v7|
	v_floor_f32_e32 v10, v10
	s_delay_alu instid0(VALU_DEP_1) | instskip(SKIP_1) | instid1(VALU_DEP_2)
	v_fma_f32 v10, 0xcf800000, v10, |v7|
	v_ashrrev_i32_e32 v7, 31, v7
	v_cvt_u32_f32_e32 v10, v10
	s_delay_alu instid0(VALU_DEP_1) | instskip(NEXT) | instid1(VALU_DEP_1)
	v_xor_b32_e32 v10, v10, v7
	v_sub_nc_u32_e32 v7, v10, v7
	flat_store_b8 v[8:9], v7
.LBB14_4550:
	s_wait_xcnt 0x0
	s_or_b32 exec_lo, exec_lo, s22
.LBB14_4551:
	s_delay_alu instid0(SALU_CYCLE_1)
	s_or_b32 exec_lo, exec_lo, s21
.LBB14_4552:
	s_delay_alu instid0(SALU_CYCLE_1) | instskip(NEXT) | instid1(SALU_CYCLE_1)
	s_or_b32 exec_lo, exec_lo, s20
	s_or_b32 s0, s0, exec_lo
.LBB14_4553:
	s_or_b32 exec_lo, exec_lo, s16
	s_mov_b32 s20, 0
	s_mov_b32 s16, 0
	s_and_saveexec_b32 s21, s0
; %bb.4554:
	v_add_nc_u32_e32 v13, 0x200, v13
	s_mov_b32 s20, exec_lo
	s_delay_alu instid0(VALU_DEP_1)
	v_cmp_lt_i32_e32 vcc_lo, v13, v6
	s_and_b32 s16, vcc_lo, exec_lo
; %bb.4555:
	s_or_b32 exec_lo, exec_lo, s21
	s_delay_alu instid0(SALU_CYCLE_1)
	s_and_not1_b32 s0, s14, exec_lo
	s_and_b32 s19, s19, exec_lo
	s_and_b32 s21, s16, exec_lo
	s_or_b32 s16, s0, s19
	s_or_not1_b32 s20, s20, exec_lo
.LBB14_4556:
	s_or_b32 exec_lo, exec_lo, s17
	s_mov_b32 s0, 0
	s_mov_b32 s19, 0
                                        ; implicit-def: $vgpr8
                                        ; implicit-def: $vgpr7
                                        ; implicit-def: $vgpr38_vgpr39
	s_and_saveexec_b32 s17, s20
	s_cbranch_execz .LBB14_7758
; %bb.4557:
	s_mov_b32 s22, -1
	s_mov_b32 s20, 0
	s_mov_b32 s18, s16
	s_and_saveexec_b32 s19, s21
	s_cbranch_execz .LBB14_4685
; %bb.4558:
	v_dual_add_nc_u32 v7, s2, v13 :: v_dual_mov_b32 v9, 0
	s_wait_loadcnt 0xc
	v_mul_f32_e32 v10, v86, v87
	v_cmp_lt_f32_e32 vcc_lo, 0, v87
	s_mov_b32 s21, s16
	v_mul_lo_u32 v8, v7, v12
	v_and_b32_e32 v7, 0xff, v11
	s_mov_b32 s18, exec_lo
	v_cndmask_b32_e32 v38, v10, v87, vcc_lo
	s_delay_alu instid0(VALU_DEP_3) | instskip(NEXT) | instid1(VALU_DEP_3)
	v_add_nc_u64_e32 v[8:9], v[0:1], v[8:9]
	v_cmpx_lt_i16_e32 10, v7
	s_xor_b32 s18, exec_lo, s18
	s_cbranch_execz .LBB14_4640
; %bb.4559:
	s_mov_b32 s21, s16
	s_mov_b32 s22, exec_lo
	v_cmpx_lt_i16_e32 25, v7
	s_xor_b32 s22, exec_lo, s22
	s_cbranch_execz .LBB14_4595
; %bb.4560:
	s_mov_b32 s23, s16
	s_mov_b32 s21, exec_lo
	;; [unrolled: 6-line block ×3, first 2 shown]
	v_cmpx_lt_i16_e32 43, v7
	s_xor_b32 s23, exec_lo, s23
	s_cbranch_execz .LBB14_4573
; %bb.4562:
	s_mov_b32 s24, 0
	s_mov_b32 s25, s16
	s_mov_b32 s0, exec_lo
	v_cmpx_lt_i16_e32 45, v7
	s_xor_b32 s0, exec_lo, s0
	s_cbranch_execz .LBB14_4566
; %bb.4563:
	s_mov_b32 s26, -1
	s_mov_b32 s25, exec_lo
	v_cmpx_eq_u16_e32 46, v7
	s_cbranch_execz .LBB14_4565
; %bb.4564:
	v_bfe_u32 v7, v38, 16, 1
	v_cmp_o_f32_e32 vcc_lo, v38, v38
	s_mov_b32 s24, exec_lo
	s_xor_b32 s26, exec_lo, -1
	s_delay_alu instid0(VALU_DEP_2) | instskip(NEXT) | instid1(VALU_DEP_1)
	v_add3_u32 v7, v38, v7, 0x7fff
	v_lshrrev_b32_e32 v7, 16, v7
	s_delay_alu instid0(VALU_DEP_1)
	v_cndmask_b32_e32 v7, 0x7fc0, v7, vcc_lo
	flat_store_b32 v[8:9], v7
.LBB14_4565:
	s_wait_xcnt 0x0
	s_or_b32 exec_lo, exec_lo, s25
	s_delay_alu instid0(SALU_CYCLE_1)
	s_and_not1_b32 s25, s16, exec_lo
	s_and_b32 s26, s26, exec_lo
	s_and_b32 s24, s24, exec_lo
	s_or_b32 s25, s25, s26
                                        ; implicit-def: $vgpr7
                                        ; implicit-def: $vgpr8_vgpr9
                                        ; implicit-def: $vgpr38
.LBB14_4566:
	s_and_not1_saveexec_b32 s26, s0
	s_cbranch_execz .LBB14_4572
; %bb.4567:
	s_mov_b32 s28, -1
	s_mov_b32 s0, s24
	s_mov_b32 s27, exec_lo
	v_cmpx_eq_u16_e32 44, v7
	s_cbranch_execz .LBB14_4571
; %bb.4568:
	v_bfe_u32 v10, v38, 23, 8
	v_mov_b32_e32 v7, 0xff
	s_mov_b32 s28, exec_lo
	s_delay_alu instid0(VALU_DEP_2)
	v_cmpx_ne_u32_e32 0xff, v10
	s_cbranch_execz .LBB14_4570
; %bb.4569:
	v_and_b32_e32 v7, 0x400000, v38
	v_and_or_b32 v10, 0x3fffff, v38, v10
	s_delay_alu instid0(VALU_DEP_2) | instskip(NEXT) | instid1(VALU_DEP_2)
	v_cmp_ne_u32_e32 vcc_lo, 0, v7
	v_cmp_ne_u32_e64 s0, 0, v10
	v_lshrrev_b32_e32 v7, 23, v38
	s_and_b32 s0, vcc_lo, s0
	s_delay_alu instid0(SALU_CYCLE_1) | instskip(NEXT) | instid1(VALU_DEP_1)
	v_cndmask_b32_e64 v10, 0, 1, s0
	v_add_nc_u32_e32 v7, v7, v10
.LBB14_4570:
	s_or_b32 exec_lo, exec_lo, s28
	s_delay_alu instid0(SALU_CYCLE_1)
	s_xor_b32 s28, exec_lo, -1
	s_or_b32 s0, s24, exec_lo
	flat_store_b8 v[8:9], v7
.LBB14_4571:
	s_wait_xcnt 0x0
	s_or_b32 exec_lo, exec_lo, s27
	s_delay_alu instid0(SALU_CYCLE_1)
	s_and_not1_b32 s25, s25, exec_lo
	s_and_b32 s27, s28, exec_lo
	s_and_not1_b32 s24, s24, exec_lo
	s_and_b32 s0, s0, exec_lo
	s_or_b32 s25, s25, s27
	s_or_b32 s24, s24, s0
.LBB14_4572:
	s_or_b32 exec_lo, exec_lo, s26
	s_delay_alu instid0(SALU_CYCLE_1) | instskip(SKIP_1) | instid1(SALU_CYCLE_1)
	s_and_not1_b32 s0, s16, exec_lo
	s_and_b32 s25, s25, exec_lo
                                        ; implicit-def: $vgpr7
                                        ; implicit-def: $vgpr38
                                        ; implicit-def: $vgpr8_vgpr9
	s_or_b32 s25, s0, s25
	s_and_b32 s0, s24, exec_lo
.LBB14_4573:
	s_and_not1_saveexec_b32 s23, s23
	s_cbranch_execz .LBB14_4577
; %bb.4574:
	s_mov_b32 s27, -1
	s_mov_b32 s26, s0
	s_mov_b32 s24, exec_lo
	v_cmpx_eq_u16_e32 29, v7
	s_cbranch_execz .LBB14_4576
; %bb.4575:
	v_trunc_f32_e32 v7, v38
	s_xor_b32 s27, exec_lo, -1
	s_or_b32 s26, s0, exec_lo
	s_delay_alu instid0(VALU_DEP_1) | instskip(NEXT) | instid1(VALU_DEP_1)
	v_mul_f32_e32 v10, 0x2f800000, v7
	v_floor_f32_e32 v10, v10
	s_delay_alu instid0(VALU_DEP_1) | instskip(SKIP_1) | instid1(VALU_DEP_2)
	v_fmamk_f32 v7, v10, 0xcf800000, v7
	v_cvt_u32_f32_e32 v39, v10
	v_cvt_u32_f32_e32 v38, v7
	flat_store_b64 v[8:9], v[38:39]
.LBB14_4576:
	s_wait_xcnt 0x0
	s_or_b32 exec_lo, exec_lo, s24
	s_delay_alu instid0(SALU_CYCLE_1)
	s_and_not1_b32 s24, s25, exec_lo
	s_and_b32 s25, s27, exec_lo
	s_and_not1_b32 s0, s0, exec_lo
	s_and_b32 s26, s26, exec_lo
	s_or_b32 s25, s24, s25
	s_or_b32 s0, s0, s26
.LBB14_4577:
	s_or_b32 exec_lo, exec_lo, s23
	s_delay_alu instid0(SALU_CYCLE_1)
	s_and_not1_b32 s23, s16, exec_lo
	s_and_b32 s24, s25, exec_lo
	s_and_b32 s0, s0, exec_lo
	s_or_b32 s23, s23, s24
                                        ; implicit-def: $vgpr8_vgpr9
                                        ; implicit-def: $vgpr7
                                        ; implicit-def: $vgpr38
.LBB14_4578:
	s_and_not1_saveexec_b32 s21, s21
	s_cbranch_execz .LBB14_4594
; %bb.4579:
	s_mov_b32 s24, exec_lo
	v_cmpx_lt_i16_e32 26, v7
	s_xor_b32 s24, exec_lo, s24
	s_cbranch_execz .LBB14_4585
; %bb.4580:
	v_cmp_lt_i16_e32 vcc_lo, 27, v7
	v_cvt_u32_f32_e32 v7, v38
	s_and_saveexec_b32 s25, vcc_lo
	s_delay_alu instid0(SALU_CYCLE_1)
	s_xor_b32 s25, exec_lo, s25
	s_cbranch_execz .LBB14_4582
; %bb.4581:
	flat_store_b32 v[8:9], v7
                                        ; implicit-def: $vgpr8_vgpr9
                                        ; implicit-def: $vgpr7
.LBB14_4582:
	s_wait_xcnt 0x0
	s_and_not1_saveexec_b32 s25, s25
	s_cbranch_execz .LBB14_4584
; %bb.4583:
	flat_store_b16 v[8:9], v7
.LBB14_4584:
	s_wait_xcnt 0x0
	s_or_b32 exec_lo, exec_lo, s25
                                        ; implicit-def: $vgpr8_vgpr9
                                        ; implicit-def: $vgpr38
.LBB14_4585:
	s_and_not1_saveexec_b32 s24, s24
	s_cbranch_execz .LBB14_4593
; %bb.4586:
	v_and_b32_e32 v7, 0x7fffffff, v38
	v_mov_b32_e32 v10, 0x80
	s_mov_b32 s25, exec_lo
	s_delay_alu instid0(VALU_DEP_2)
	v_cmpx_gt_u32_e32 0x43800000, v7
	s_cbranch_execz .LBB14_4592
; %bb.4587:
	v_cmp_lt_u32_e32 vcc_lo, 0x3bffffff, v7
	s_mov_b32 s26, 0
                                        ; implicit-def: $vgpr7
	s_and_saveexec_b32 s27, vcc_lo
	s_delay_alu instid0(SALU_CYCLE_1)
	s_xor_b32 s27, exec_lo, s27
	s_cbranch_execnz .LBB14_7843
; %bb.4588:
	s_and_not1_saveexec_b32 s27, s27
	s_cbranch_execnz .LBB14_7844
.LBB14_4589:
	s_or_b32 exec_lo, exec_lo, s27
	v_mov_b32_e32 v10, 0
	s_and_saveexec_b32 s27, s26
.LBB14_4590:
	v_lshrrev_b32_e32 v10, 24, v38
	s_delay_alu instid0(VALU_DEP_1)
	v_and_or_b32 v10, 0x80, v10, v7
.LBB14_4591:
	s_or_b32 exec_lo, exec_lo, s27
.LBB14_4592:
	s_delay_alu instid0(SALU_CYCLE_1)
	s_or_b32 exec_lo, exec_lo, s25
	flat_store_b8 v[8:9], v10
.LBB14_4593:
	s_wait_xcnt 0x0
	s_or_b32 exec_lo, exec_lo, s24
	s_delay_alu instid0(SALU_CYCLE_1)
	s_or_b32 s0, s0, exec_lo
.LBB14_4594:
	s_or_b32 exec_lo, exec_lo, s21
	s_delay_alu instid0(SALU_CYCLE_1)
	s_and_not1_b32 s21, s16, exec_lo
	s_and_b32 s23, s23, exec_lo
	s_and_b32 s0, s0, exec_lo
	s_or_b32 s21, s21, s23
                                        ; implicit-def: $vgpr7
                                        ; implicit-def: $vgpr38
                                        ; implicit-def: $vgpr8_vgpr9
.LBB14_4595:
	s_and_not1_saveexec_b32 s22, s22
	s_cbranch_execz .LBB14_4639
; %bb.4596:
	s_mov_b32 s24, s0
	s_mov_b32 s23, exec_lo
	v_cmpx_lt_i16_e32 22, v7
	s_xor_b32 s23, exec_lo, s23
	s_cbranch_execz .LBB14_4628
; %bb.4597:
	s_mov_b32 s24, exec_lo
	v_cmpx_lt_i16_e32 23, v7
	s_xor_b32 s24, exec_lo, s24
	s_cbranch_execz .LBB14_4617
; %bb.4598:
	;; [unrolled: 5-line block ×3, first 2 shown]
	v_and_b32_e32 v7, 0x7fffffff, v38
	v_mov_b32_e32 v10, 0x80
	s_mov_b32 s26, exec_lo
	s_delay_alu instid0(VALU_DEP_2)
	v_cmpx_gt_u32_e32 0x47800000, v7
	s_cbranch_execz .LBB14_4605
; %bb.4600:
	v_cmp_lt_u32_e32 vcc_lo, 0x37ffffff, v7
	s_mov_b32 s27, 0
                                        ; implicit-def: $vgpr7
	s_and_saveexec_b32 s28, vcc_lo
	s_delay_alu instid0(SALU_CYCLE_1)
	s_xor_b32 s28, exec_lo, s28
	s_cbranch_execnz .LBB14_7845
; %bb.4601:
	s_and_not1_saveexec_b32 s28, s28
	s_cbranch_execnz .LBB14_7846
.LBB14_4602:
	s_or_b32 exec_lo, exec_lo, s28
	v_mov_b32_e32 v10, 0
	s_and_saveexec_b32 s28, s27
.LBB14_4603:
	v_lshrrev_b32_e32 v10, 24, v38
	s_delay_alu instid0(VALU_DEP_1)
	v_and_or_b32 v10, 0x80, v10, v7
.LBB14_4604:
	s_or_b32 exec_lo, exec_lo, s28
.LBB14_4605:
	s_delay_alu instid0(SALU_CYCLE_1)
	s_or_b32 exec_lo, exec_lo, s26
	flat_store_b8 v[8:9], v10
                                        ; implicit-def: $vgpr38
                                        ; implicit-def: $vgpr8_vgpr9
.LBB14_4606:
	s_wait_xcnt 0x0
	s_and_not1_saveexec_b32 s25, s25
	s_cbranch_execz .LBB14_4616
; %bb.4607:
	v_and_b32_e32 v10, 0x7fffffff, v38
	s_mov_b32 s26, exec_lo
                                        ; implicit-def: $vgpr7
	s_delay_alu instid0(VALU_DEP_1)
	v_cmpx_gt_u32_e32 0x43f00000, v10
	s_xor_b32 s26, exec_lo, s26
	s_cbranch_execz .LBB14_4613
; %bb.4608:
	s_mov_b32 s27, exec_lo
                                        ; implicit-def: $vgpr7
	v_cmpx_lt_u32_e32 0x3c7fffff, v10
	s_xor_b32 s27, exec_lo, s27
; %bb.4609:
	v_bfe_u32 v7, v38, 20, 1
	s_delay_alu instid0(VALU_DEP_1) | instskip(NEXT) | instid1(VALU_DEP_1)
	v_add3_u32 v7, v38, v7, 0x407ffff
	v_and_b32_e32 v10, 0xff00000, v7
	v_lshrrev_b32_e32 v7, 20, v7
	s_delay_alu instid0(VALU_DEP_2) | instskip(NEXT) | instid1(VALU_DEP_2)
	v_cmp_ne_u32_e32 vcc_lo, 0x7f00000, v10
	v_cndmask_b32_e32 v7, 0x7e, v7, vcc_lo
; %bb.4610:
	s_and_not1_saveexec_b32 s27, s27
; %bb.4611:
	v_add_f32_e64 v7, 0x46800000, |v38|
; %bb.4612:
	s_or_b32 exec_lo, exec_lo, s27
                                        ; implicit-def: $vgpr10
.LBB14_4613:
	s_and_not1_saveexec_b32 s26, s26
; %bb.4614:
	v_mov_b32_e32 v7, 0x7f
	v_cmp_lt_u32_e32 vcc_lo, 0x7f800000, v10
	s_delay_alu instid0(VALU_DEP_2)
	v_cndmask_b32_e32 v7, 0x7e, v7, vcc_lo
; %bb.4615:
	s_or_b32 exec_lo, exec_lo, s26
	v_lshrrev_b32_e32 v10, 24, v38
	s_delay_alu instid0(VALU_DEP_1)
	v_and_or_b32 v7, 0x80, v10, v7
	flat_store_b8 v[8:9], v7
.LBB14_4616:
	s_wait_xcnt 0x0
	s_or_b32 exec_lo, exec_lo, s25
                                        ; implicit-def: $vgpr38
                                        ; implicit-def: $vgpr8_vgpr9
.LBB14_4617:
	s_and_not1_saveexec_b32 s24, s24
	s_cbranch_execz .LBB14_4627
; %bb.4618:
	v_and_b32_e32 v10, 0x7fffffff, v38
	s_mov_b32 s25, exec_lo
                                        ; implicit-def: $vgpr7
	s_delay_alu instid0(VALU_DEP_1)
	v_cmpx_gt_u32_e32 0x47800000, v10
	s_xor_b32 s25, exec_lo, s25
	s_cbranch_execz .LBB14_4624
; %bb.4619:
	s_mov_b32 s26, exec_lo
                                        ; implicit-def: $vgpr7
	v_cmpx_lt_u32_e32 0x387fffff, v10
	s_xor_b32 s26, exec_lo, s26
; %bb.4620:
	v_bfe_u32 v7, v38, 21, 1
	s_delay_alu instid0(VALU_DEP_1) | instskip(NEXT) | instid1(VALU_DEP_1)
	v_add3_u32 v7, v38, v7, 0x80fffff
	v_lshrrev_b32_e32 v7, 21, v7
; %bb.4621:
	s_and_not1_saveexec_b32 s26, s26
; %bb.4622:
	v_add_f32_e64 v7, 0x43000000, |v38|
; %bb.4623:
	s_or_b32 exec_lo, exec_lo, s26
                                        ; implicit-def: $vgpr10
.LBB14_4624:
	s_and_not1_saveexec_b32 s25, s25
; %bb.4625:
	v_mov_b32_e32 v7, 0x7f
	v_cmp_lt_u32_e32 vcc_lo, 0x7f800000, v10
	s_delay_alu instid0(VALU_DEP_2)
	v_cndmask_b32_e32 v7, 0x7c, v7, vcc_lo
; %bb.4626:
	s_or_b32 exec_lo, exec_lo, s25
	v_lshrrev_b32_e32 v10, 24, v38
	s_delay_alu instid0(VALU_DEP_1)
	v_and_or_b32 v7, 0x80, v10, v7
	flat_store_b8 v[8:9], v7
.LBB14_4627:
	s_wait_xcnt 0x0
	s_or_b32 exec_lo, exec_lo, s24
	s_delay_alu instid0(SALU_CYCLE_1)
	s_or_b32 s24, s0, exec_lo
                                        ; implicit-def: $vgpr7
                                        ; implicit-def: $vgpr38
                                        ; implicit-def: $vgpr8_vgpr9
.LBB14_4628:
	s_or_saveexec_b32 s23, s23
	s_mov_b32 s25, s21
	s_xor_b32 exec_lo, exec_lo, s23
	s_cbranch_execz .LBB14_4638
; %bb.4629:
	s_mov_b32 s25, s24
	s_mov_b32 s26, s21
	s_mov_b32 s27, exec_lo
	v_cmpx_lt_i16_e32 14, v7
	s_xor_b32 s27, exec_lo, s27
	s_cbranch_execz .LBB14_4633
; %bb.4630:
	s_mov_b32 s28, -1
	s_mov_b32 s25, s24
	s_mov_b32 s26, exec_lo
	v_cmpx_eq_u16_e32 15, v7
	s_cbranch_execz .LBB14_4632
; %bb.4631:
	v_bfe_u32 v7, v38, 16, 1
	v_cmp_o_f32_e32 vcc_lo, v38, v38
	s_xor_b32 s28, exec_lo, -1
	s_or_b32 s25, s24, exec_lo
	s_delay_alu instid0(VALU_DEP_2) | instskip(NEXT) | instid1(VALU_DEP_1)
	v_add3_u32 v7, v38, v7, 0x7fff
	v_lshrrev_b32_e32 v7, 16, v7
	s_delay_alu instid0(VALU_DEP_1)
	v_cndmask_b32_e32 v7, 0x7fc0, v7, vcc_lo
	flat_store_b16 v[8:9], v7
.LBB14_4632:
	s_wait_xcnt 0x0
	s_or_b32 exec_lo, exec_lo, s26
	s_delay_alu instid0(SALU_CYCLE_1)
	s_and_not1_b32 s26, s21, exec_lo
	s_and_b32 s28, s28, exec_lo
	s_and_not1_b32 s29, s24, exec_lo
	s_and_b32 s25, s25, exec_lo
	s_or_b32 s26, s26, s28
	s_or_b32 s25, s29, s25
                                        ; implicit-def: $vgpr7
                                        ; implicit-def: $vgpr38
                                        ; implicit-def: $vgpr8_vgpr9
.LBB14_4633:
	s_and_not1_saveexec_b32 s27, s27
	s_cbranch_execz .LBB14_4637
; %bb.4634:
	s_mov_b32 s29, -1
	s_mov_b32 s28, s25
	s_mov_b32 s40, exec_lo
	v_cmpx_eq_u16_e32 11, v7
	s_cbranch_execz .LBB14_4636
; %bb.4635:
	v_cmp_neq_f32_e32 vcc_lo, 0, v38
	s_xor_b32 s29, exec_lo, -1
	s_or_b32 s28, s25, exec_lo
	v_cndmask_b32_e64 v7, 0, 1, vcc_lo
	flat_store_b8 v[8:9], v7
.LBB14_4636:
	s_wait_xcnt 0x0
	s_or_b32 exec_lo, exec_lo, s40
	s_delay_alu instid0(SALU_CYCLE_1)
	s_and_not1_b32 s26, s26, exec_lo
	s_and_b32 s29, s29, exec_lo
	s_and_not1_b32 s25, s25, exec_lo
	s_and_b32 s28, s28, exec_lo
	s_or_b32 s26, s26, s29
	s_or_b32 s25, s25, s28
.LBB14_4637:
	s_or_b32 exec_lo, exec_lo, s27
	s_delay_alu instid0(SALU_CYCLE_1)
	s_and_not1_b32 s27, s21, exec_lo
	s_and_b32 s26, s26, exec_lo
	s_and_not1_b32 s24, s24, exec_lo
	s_and_b32 s28, s25, exec_lo
	s_or_b32 s25, s27, s26
	s_or_b32 s24, s24, s28
.LBB14_4638:
	s_or_b32 exec_lo, exec_lo, s23
	s_delay_alu instid0(SALU_CYCLE_1)
	s_and_not1_b32 s21, s21, exec_lo
	s_and_b32 s23, s25, exec_lo
	s_and_not1_b32 s0, s0, exec_lo
	s_and_b32 s24, s24, exec_lo
	s_or_b32 s21, s21, s23
	s_or_b32 s0, s0, s24
.LBB14_4639:
	s_or_b32 exec_lo, exec_lo, s22
	s_delay_alu instid0(SALU_CYCLE_1)
	s_and_not1_b32 s22, s16, exec_lo
	s_and_b32 s21, s21, exec_lo
	s_and_b32 s0, s0, exec_lo
	s_or_b32 s21, s22, s21
                                        ; implicit-def: $vgpr7
                                        ; implicit-def: $vgpr38
                                        ; implicit-def: $vgpr8_vgpr9
.LBB14_4640:
	s_and_not1_saveexec_b32 s18, s18
	s_cbranch_execz .LBB14_4682
; %bb.4641:
	s_mov_b32 s22, exec_lo
	v_cmpx_lt_i16_e32 4, v7
	s_xor_b32 s22, exec_lo, s22
	s_cbranch_execz .LBB14_4663
; %bb.4642:
	s_mov_b32 s23, exec_lo
	v_cmpx_lt_i16_e32 7, v7
	s_xor_b32 s23, exec_lo, s23
	;; [unrolled: 5-line block ×4, first 2 shown]
	s_cbranch_execz .LBB14_4646
; %bb.4645:
	v_cvt_f64_f32_e32 v[84:85], v38
	v_mov_b32_e32 v86, 0
                                        ; implicit-def: $vgpr38
	s_delay_alu instid0(VALU_DEP_1)
	v_mov_b32_e32 v87, v86
	flat_store_b128 v[8:9], v[84:87]
                                        ; implicit-def: $vgpr8_vgpr9
.LBB14_4646:
	s_wait_xcnt 0x0
	s_and_not1_saveexec_b32 s25, s25
	s_cbranch_execz .LBB14_4648
; %bb.4647:
	v_mov_b32_e32 v39, 0
	flat_store_b64 v[8:9], v[38:39]
.LBB14_4648:
	s_wait_xcnt 0x0
	s_or_b32 exec_lo, exec_lo, s25
                                        ; implicit-def: $vgpr38
                                        ; implicit-def: $vgpr8_vgpr9
.LBB14_4649:
	s_and_not1_saveexec_b32 s24, s24
	s_cbranch_execz .LBB14_4651
; %bb.4650:
	v_cvt_f16_f32_e32 v7, v38
	s_delay_alu instid0(VALU_DEP_1)
	v_and_b32_e32 v7, 0xffff, v7
	flat_store_b32 v[8:9], v7
.LBB14_4651:
	s_wait_xcnt 0x0
	s_or_b32 exec_lo, exec_lo, s24
                                        ; implicit-def: $vgpr38
                                        ; implicit-def: $vgpr8_vgpr9
                                        ; implicit-def: $vgpr7
.LBB14_4652:
	s_and_not1_saveexec_b32 s23, s23
	s_cbranch_execz .LBB14_4662
; %bb.4653:
	s_mov_b32 s24, exec_lo
	v_cmpx_lt_i16_e32 5, v7
	s_xor_b32 s24, exec_lo, s24
	s_cbranch_execz .LBB14_4659
; %bb.4654:
	s_mov_b32 s25, exec_lo
	v_cmpx_lt_i16_e32 6, v7
	s_xor_b32 s25, exec_lo, s25
	s_cbranch_execz .LBB14_4656
; %bb.4655:
	v_cvt_f64_f32_e32 v[38:39], v38
	flat_store_b64 v[8:9], v[38:39]
                                        ; implicit-def: $vgpr8_vgpr9
                                        ; implicit-def: $vgpr38
.LBB14_4656:
	s_wait_xcnt 0x0
	s_and_not1_saveexec_b32 s25, s25
	s_cbranch_execz .LBB14_4658
; %bb.4657:
	flat_store_b32 v[8:9], v38
.LBB14_4658:
	s_wait_xcnt 0x0
	s_or_b32 exec_lo, exec_lo, s25
                                        ; implicit-def: $vgpr38
                                        ; implicit-def: $vgpr8_vgpr9
.LBB14_4659:
	s_and_not1_saveexec_b32 s24, s24
	s_cbranch_execz .LBB14_4661
; %bb.4660:
	v_cvt_f16_f32_e32 v7, v38
	flat_store_b16 v[8:9], v7
.LBB14_4661:
	s_wait_xcnt 0x0
	s_or_b32 exec_lo, exec_lo, s24
.LBB14_4662:
	s_delay_alu instid0(SALU_CYCLE_1)
	s_or_b32 exec_lo, exec_lo, s23
                                        ; implicit-def: $vgpr7
                                        ; implicit-def: $vgpr38
                                        ; implicit-def: $vgpr8_vgpr9
.LBB14_4663:
	s_and_not1_saveexec_b32 s22, s22
	s_cbranch_execz .LBB14_4681
; %bb.4664:
	s_mov_b32 s23, exec_lo
	v_cmpx_lt_i16_e32 1, v7
	s_xor_b32 s23, exec_lo, s23
	s_cbranch_execz .LBB14_4674
; %bb.4665:
	s_mov_b32 s24, exec_lo
	v_cmpx_lt_i16_e32 2, v7
	s_xor_b32 s24, exec_lo, s24
	;; [unrolled: 5-line block ×3, first 2 shown]
	s_cbranch_execz .LBB14_4668
; %bb.4667:
	v_trunc_f32_e32 v7, v38
	s_delay_alu instid0(VALU_DEP_1) | instskip(SKIP_1) | instid1(VALU_DEP_2)
	v_mul_f32_e64 v10, 0x2f800000, |v7|
	v_ashrrev_i32_e32 v38, 31, v7
	v_floor_f32_e32 v10, v10
	s_delay_alu instid0(VALU_DEP_1) | instskip(SKIP_1) | instid1(VALU_DEP_2)
	v_fma_f32 v39, 0xcf800000, v10, |v7|
	v_cvt_u32_f32_e32 v7, v10
	v_cvt_u32_f32_e32 v10, v39
	s_delay_alu instid0(VALU_DEP_2) | instskip(NEXT) | instid1(VALU_DEP_2)
	v_dual_mov_b32 v39, v38 :: v_dual_bitop2_b32 v85, v7, v38 bitop3:0x14
	v_xor_b32_e32 v84, v10, v38
	s_delay_alu instid0(VALU_DEP_1)
	v_sub_nc_u64_e32 v[38:39], v[84:85], v[38:39]
	flat_store_b64 v[8:9], v[38:39]
                                        ; implicit-def: $vgpr38
                                        ; implicit-def: $vgpr8_vgpr9
.LBB14_4668:
	s_wait_xcnt 0x0
	s_and_not1_saveexec_b32 s25, s25
	s_cbranch_execz .LBB14_4670
; %bb.4669:
	v_cvt_i32_f32_e32 v7, v38
	flat_store_b32 v[8:9], v7
.LBB14_4670:
	s_wait_xcnt 0x0
	s_or_b32 exec_lo, exec_lo, s25
                                        ; implicit-def: $vgpr38
                                        ; implicit-def: $vgpr8_vgpr9
.LBB14_4671:
	s_and_not1_saveexec_b32 s24, s24
	s_cbranch_execz .LBB14_4673
; %bb.4672:
	v_cvt_i32_f32_e32 v7, v38
	flat_store_b16 v[8:9], v7
.LBB14_4673:
	s_wait_xcnt 0x0
	s_or_b32 exec_lo, exec_lo, s24
                                        ; implicit-def: $vgpr38
                                        ; implicit-def: $vgpr8_vgpr9
                                        ; implicit-def: $vgpr7
.LBB14_4674:
	s_and_not1_saveexec_b32 s23, s23
	s_cbranch_execz .LBB14_4680
; %bb.4675:
	s_mov_b32 s24, exec_lo
	v_cmpx_lt_i16_e32 0, v7
	s_xor_b32 s24, exec_lo, s24
	s_cbranch_execz .LBB14_4677
; %bb.4676:
	v_cvt_i32_f32_e32 v7, v38
                                        ; implicit-def: $vgpr38
	flat_store_b8 v[8:9], v7
                                        ; implicit-def: $vgpr8_vgpr9
.LBB14_4677:
	s_wait_xcnt 0x0
	s_and_not1_saveexec_b32 s24, s24
	s_cbranch_execz .LBB14_4679
; %bb.4678:
	v_trunc_f32_e32 v7, v38
	s_delay_alu instid0(VALU_DEP_1) | instskip(NEXT) | instid1(VALU_DEP_1)
	v_mul_f32_e64 v10, 0x2f800000, |v7|
	v_floor_f32_e32 v10, v10
	s_delay_alu instid0(VALU_DEP_1) | instskip(SKIP_1) | instid1(VALU_DEP_2)
	v_fma_f32 v10, 0xcf800000, v10, |v7|
	v_ashrrev_i32_e32 v7, 31, v7
	v_cvt_u32_f32_e32 v10, v10
	s_delay_alu instid0(VALU_DEP_1) | instskip(NEXT) | instid1(VALU_DEP_1)
	v_xor_b32_e32 v10, v10, v7
	v_sub_nc_u32_e32 v7, v10, v7
	flat_store_b8 v[8:9], v7
.LBB14_4679:
	s_wait_xcnt 0x0
	s_or_b32 exec_lo, exec_lo, s24
.LBB14_4680:
	s_delay_alu instid0(SALU_CYCLE_1)
	s_or_b32 exec_lo, exec_lo, s23
.LBB14_4681:
	s_delay_alu instid0(SALU_CYCLE_1) | instskip(NEXT) | instid1(SALU_CYCLE_1)
	s_or_b32 exec_lo, exec_lo, s22
	s_or_b32 s0, s0, exec_lo
.LBB14_4682:
	s_or_b32 exec_lo, exec_lo, s18
	s_mov_b32 s22, 0
	s_mov_b32 s18, 0
	s_and_saveexec_b32 s23, s0
; %bb.4683:
	v_add_nc_u32_e32 v13, 0x200, v13
	s_mov_b32 s22, exec_lo
	s_delay_alu instid0(VALU_DEP_1)
	v_cmp_lt_i32_e32 vcc_lo, v13, v6
	s_and_b32 s18, vcc_lo, exec_lo
; %bb.4684:
	s_or_b32 exec_lo, exec_lo, s23
	s_delay_alu instid0(SALU_CYCLE_1)
	s_and_not1_b32 s23, s16, exec_lo
	s_and_b32 s21, s21, exec_lo
	s_and_b32 s0, s18, exec_lo
	s_or_b32 s18, s23, s21
	s_or_not1_b32 s22, s22, exec_lo
.LBB14_4685:
	s_or_b32 exec_lo, exec_lo, s19
	s_mov_b32 s21, 0
	s_mov_b32 s23, 0
                                        ; implicit-def: $vgpr8
                                        ; implicit-def: $vgpr7
                                        ; implicit-def: $vgpr38_vgpr39
	s_and_saveexec_b32 s19, s22
	s_cbranch_execz .LBB14_7757
; %bb.4686:
	s_mov_b32 s24, -1
	s_mov_b32 s22, 0
	s_mov_b32 s20, s18
	;; [unrolled: 1-line block ×3, first 2 shown]
	s_and_saveexec_b32 s21, s0
	s_cbranch_execz .LBB14_4814
; %bb.4687:
	v_dual_add_nc_u32 v7, s2, v13 :: v_dual_mov_b32 v9, 0
	s_wait_loadcnt 0xb
	v_mul_f32_e32 v10, v80, v81
	v_cmp_lt_f32_e32 vcc_lo, 0, v81
	s_mov_b32 s0, 0
	v_mul_lo_u32 v8, v7, v12
	v_and_b32_e32 v7, 0xff, v11
	s_mov_b32 s23, s18
	v_cndmask_b32_e32 v38, v10, v81, vcc_lo
	s_mov_b32 s20, exec_lo
	s_delay_alu instid0(VALU_DEP_3)
	v_add_nc_u64_e32 v[8:9], v[0:1], v[8:9]
	v_cmpx_lt_i16_e32 10, v7
	s_xor_b32 s20, exec_lo, s20
	s_cbranch_execz .LBB14_4769
; %bb.4688:
	s_mov_b32 s23, s18
	s_mov_b32 s24, exec_lo
	v_cmpx_lt_i16_e32 25, v7
	s_xor_b32 s24, exec_lo, s24
	s_cbranch_execz .LBB14_4724
; %bb.4689:
	s_mov_b32 s25, s18
	s_mov_b32 s23, exec_lo
	;; [unrolled: 6-line block ×3, first 2 shown]
	v_cmpx_lt_i16_e32 43, v7
	s_xor_b32 s25, exec_lo, s25
	s_cbranch_execz .LBB14_4702
; %bb.4691:
	s_mov_b32 s26, 0
	s_mov_b32 s27, s18
	s_mov_b32 s0, exec_lo
	v_cmpx_lt_i16_e32 45, v7
	s_xor_b32 s0, exec_lo, s0
	s_cbranch_execz .LBB14_4695
; %bb.4692:
	s_mov_b32 s28, -1
	s_mov_b32 s27, exec_lo
	v_cmpx_eq_u16_e32 46, v7
	s_cbranch_execz .LBB14_4694
; %bb.4693:
	v_bfe_u32 v7, v38, 16, 1
	v_cmp_o_f32_e32 vcc_lo, v38, v38
	s_mov_b32 s26, exec_lo
	s_xor_b32 s28, exec_lo, -1
	s_delay_alu instid0(VALU_DEP_2) | instskip(NEXT) | instid1(VALU_DEP_1)
	v_add3_u32 v7, v38, v7, 0x7fff
	v_lshrrev_b32_e32 v7, 16, v7
	s_delay_alu instid0(VALU_DEP_1)
	v_cndmask_b32_e32 v7, 0x7fc0, v7, vcc_lo
	flat_store_b32 v[8:9], v7
.LBB14_4694:
	s_wait_xcnt 0x0
	s_or_b32 exec_lo, exec_lo, s27
	s_delay_alu instid0(SALU_CYCLE_1)
	s_and_not1_b32 s27, s18, exec_lo
	s_and_b32 s28, s28, exec_lo
	s_and_b32 s26, s26, exec_lo
	s_or_b32 s27, s27, s28
                                        ; implicit-def: $vgpr7
                                        ; implicit-def: $vgpr8_vgpr9
                                        ; implicit-def: $vgpr38
.LBB14_4695:
	s_and_not1_saveexec_b32 s28, s0
	s_cbranch_execz .LBB14_4701
; %bb.4696:
	s_mov_b32 s40, -1
	s_mov_b32 s0, s26
	s_mov_b32 s29, exec_lo
	v_cmpx_eq_u16_e32 44, v7
	s_cbranch_execz .LBB14_4700
; %bb.4697:
	v_bfe_u32 v10, v38, 23, 8
	v_mov_b32_e32 v7, 0xff
	s_mov_b32 s40, exec_lo
	s_delay_alu instid0(VALU_DEP_2)
	v_cmpx_ne_u32_e32 0xff, v10
	s_cbranch_execz .LBB14_4699
; %bb.4698:
	v_and_b32_e32 v7, 0x400000, v38
	v_and_or_b32 v10, 0x3fffff, v38, v10
	s_delay_alu instid0(VALU_DEP_2) | instskip(NEXT) | instid1(VALU_DEP_2)
	v_cmp_ne_u32_e32 vcc_lo, 0, v7
	v_cmp_ne_u32_e64 s0, 0, v10
	v_lshrrev_b32_e32 v7, 23, v38
	s_and_b32 s0, vcc_lo, s0
	s_delay_alu instid0(SALU_CYCLE_1) | instskip(NEXT) | instid1(VALU_DEP_1)
	v_cndmask_b32_e64 v10, 0, 1, s0
	v_add_nc_u32_e32 v7, v7, v10
.LBB14_4699:
	s_or_b32 exec_lo, exec_lo, s40
	s_delay_alu instid0(SALU_CYCLE_1)
	s_xor_b32 s40, exec_lo, -1
	s_or_b32 s0, s26, exec_lo
	flat_store_b8 v[8:9], v7
.LBB14_4700:
	s_wait_xcnt 0x0
	s_or_b32 exec_lo, exec_lo, s29
	s_delay_alu instid0(SALU_CYCLE_1)
	s_and_not1_b32 s27, s27, exec_lo
	s_and_b32 s29, s40, exec_lo
	s_and_not1_b32 s26, s26, exec_lo
	s_and_b32 s0, s0, exec_lo
	s_or_b32 s27, s27, s29
	s_or_b32 s26, s26, s0
.LBB14_4701:
	s_or_b32 exec_lo, exec_lo, s28
	s_delay_alu instid0(SALU_CYCLE_1) | instskip(SKIP_1) | instid1(SALU_CYCLE_1)
	s_and_not1_b32 s0, s18, exec_lo
	s_and_b32 s27, s27, exec_lo
                                        ; implicit-def: $vgpr7
                                        ; implicit-def: $vgpr38
                                        ; implicit-def: $vgpr8_vgpr9
	s_or_b32 s27, s0, s27
	s_and_b32 s0, s26, exec_lo
.LBB14_4702:
	s_and_not1_saveexec_b32 s25, s25
	s_cbranch_execz .LBB14_4706
; %bb.4703:
	s_mov_b32 s29, -1
	s_mov_b32 s28, s0
	s_mov_b32 s26, exec_lo
	v_cmpx_eq_u16_e32 29, v7
	s_cbranch_execz .LBB14_4705
; %bb.4704:
	v_trunc_f32_e32 v7, v38
	s_xor_b32 s29, exec_lo, -1
	s_or_b32 s28, s0, exec_lo
	s_delay_alu instid0(VALU_DEP_1) | instskip(NEXT) | instid1(VALU_DEP_1)
	v_mul_f32_e32 v10, 0x2f800000, v7
	v_floor_f32_e32 v10, v10
	s_delay_alu instid0(VALU_DEP_1) | instskip(SKIP_1) | instid1(VALU_DEP_2)
	v_fmamk_f32 v7, v10, 0xcf800000, v7
	v_cvt_u32_f32_e32 v39, v10
	v_cvt_u32_f32_e32 v38, v7
	flat_store_b64 v[8:9], v[38:39]
.LBB14_4705:
	s_wait_xcnt 0x0
	s_or_b32 exec_lo, exec_lo, s26
	s_delay_alu instid0(SALU_CYCLE_1)
	s_and_not1_b32 s26, s27, exec_lo
	s_and_b32 s27, s29, exec_lo
	s_and_not1_b32 s0, s0, exec_lo
	s_and_b32 s28, s28, exec_lo
	s_or_b32 s27, s26, s27
	s_or_b32 s0, s0, s28
.LBB14_4706:
	s_or_b32 exec_lo, exec_lo, s25
	s_delay_alu instid0(SALU_CYCLE_1)
	s_and_not1_b32 s25, s18, exec_lo
	s_and_b32 s26, s27, exec_lo
	s_and_b32 s0, s0, exec_lo
	s_or_b32 s25, s25, s26
                                        ; implicit-def: $vgpr8_vgpr9
                                        ; implicit-def: $vgpr7
                                        ; implicit-def: $vgpr38
.LBB14_4707:
	s_and_not1_saveexec_b32 s23, s23
	s_cbranch_execz .LBB14_4723
; %bb.4708:
	s_mov_b32 s26, exec_lo
	v_cmpx_lt_i16_e32 26, v7
	s_xor_b32 s26, exec_lo, s26
	s_cbranch_execz .LBB14_4714
; %bb.4709:
	v_cmp_lt_i16_e32 vcc_lo, 27, v7
	v_cvt_u32_f32_e32 v7, v38
	s_and_saveexec_b32 s27, vcc_lo
	s_delay_alu instid0(SALU_CYCLE_1)
	s_xor_b32 s27, exec_lo, s27
	s_cbranch_execz .LBB14_4711
; %bb.4710:
	flat_store_b32 v[8:9], v7
                                        ; implicit-def: $vgpr8_vgpr9
                                        ; implicit-def: $vgpr7
.LBB14_4711:
	s_wait_xcnt 0x0
	s_and_not1_saveexec_b32 s27, s27
	s_cbranch_execz .LBB14_4713
; %bb.4712:
	flat_store_b16 v[8:9], v7
.LBB14_4713:
	s_wait_xcnt 0x0
	s_or_b32 exec_lo, exec_lo, s27
                                        ; implicit-def: $vgpr8_vgpr9
                                        ; implicit-def: $vgpr38
.LBB14_4714:
	s_and_not1_saveexec_b32 s26, s26
	s_cbranch_execz .LBB14_4722
; %bb.4715:
	v_and_b32_e32 v7, 0x7fffffff, v38
	v_mov_b32_e32 v10, 0x80
	s_mov_b32 s27, exec_lo
	s_delay_alu instid0(VALU_DEP_2)
	v_cmpx_gt_u32_e32 0x43800000, v7
	s_cbranch_execz .LBB14_4721
; %bb.4716:
	v_cmp_lt_u32_e32 vcc_lo, 0x3bffffff, v7
	s_mov_b32 s28, 0
                                        ; implicit-def: $vgpr7
	s_and_saveexec_b32 s29, vcc_lo
	s_delay_alu instid0(SALU_CYCLE_1)
	s_xor_b32 s29, exec_lo, s29
	s_cbranch_execnz .LBB14_7847
; %bb.4717:
	s_and_not1_saveexec_b32 s29, s29
	s_cbranch_execnz .LBB14_7848
.LBB14_4718:
	s_or_b32 exec_lo, exec_lo, s29
	v_mov_b32_e32 v10, 0
	s_and_saveexec_b32 s29, s28
.LBB14_4719:
	v_lshrrev_b32_e32 v10, 24, v38
	s_delay_alu instid0(VALU_DEP_1)
	v_and_or_b32 v10, 0x80, v10, v7
.LBB14_4720:
	s_or_b32 exec_lo, exec_lo, s29
.LBB14_4721:
	s_delay_alu instid0(SALU_CYCLE_1)
	s_or_b32 exec_lo, exec_lo, s27
	flat_store_b8 v[8:9], v10
.LBB14_4722:
	s_wait_xcnt 0x0
	s_or_b32 exec_lo, exec_lo, s26
	s_delay_alu instid0(SALU_CYCLE_1)
	s_or_b32 s0, s0, exec_lo
.LBB14_4723:
	s_or_b32 exec_lo, exec_lo, s23
	s_delay_alu instid0(SALU_CYCLE_1)
	s_and_not1_b32 s23, s18, exec_lo
	s_and_b32 s25, s25, exec_lo
	s_and_b32 s0, s0, exec_lo
	s_or_b32 s23, s23, s25
                                        ; implicit-def: $vgpr7
                                        ; implicit-def: $vgpr38
                                        ; implicit-def: $vgpr8_vgpr9
.LBB14_4724:
	s_and_not1_saveexec_b32 s24, s24
	s_cbranch_execz .LBB14_4768
; %bb.4725:
	s_mov_b32 s26, s0
	s_mov_b32 s25, exec_lo
	v_cmpx_lt_i16_e32 22, v7
	s_xor_b32 s25, exec_lo, s25
	s_cbranch_execz .LBB14_4757
; %bb.4726:
	s_mov_b32 s26, exec_lo
	v_cmpx_lt_i16_e32 23, v7
	s_xor_b32 s26, exec_lo, s26
	s_cbranch_execz .LBB14_4746
; %bb.4727:
	;; [unrolled: 5-line block ×3, first 2 shown]
	v_and_b32_e32 v7, 0x7fffffff, v38
	v_mov_b32_e32 v10, 0x80
	s_mov_b32 s28, exec_lo
	s_delay_alu instid0(VALU_DEP_2)
	v_cmpx_gt_u32_e32 0x47800000, v7
	s_cbranch_execz .LBB14_4734
; %bb.4729:
	v_cmp_lt_u32_e32 vcc_lo, 0x37ffffff, v7
	s_mov_b32 s29, 0
                                        ; implicit-def: $vgpr7
	s_and_saveexec_b32 s40, vcc_lo
	s_delay_alu instid0(SALU_CYCLE_1)
	s_xor_b32 s40, exec_lo, s40
	s_cbranch_execnz .LBB14_7849
; %bb.4730:
	s_and_not1_saveexec_b32 s40, s40
	s_cbranch_execnz .LBB14_7850
.LBB14_4731:
	s_or_b32 exec_lo, exec_lo, s40
	v_mov_b32_e32 v10, 0
	s_and_saveexec_b32 s40, s29
.LBB14_4732:
	v_lshrrev_b32_e32 v10, 24, v38
	s_delay_alu instid0(VALU_DEP_1)
	v_and_or_b32 v10, 0x80, v10, v7
.LBB14_4733:
	s_or_b32 exec_lo, exec_lo, s40
.LBB14_4734:
	s_delay_alu instid0(SALU_CYCLE_1)
	s_or_b32 exec_lo, exec_lo, s28
	flat_store_b8 v[8:9], v10
                                        ; implicit-def: $vgpr38
                                        ; implicit-def: $vgpr8_vgpr9
.LBB14_4735:
	s_wait_xcnt 0x0
	s_and_not1_saveexec_b32 s27, s27
	s_cbranch_execz .LBB14_4745
; %bb.4736:
	v_and_b32_e32 v10, 0x7fffffff, v38
	s_mov_b32 s28, exec_lo
                                        ; implicit-def: $vgpr7
	s_delay_alu instid0(VALU_DEP_1)
	v_cmpx_gt_u32_e32 0x43f00000, v10
	s_xor_b32 s28, exec_lo, s28
	s_cbranch_execz .LBB14_4742
; %bb.4737:
	s_mov_b32 s29, exec_lo
                                        ; implicit-def: $vgpr7
	v_cmpx_lt_u32_e32 0x3c7fffff, v10
	s_xor_b32 s29, exec_lo, s29
; %bb.4738:
	v_bfe_u32 v7, v38, 20, 1
	s_delay_alu instid0(VALU_DEP_1) | instskip(NEXT) | instid1(VALU_DEP_1)
	v_add3_u32 v7, v38, v7, 0x407ffff
	v_and_b32_e32 v10, 0xff00000, v7
	v_lshrrev_b32_e32 v7, 20, v7
	s_delay_alu instid0(VALU_DEP_2) | instskip(NEXT) | instid1(VALU_DEP_2)
	v_cmp_ne_u32_e32 vcc_lo, 0x7f00000, v10
	v_cndmask_b32_e32 v7, 0x7e, v7, vcc_lo
; %bb.4739:
	s_and_not1_saveexec_b32 s29, s29
; %bb.4740:
	v_add_f32_e64 v7, 0x46800000, |v38|
; %bb.4741:
	s_or_b32 exec_lo, exec_lo, s29
                                        ; implicit-def: $vgpr10
.LBB14_4742:
	s_and_not1_saveexec_b32 s28, s28
; %bb.4743:
	v_mov_b32_e32 v7, 0x7f
	v_cmp_lt_u32_e32 vcc_lo, 0x7f800000, v10
	s_delay_alu instid0(VALU_DEP_2)
	v_cndmask_b32_e32 v7, 0x7e, v7, vcc_lo
; %bb.4744:
	s_or_b32 exec_lo, exec_lo, s28
	v_lshrrev_b32_e32 v10, 24, v38
	s_delay_alu instid0(VALU_DEP_1)
	v_and_or_b32 v7, 0x80, v10, v7
	flat_store_b8 v[8:9], v7
.LBB14_4745:
	s_wait_xcnt 0x0
	s_or_b32 exec_lo, exec_lo, s27
                                        ; implicit-def: $vgpr38
                                        ; implicit-def: $vgpr8_vgpr9
.LBB14_4746:
	s_and_not1_saveexec_b32 s26, s26
	s_cbranch_execz .LBB14_4756
; %bb.4747:
	v_and_b32_e32 v10, 0x7fffffff, v38
	s_mov_b32 s27, exec_lo
                                        ; implicit-def: $vgpr7
	s_delay_alu instid0(VALU_DEP_1)
	v_cmpx_gt_u32_e32 0x47800000, v10
	s_xor_b32 s27, exec_lo, s27
	s_cbranch_execz .LBB14_4753
; %bb.4748:
	s_mov_b32 s28, exec_lo
                                        ; implicit-def: $vgpr7
	v_cmpx_lt_u32_e32 0x387fffff, v10
	s_xor_b32 s28, exec_lo, s28
; %bb.4749:
	v_bfe_u32 v7, v38, 21, 1
	s_delay_alu instid0(VALU_DEP_1) | instskip(NEXT) | instid1(VALU_DEP_1)
	v_add3_u32 v7, v38, v7, 0x80fffff
	v_lshrrev_b32_e32 v7, 21, v7
; %bb.4750:
	s_and_not1_saveexec_b32 s28, s28
; %bb.4751:
	v_add_f32_e64 v7, 0x43000000, |v38|
; %bb.4752:
	s_or_b32 exec_lo, exec_lo, s28
                                        ; implicit-def: $vgpr10
.LBB14_4753:
	s_and_not1_saveexec_b32 s27, s27
; %bb.4754:
	v_mov_b32_e32 v7, 0x7f
	v_cmp_lt_u32_e32 vcc_lo, 0x7f800000, v10
	s_delay_alu instid0(VALU_DEP_2)
	v_cndmask_b32_e32 v7, 0x7c, v7, vcc_lo
; %bb.4755:
	s_or_b32 exec_lo, exec_lo, s27
	v_lshrrev_b32_e32 v10, 24, v38
	s_delay_alu instid0(VALU_DEP_1)
	v_and_or_b32 v7, 0x80, v10, v7
	flat_store_b8 v[8:9], v7
.LBB14_4756:
	s_wait_xcnt 0x0
	s_or_b32 exec_lo, exec_lo, s26
	s_delay_alu instid0(SALU_CYCLE_1)
	s_or_b32 s26, s0, exec_lo
                                        ; implicit-def: $vgpr7
                                        ; implicit-def: $vgpr38
                                        ; implicit-def: $vgpr8_vgpr9
.LBB14_4757:
	s_or_saveexec_b32 s25, s25
	s_mov_b32 s27, s23
	s_xor_b32 exec_lo, exec_lo, s25
	s_cbranch_execz .LBB14_4767
; %bb.4758:
	s_mov_b32 s27, s26
	s_mov_b32 s28, s23
	s_mov_b32 s29, exec_lo
	v_cmpx_lt_i16_e32 14, v7
	s_xor_b32 s29, exec_lo, s29
	s_cbranch_execz .LBB14_4762
; %bb.4759:
	s_mov_b32 s40, -1
	s_mov_b32 s27, s26
	s_mov_b32 s28, exec_lo
	v_cmpx_eq_u16_e32 15, v7
	s_cbranch_execz .LBB14_4761
; %bb.4760:
	v_bfe_u32 v7, v38, 16, 1
	v_cmp_o_f32_e32 vcc_lo, v38, v38
	s_xor_b32 s40, exec_lo, -1
	s_or_b32 s27, s26, exec_lo
	s_delay_alu instid0(VALU_DEP_2) | instskip(NEXT) | instid1(VALU_DEP_1)
	v_add3_u32 v7, v38, v7, 0x7fff
	v_lshrrev_b32_e32 v7, 16, v7
	s_delay_alu instid0(VALU_DEP_1)
	v_cndmask_b32_e32 v7, 0x7fc0, v7, vcc_lo
	flat_store_b16 v[8:9], v7
.LBB14_4761:
	s_wait_xcnt 0x0
	s_or_b32 exec_lo, exec_lo, s28
	s_delay_alu instid0(SALU_CYCLE_1)
	s_and_not1_b32 s28, s23, exec_lo
	s_and_b32 s40, s40, exec_lo
	s_and_not1_b32 s41, s26, exec_lo
	s_and_b32 s27, s27, exec_lo
	s_or_b32 s28, s28, s40
	s_or_b32 s27, s41, s27
                                        ; implicit-def: $vgpr7
                                        ; implicit-def: $vgpr38
                                        ; implicit-def: $vgpr8_vgpr9
.LBB14_4762:
	s_and_not1_saveexec_b32 s29, s29
	s_cbranch_execz .LBB14_4766
; %bb.4763:
	s_mov_b32 s41, -1
	s_mov_b32 s40, s27
	s_mov_b32 s42, exec_lo
	v_cmpx_eq_u16_e32 11, v7
	s_cbranch_execz .LBB14_4765
; %bb.4764:
	v_cmp_neq_f32_e32 vcc_lo, 0, v38
	s_xor_b32 s41, exec_lo, -1
	s_or_b32 s40, s27, exec_lo
	v_cndmask_b32_e64 v7, 0, 1, vcc_lo
	flat_store_b8 v[8:9], v7
.LBB14_4765:
	s_wait_xcnt 0x0
	s_or_b32 exec_lo, exec_lo, s42
	s_delay_alu instid0(SALU_CYCLE_1)
	s_and_not1_b32 s28, s28, exec_lo
	s_and_b32 s41, s41, exec_lo
	s_and_not1_b32 s27, s27, exec_lo
	s_and_b32 s40, s40, exec_lo
	s_or_b32 s28, s28, s41
	s_or_b32 s27, s27, s40
.LBB14_4766:
	s_or_b32 exec_lo, exec_lo, s29
	s_delay_alu instid0(SALU_CYCLE_1)
	s_and_not1_b32 s29, s23, exec_lo
	s_and_b32 s28, s28, exec_lo
	s_and_not1_b32 s26, s26, exec_lo
	s_and_b32 s40, s27, exec_lo
	s_or_b32 s27, s29, s28
	s_or_b32 s26, s26, s40
.LBB14_4767:
	s_or_b32 exec_lo, exec_lo, s25
	s_delay_alu instid0(SALU_CYCLE_1)
	s_and_not1_b32 s23, s23, exec_lo
	s_and_b32 s25, s27, exec_lo
	s_and_not1_b32 s0, s0, exec_lo
	s_and_b32 s26, s26, exec_lo
	s_or_b32 s23, s23, s25
	s_or_b32 s0, s0, s26
.LBB14_4768:
	s_or_b32 exec_lo, exec_lo, s24
	s_delay_alu instid0(SALU_CYCLE_1)
	s_and_not1_b32 s24, s18, exec_lo
	s_and_b32 s23, s23, exec_lo
	s_and_b32 s0, s0, exec_lo
	s_or_b32 s23, s24, s23
                                        ; implicit-def: $vgpr7
                                        ; implicit-def: $vgpr38
                                        ; implicit-def: $vgpr8_vgpr9
.LBB14_4769:
	s_and_not1_saveexec_b32 s20, s20
	s_cbranch_execz .LBB14_4811
; %bb.4770:
	s_mov_b32 s24, exec_lo
	v_cmpx_lt_i16_e32 4, v7
	s_xor_b32 s24, exec_lo, s24
	s_cbranch_execz .LBB14_4792
; %bb.4771:
	s_mov_b32 s25, exec_lo
	v_cmpx_lt_i16_e32 7, v7
	s_xor_b32 s25, exec_lo, s25
	;; [unrolled: 5-line block ×4, first 2 shown]
	s_cbranch_execz .LBB14_4775
; %bb.4774:
	v_cvt_f64_f32_e32 v[84:85], v38
	v_mov_b32_e32 v86, 0
                                        ; implicit-def: $vgpr38
	s_delay_alu instid0(VALU_DEP_1)
	v_mov_b32_e32 v87, v86
	flat_store_b128 v[8:9], v[84:87]
                                        ; implicit-def: $vgpr8_vgpr9
.LBB14_4775:
	s_wait_xcnt 0x0
	s_and_not1_saveexec_b32 s27, s27
	s_cbranch_execz .LBB14_4777
; %bb.4776:
	v_mov_b32_e32 v39, 0
	flat_store_b64 v[8:9], v[38:39]
.LBB14_4777:
	s_wait_xcnt 0x0
	s_or_b32 exec_lo, exec_lo, s27
                                        ; implicit-def: $vgpr38
                                        ; implicit-def: $vgpr8_vgpr9
.LBB14_4778:
	s_and_not1_saveexec_b32 s26, s26
	s_cbranch_execz .LBB14_4780
; %bb.4779:
	v_cvt_f16_f32_e32 v7, v38
	s_delay_alu instid0(VALU_DEP_1)
	v_and_b32_e32 v7, 0xffff, v7
	flat_store_b32 v[8:9], v7
.LBB14_4780:
	s_wait_xcnt 0x0
	s_or_b32 exec_lo, exec_lo, s26
                                        ; implicit-def: $vgpr38
                                        ; implicit-def: $vgpr8_vgpr9
                                        ; implicit-def: $vgpr7
.LBB14_4781:
	s_and_not1_saveexec_b32 s25, s25
	s_cbranch_execz .LBB14_4791
; %bb.4782:
	s_mov_b32 s26, exec_lo
	v_cmpx_lt_i16_e32 5, v7
	s_xor_b32 s26, exec_lo, s26
	s_cbranch_execz .LBB14_4788
; %bb.4783:
	s_mov_b32 s27, exec_lo
	v_cmpx_lt_i16_e32 6, v7
	s_xor_b32 s27, exec_lo, s27
	s_cbranch_execz .LBB14_4785
; %bb.4784:
	v_cvt_f64_f32_e32 v[38:39], v38
	flat_store_b64 v[8:9], v[38:39]
                                        ; implicit-def: $vgpr8_vgpr9
                                        ; implicit-def: $vgpr38
.LBB14_4785:
	s_wait_xcnt 0x0
	s_and_not1_saveexec_b32 s27, s27
	s_cbranch_execz .LBB14_4787
; %bb.4786:
	flat_store_b32 v[8:9], v38
.LBB14_4787:
	s_wait_xcnt 0x0
	s_or_b32 exec_lo, exec_lo, s27
                                        ; implicit-def: $vgpr38
                                        ; implicit-def: $vgpr8_vgpr9
.LBB14_4788:
	s_and_not1_saveexec_b32 s26, s26
	s_cbranch_execz .LBB14_4790
; %bb.4789:
	v_cvt_f16_f32_e32 v7, v38
	flat_store_b16 v[8:9], v7
.LBB14_4790:
	s_wait_xcnt 0x0
	s_or_b32 exec_lo, exec_lo, s26
.LBB14_4791:
	s_delay_alu instid0(SALU_CYCLE_1)
	s_or_b32 exec_lo, exec_lo, s25
                                        ; implicit-def: $vgpr7
                                        ; implicit-def: $vgpr38
                                        ; implicit-def: $vgpr8_vgpr9
.LBB14_4792:
	s_and_not1_saveexec_b32 s24, s24
	s_cbranch_execz .LBB14_4810
; %bb.4793:
	s_mov_b32 s25, exec_lo
	v_cmpx_lt_i16_e32 1, v7
	s_xor_b32 s25, exec_lo, s25
	s_cbranch_execz .LBB14_4803
; %bb.4794:
	s_mov_b32 s26, exec_lo
	v_cmpx_lt_i16_e32 2, v7
	s_xor_b32 s26, exec_lo, s26
	;; [unrolled: 5-line block ×3, first 2 shown]
	s_cbranch_execz .LBB14_4797
; %bb.4796:
	v_trunc_f32_e32 v7, v38
	s_delay_alu instid0(VALU_DEP_1) | instskip(SKIP_1) | instid1(VALU_DEP_2)
	v_mul_f32_e64 v10, 0x2f800000, |v7|
	v_ashrrev_i32_e32 v38, 31, v7
	v_floor_f32_e32 v10, v10
	s_delay_alu instid0(VALU_DEP_1) | instskip(SKIP_1) | instid1(VALU_DEP_2)
	v_fma_f32 v39, 0xcf800000, v10, |v7|
	v_cvt_u32_f32_e32 v7, v10
	v_cvt_u32_f32_e32 v10, v39
	s_delay_alu instid0(VALU_DEP_2) | instskip(NEXT) | instid1(VALU_DEP_2)
	v_dual_mov_b32 v39, v38 :: v_dual_bitop2_b32 v81, v7, v38 bitop3:0x14
	v_xor_b32_e32 v80, v10, v38
	s_delay_alu instid0(VALU_DEP_1)
	v_sub_nc_u64_e32 v[38:39], v[80:81], v[38:39]
	flat_store_b64 v[8:9], v[38:39]
                                        ; implicit-def: $vgpr38
                                        ; implicit-def: $vgpr8_vgpr9
.LBB14_4797:
	s_wait_xcnt 0x0
	s_and_not1_saveexec_b32 s27, s27
	s_cbranch_execz .LBB14_4799
; %bb.4798:
	v_cvt_i32_f32_e32 v7, v38
	flat_store_b32 v[8:9], v7
.LBB14_4799:
	s_wait_xcnt 0x0
	s_or_b32 exec_lo, exec_lo, s27
                                        ; implicit-def: $vgpr38
                                        ; implicit-def: $vgpr8_vgpr9
.LBB14_4800:
	s_and_not1_saveexec_b32 s26, s26
	s_cbranch_execz .LBB14_4802
; %bb.4801:
	v_cvt_i32_f32_e32 v7, v38
	flat_store_b16 v[8:9], v7
.LBB14_4802:
	s_wait_xcnt 0x0
	s_or_b32 exec_lo, exec_lo, s26
                                        ; implicit-def: $vgpr38
                                        ; implicit-def: $vgpr8_vgpr9
                                        ; implicit-def: $vgpr7
.LBB14_4803:
	s_and_not1_saveexec_b32 s25, s25
	s_cbranch_execz .LBB14_4809
; %bb.4804:
	s_mov_b32 s26, exec_lo
	v_cmpx_lt_i16_e32 0, v7
	s_xor_b32 s26, exec_lo, s26
	s_cbranch_execz .LBB14_4806
; %bb.4805:
	v_cvt_i32_f32_e32 v7, v38
                                        ; implicit-def: $vgpr38
	flat_store_b8 v[8:9], v7
                                        ; implicit-def: $vgpr8_vgpr9
.LBB14_4806:
	s_wait_xcnt 0x0
	s_and_not1_saveexec_b32 s26, s26
	s_cbranch_execz .LBB14_4808
; %bb.4807:
	v_trunc_f32_e32 v7, v38
	s_delay_alu instid0(VALU_DEP_1) | instskip(NEXT) | instid1(VALU_DEP_1)
	v_mul_f32_e64 v10, 0x2f800000, |v7|
	v_floor_f32_e32 v10, v10
	s_delay_alu instid0(VALU_DEP_1) | instskip(SKIP_1) | instid1(VALU_DEP_2)
	v_fma_f32 v10, 0xcf800000, v10, |v7|
	v_ashrrev_i32_e32 v7, 31, v7
	v_cvt_u32_f32_e32 v10, v10
	s_delay_alu instid0(VALU_DEP_1) | instskip(NEXT) | instid1(VALU_DEP_1)
	v_xor_b32_e32 v10, v10, v7
	v_sub_nc_u32_e32 v7, v10, v7
	flat_store_b8 v[8:9], v7
.LBB14_4808:
	s_wait_xcnt 0x0
	s_or_b32 exec_lo, exec_lo, s26
.LBB14_4809:
	s_delay_alu instid0(SALU_CYCLE_1)
	s_or_b32 exec_lo, exec_lo, s25
.LBB14_4810:
	s_delay_alu instid0(SALU_CYCLE_1) | instskip(NEXT) | instid1(SALU_CYCLE_1)
	s_or_b32 exec_lo, exec_lo, s24
	s_or_b32 s0, s0, exec_lo
.LBB14_4811:
	s_or_b32 exec_lo, exec_lo, s20
	s_mov_b32 s24, 0
	s_mov_b32 s20, 0
	s_and_saveexec_b32 s25, s0
; %bb.4812:
	v_add_nc_u32_e32 v13, 0x200, v13
	s_mov_b32 s24, exec_lo
	s_delay_alu instid0(VALU_DEP_1)
	v_cmp_lt_i32_e32 vcc_lo, v13, v6
	s_and_b32 s20, vcc_lo, exec_lo
; %bb.4813:
	s_or_b32 exec_lo, exec_lo, s25
	s_delay_alu instid0(SALU_CYCLE_1)
	s_and_not1_b32 s0, s18, exec_lo
	s_and_b32 s23, s23, exec_lo
	s_and_b32 s25, s20, exec_lo
	s_or_b32 s20, s0, s23
	s_or_not1_b32 s24, s24, exec_lo
.LBB14_4814:
	s_or_b32 exec_lo, exec_lo, s21
	s_mov_b32 s0, 0
	s_mov_b32 s23, 0
                                        ; implicit-def: $vgpr8
                                        ; implicit-def: $vgpr7
                                        ; implicit-def: $vgpr38_vgpr39
	s_and_saveexec_b32 s21, s24
	s_cbranch_execz .LBB14_7756
; %bb.4815:
	s_mov_b32 s26, -1
	s_mov_b32 s24, 0
	s_mov_b32 s22, s20
	s_and_saveexec_b32 s23, s25
	s_cbranch_execz .LBB14_4943
; %bb.4816:
	v_dual_add_nc_u32 v7, s2, v13 :: v_dual_mov_b32 v9, 0
	s_wait_loadcnt 0xb
	v_mul_f32_e32 v10, v82, v83
	v_cmp_lt_f32_e32 vcc_lo, 0, v83
	s_mov_b32 s25, s20
	v_mul_lo_u32 v8, v7, v12
	v_and_b32_e32 v7, 0xff, v11
	s_mov_b32 s22, exec_lo
	v_cndmask_b32_e32 v38, v10, v83, vcc_lo
	s_delay_alu instid0(VALU_DEP_3) | instskip(NEXT) | instid1(VALU_DEP_3)
	v_add_nc_u64_e32 v[8:9], v[0:1], v[8:9]
	v_cmpx_lt_i16_e32 10, v7
	s_xor_b32 s22, exec_lo, s22
	s_cbranch_execz .LBB14_4898
; %bb.4817:
	s_mov_b32 s25, s20
	s_mov_b32 s26, exec_lo
	v_cmpx_lt_i16_e32 25, v7
	s_xor_b32 s26, exec_lo, s26
	s_cbranch_execz .LBB14_4853
; %bb.4818:
	s_mov_b32 s27, s20
	s_mov_b32 s25, exec_lo
	;; [unrolled: 6-line block ×3, first 2 shown]
	v_cmpx_lt_i16_e32 43, v7
	s_xor_b32 s27, exec_lo, s27
	s_cbranch_execz .LBB14_4831
; %bb.4820:
	s_mov_b32 s28, 0
	s_mov_b32 s29, s20
	s_mov_b32 s0, exec_lo
	v_cmpx_lt_i16_e32 45, v7
	s_xor_b32 s0, exec_lo, s0
	s_cbranch_execz .LBB14_4824
; %bb.4821:
	s_mov_b32 s40, -1
	s_mov_b32 s29, exec_lo
	v_cmpx_eq_u16_e32 46, v7
	s_cbranch_execz .LBB14_4823
; %bb.4822:
	v_bfe_u32 v7, v38, 16, 1
	v_cmp_o_f32_e32 vcc_lo, v38, v38
	s_mov_b32 s28, exec_lo
	s_xor_b32 s40, exec_lo, -1
	s_delay_alu instid0(VALU_DEP_2) | instskip(NEXT) | instid1(VALU_DEP_1)
	v_add3_u32 v7, v38, v7, 0x7fff
	v_lshrrev_b32_e32 v7, 16, v7
	s_delay_alu instid0(VALU_DEP_1)
	v_cndmask_b32_e32 v7, 0x7fc0, v7, vcc_lo
	flat_store_b32 v[8:9], v7
.LBB14_4823:
	s_wait_xcnt 0x0
	s_or_b32 exec_lo, exec_lo, s29
	s_delay_alu instid0(SALU_CYCLE_1)
	s_and_not1_b32 s29, s20, exec_lo
	s_and_b32 s40, s40, exec_lo
	s_and_b32 s28, s28, exec_lo
	s_or_b32 s29, s29, s40
                                        ; implicit-def: $vgpr7
                                        ; implicit-def: $vgpr8_vgpr9
                                        ; implicit-def: $vgpr38
.LBB14_4824:
	s_and_not1_saveexec_b32 s40, s0
	s_cbranch_execz .LBB14_4830
; %bb.4825:
	s_mov_b32 s42, -1
	s_mov_b32 s0, s28
	s_mov_b32 s41, exec_lo
	v_cmpx_eq_u16_e32 44, v7
	s_cbranch_execz .LBB14_4829
; %bb.4826:
	v_bfe_u32 v10, v38, 23, 8
	v_mov_b32_e32 v7, 0xff
	s_mov_b32 s42, exec_lo
	s_delay_alu instid0(VALU_DEP_2)
	v_cmpx_ne_u32_e32 0xff, v10
	s_cbranch_execz .LBB14_4828
; %bb.4827:
	v_and_b32_e32 v7, 0x400000, v38
	v_and_or_b32 v10, 0x3fffff, v38, v10
	s_delay_alu instid0(VALU_DEP_2) | instskip(NEXT) | instid1(VALU_DEP_2)
	v_cmp_ne_u32_e32 vcc_lo, 0, v7
	v_cmp_ne_u32_e64 s0, 0, v10
	v_lshrrev_b32_e32 v7, 23, v38
	s_and_b32 s0, vcc_lo, s0
	s_delay_alu instid0(SALU_CYCLE_1) | instskip(NEXT) | instid1(VALU_DEP_1)
	v_cndmask_b32_e64 v10, 0, 1, s0
	v_add_nc_u32_e32 v7, v7, v10
.LBB14_4828:
	s_or_b32 exec_lo, exec_lo, s42
	s_delay_alu instid0(SALU_CYCLE_1)
	s_xor_b32 s42, exec_lo, -1
	s_or_b32 s0, s28, exec_lo
	flat_store_b8 v[8:9], v7
.LBB14_4829:
	s_wait_xcnt 0x0
	s_or_b32 exec_lo, exec_lo, s41
	s_delay_alu instid0(SALU_CYCLE_1)
	s_and_not1_b32 s29, s29, exec_lo
	s_and_b32 s41, s42, exec_lo
	s_and_not1_b32 s28, s28, exec_lo
	s_and_b32 s0, s0, exec_lo
	s_or_b32 s29, s29, s41
	s_or_b32 s28, s28, s0
.LBB14_4830:
	s_or_b32 exec_lo, exec_lo, s40
	s_delay_alu instid0(SALU_CYCLE_1) | instskip(SKIP_1) | instid1(SALU_CYCLE_1)
	s_and_not1_b32 s0, s20, exec_lo
	s_and_b32 s29, s29, exec_lo
                                        ; implicit-def: $vgpr7
                                        ; implicit-def: $vgpr38
                                        ; implicit-def: $vgpr8_vgpr9
	s_or_b32 s29, s0, s29
	s_and_b32 s0, s28, exec_lo
.LBB14_4831:
	s_and_not1_saveexec_b32 s27, s27
	s_cbranch_execz .LBB14_4835
; %bb.4832:
	s_mov_b32 s41, -1
	s_mov_b32 s40, s0
	s_mov_b32 s28, exec_lo
	v_cmpx_eq_u16_e32 29, v7
	s_cbranch_execz .LBB14_4834
; %bb.4833:
	v_trunc_f32_e32 v7, v38
	s_xor_b32 s41, exec_lo, -1
	s_or_b32 s40, s0, exec_lo
	s_delay_alu instid0(VALU_DEP_1) | instskip(NEXT) | instid1(VALU_DEP_1)
	v_mul_f32_e32 v10, 0x2f800000, v7
	v_floor_f32_e32 v10, v10
	s_delay_alu instid0(VALU_DEP_1) | instskip(SKIP_1) | instid1(VALU_DEP_2)
	v_fmamk_f32 v7, v10, 0xcf800000, v7
	v_cvt_u32_f32_e32 v39, v10
	v_cvt_u32_f32_e32 v38, v7
	flat_store_b64 v[8:9], v[38:39]
.LBB14_4834:
	s_wait_xcnt 0x0
	s_or_b32 exec_lo, exec_lo, s28
	s_delay_alu instid0(SALU_CYCLE_1)
	s_and_not1_b32 s28, s29, exec_lo
	s_and_b32 s29, s41, exec_lo
	s_and_not1_b32 s0, s0, exec_lo
	s_and_b32 s40, s40, exec_lo
	s_or_b32 s29, s28, s29
	s_or_b32 s0, s0, s40
.LBB14_4835:
	s_or_b32 exec_lo, exec_lo, s27
	s_delay_alu instid0(SALU_CYCLE_1)
	s_and_not1_b32 s27, s20, exec_lo
	s_and_b32 s28, s29, exec_lo
	s_and_b32 s0, s0, exec_lo
	s_or_b32 s27, s27, s28
                                        ; implicit-def: $vgpr8_vgpr9
                                        ; implicit-def: $vgpr7
                                        ; implicit-def: $vgpr38
.LBB14_4836:
	s_and_not1_saveexec_b32 s25, s25
	s_cbranch_execz .LBB14_4852
; %bb.4837:
	s_mov_b32 s28, exec_lo
	v_cmpx_lt_i16_e32 26, v7
	s_xor_b32 s28, exec_lo, s28
	s_cbranch_execz .LBB14_4843
; %bb.4838:
	v_cmp_lt_i16_e32 vcc_lo, 27, v7
	v_cvt_u32_f32_e32 v7, v38
	s_and_saveexec_b32 s29, vcc_lo
	s_delay_alu instid0(SALU_CYCLE_1)
	s_xor_b32 s29, exec_lo, s29
	s_cbranch_execz .LBB14_4840
; %bb.4839:
	flat_store_b32 v[8:9], v7
                                        ; implicit-def: $vgpr8_vgpr9
                                        ; implicit-def: $vgpr7
.LBB14_4840:
	s_wait_xcnt 0x0
	s_and_not1_saveexec_b32 s29, s29
	s_cbranch_execz .LBB14_4842
; %bb.4841:
	flat_store_b16 v[8:9], v7
.LBB14_4842:
	s_wait_xcnt 0x0
	s_or_b32 exec_lo, exec_lo, s29
                                        ; implicit-def: $vgpr8_vgpr9
                                        ; implicit-def: $vgpr38
.LBB14_4843:
	s_and_not1_saveexec_b32 s28, s28
	s_cbranch_execz .LBB14_4851
; %bb.4844:
	v_and_b32_e32 v7, 0x7fffffff, v38
	v_mov_b32_e32 v10, 0x80
	s_mov_b32 s29, exec_lo
	s_delay_alu instid0(VALU_DEP_2)
	v_cmpx_gt_u32_e32 0x43800000, v7
	s_cbranch_execz .LBB14_4850
; %bb.4845:
	v_cmp_lt_u32_e32 vcc_lo, 0x3bffffff, v7
	s_mov_b32 s40, 0
                                        ; implicit-def: $vgpr7
	s_and_saveexec_b32 s41, vcc_lo
	s_delay_alu instid0(SALU_CYCLE_1)
	s_xor_b32 s41, exec_lo, s41
	s_cbranch_execnz .LBB14_7851
; %bb.4846:
	s_and_not1_saveexec_b32 s41, s41
	s_cbranch_execnz .LBB14_7852
.LBB14_4847:
	s_or_b32 exec_lo, exec_lo, s41
	v_mov_b32_e32 v10, 0
	s_and_saveexec_b32 s41, s40
.LBB14_4848:
	v_lshrrev_b32_e32 v10, 24, v38
	s_delay_alu instid0(VALU_DEP_1)
	v_and_or_b32 v10, 0x80, v10, v7
.LBB14_4849:
	s_or_b32 exec_lo, exec_lo, s41
.LBB14_4850:
	s_delay_alu instid0(SALU_CYCLE_1)
	s_or_b32 exec_lo, exec_lo, s29
	flat_store_b8 v[8:9], v10
.LBB14_4851:
	s_wait_xcnt 0x0
	s_or_b32 exec_lo, exec_lo, s28
	s_delay_alu instid0(SALU_CYCLE_1)
	s_or_b32 s0, s0, exec_lo
.LBB14_4852:
	s_or_b32 exec_lo, exec_lo, s25
	s_delay_alu instid0(SALU_CYCLE_1)
	s_and_not1_b32 s25, s20, exec_lo
	s_and_b32 s27, s27, exec_lo
	s_and_b32 s0, s0, exec_lo
	s_or_b32 s25, s25, s27
                                        ; implicit-def: $vgpr7
                                        ; implicit-def: $vgpr38
                                        ; implicit-def: $vgpr8_vgpr9
.LBB14_4853:
	s_and_not1_saveexec_b32 s26, s26
	s_cbranch_execz .LBB14_4897
; %bb.4854:
	s_mov_b32 s28, s0
	s_mov_b32 s27, exec_lo
	v_cmpx_lt_i16_e32 22, v7
	s_xor_b32 s27, exec_lo, s27
	s_cbranch_execz .LBB14_4886
; %bb.4855:
	s_mov_b32 s28, exec_lo
	v_cmpx_lt_i16_e32 23, v7
	s_xor_b32 s28, exec_lo, s28
	s_cbranch_execz .LBB14_4875
; %bb.4856:
	;; [unrolled: 5-line block ×3, first 2 shown]
	v_and_b32_e32 v7, 0x7fffffff, v38
	v_mov_b32_e32 v10, 0x80
	s_mov_b32 s40, exec_lo
	s_delay_alu instid0(VALU_DEP_2)
	v_cmpx_gt_u32_e32 0x47800000, v7
	s_cbranch_execz .LBB14_4863
; %bb.4858:
	v_cmp_lt_u32_e32 vcc_lo, 0x37ffffff, v7
	s_mov_b32 s41, 0
                                        ; implicit-def: $vgpr7
	s_and_saveexec_b32 s42, vcc_lo
	s_delay_alu instid0(SALU_CYCLE_1)
	s_xor_b32 s42, exec_lo, s42
	s_cbranch_execnz .LBB14_7853
; %bb.4859:
	s_and_not1_saveexec_b32 s42, s42
	s_cbranch_execnz .LBB14_7854
.LBB14_4860:
	s_or_b32 exec_lo, exec_lo, s42
	v_mov_b32_e32 v10, 0
	s_and_saveexec_b32 s42, s41
.LBB14_4861:
	v_lshrrev_b32_e32 v10, 24, v38
	s_delay_alu instid0(VALU_DEP_1)
	v_and_or_b32 v10, 0x80, v10, v7
.LBB14_4862:
	s_or_b32 exec_lo, exec_lo, s42
.LBB14_4863:
	s_delay_alu instid0(SALU_CYCLE_1)
	s_or_b32 exec_lo, exec_lo, s40
	flat_store_b8 v[8:9], v10
                                        ; implicit-def: $vgpr38
                                        ; implicit-def: $vgpr8_vgpr9
.LBB14_4864:
	s_wait_xcnt 0x0
	s_and_not1_saveexec_b32 s29, s29
	s_cbranch_execz .LBB14_4874
; %bb.4865:
	v_and_b32_e32 v10, 0x7fffffff, v38
	s_mov_b32 s40, exec_lo
                                        ; implicit-def: $vgpr7
	s_delay_alu instid0(VALU_DEP_1)
	v_cmpx_gt_u32_e32 0x43f00000, v10
	s_xor_b32 s40, exec_lo, s40
	s_cbranch_execz .LBB14_4871
; %bb.4866:
	s_mov_b32 s41, exec_lo
                                        ; implicit-def: $vgpr7
	v_cmpx_lt_u32_e32 0x3c7fffff, v10
	s_xor_b32 s41, exec_lo, s41
; %bb.4867:
	v_bfe_u32 v7, v38, 20, 1
	s_delay_alu instid0(VALU_DEP_1) | instskip(NEXT) | instid1(VALU_DEP_1)
	v_add3_u32 v7, v38, v7, 0x407ffff
	v_and_b32_e32 v10, 0xff00000, v7
	v_lshrrev_b32_e32 v7, 20, v7
	s_delay_alu instid0(VALU_DEP_2) | instskip(NEXT) | instid1(VALU_DEP_2)
	v_cmp_ne_u32_e32 vcc_lo, 0x7f00000, v10
	v_cndmask_b32_e32 v7, 0x7e, v7, vcc_lo
; %bb.4868:
	s_and_not1_saveexec_b32 s41, s41
; %bb.4869:
	v_add_f32_e64 v7, 0x46800000, |v38|
; %bb.4870:
	s_or_b32 exec_lo, exec_lo, s41
                                        ; implicit-def: $vgpr10
.LBB14_4871:
	s_and_not1_saveexec_b32 s40, s40
; %bb.4872:
	v_mov_b32_e32 v7, 0x7f
	v_cmp_lt_u32_e32 vcc_lo, 0x7f800000, v10
	s_delay_alu instid0(VALU_DEP_2)
	v_cndmask_b32_e32 v7, 0x7e, v7, vcc_lo
; %bb.4873:
	s_or_b32 exec_lo, exec_lo, s40
	v_lshrrev_b32_e32 v10, 24, v38
	s_delay_alu instid0(VALU_DEP_1)
	v_and_or_b32 v7, 0x80, v10, v7
	flat_store_b8 v[8:9], v7
.LBB14_4874:
	s_wait_xcnt 0x0
	s_or_b32 exec_lo, exec_lo, s29
                                        ; implicit-def: $vgpr38
                                        ; implicit-def: $vgpr8_vgpr9
.LBB14_4875:
	s_and_not1_saveexec_b32 s28, s28
	s_cbranch_execz .LBB14_4885
; %bb.4876:
	v_and_b32_e32 v10, 0x7fffffff, v38
	s_mov_b32 s29, exec_lo
                                        ; implicit-def: $vgpr7
	s_delay_alu instid0(VALU_DEP_1)
	v_cmpx_gt_u32_e32 0x47800000, v10
	s_xor_b32 s29, exec_lo, s29
	s_cbranch_execz .LBB14_4882
; %bb.4877:
	s_mov_b32 s40, exec_lo
                                        ; implicit-def: $vgpr7
	v_cmpx_lt_u32_e32 0x387fffff, v10
	s_xor_b32 s40, exec_lo, s40
; %bb.4878:
	v_bfe_u32 v7, v38, 21, 1
	s_delay_alu instid0(VALU_DEP_1) | instskip(NEXT) | instid1(VALU_DEP_1)
	v_add3_u32 v7, v38, v7, 0x80fffff
	v_lshrrev_b32_e32 v7, 21, v7
; %bb.4879:
	s_and_not1_saveexec_b32 s40, s40
; %bb.4880:
	v_add_f32_e64 v7, 0x43000000, |v38|
; %bb.4881:
	s_or_b32 exec_lo, exec_lo, s40
                                        ; implicit-def: $vgpr10
.LBB14_4882:
	s_and_not1_saveexec_b32 s29, s29
; %bb.4883:
	v_mov_b32_e32 v7, 0x7f
	v_cmp_lt_u32_e32 vcc_lo, 0x7f800000, v10
	s_delay_alu instid0(VALU_DEP_2)
	v_cndmask_b32_e32 v7, 0x7c, v7, vcc_lo
; %bb.4884:
	s_or_b32 exec_lo, exec_lo, s29
	v_lshrrev_b32_e32 v10, 24, v38
	s_delay_alu instid0(VALU_DEP_1)
	v_and_or_b32 v7, 0x80, v10, v7
	flat_store_b8 v[8:9], v7
.LBB14_4885:
	s_wait_xcnt 0x0
	s_or_b32 exec_lo, exec_lo, s28
	s_delay_alu instid0(SALU_CYCLE_1)
	s_or_b32 s28, s0, exec_lo
                                        ; implicit-def: $vgpr7
                                        ; implicit-def: $vgpr38
                                        ; implicit-def: $vgpr8_vgpr9
.LBB14_4886:
	s_or_saveexec_b32 s27, s27
	s_mov_b32 s29, s25
	s_xor_b32 exec_lo, exec_lo, s27
	s_cbranch_execz .LBB14_4896
; %bb.4887:
	s_mov_b32 s29, s28
	s_mov_b32 s40, s25
	s_mov_b32 s41, exec_lo
	v_cmpx_lt_i16_e32 14, v7
	s_xor_b32 s41, exec_lo, s41
	s_cbranch_execz .LBB14_4891
; %bb.4888:
	s_mov_b32 s42, -1
	s_mov_b32 s29, s28
	s_mov_b32 s40, exec_lo
	v_cmpx_eq_u16_e32 15, v7
	s_cbranch_execz .LBB14_4890
; %bb.4889:
	v_bfe_u32 v7, v38, 16, 1
	v_cmp_o_f32_e32 vcc_lo, v38, v38
	s_xor_b32 s42, exec_lo, -1
	s_or_b32 s29, s28, exec_lo
	s_delay_alu instid0(VALU_DEP_2) | instskip(NEXT) | instid1(VALU_DEP_1)
	v_add3_u32 v7, v38, v7, 0x7fff
	v_lshrrev_b32_e32 v7, 16, v7
	s_delay_alu instid0(VALU_DEP_1)
	v_cndmask_b32_e32 v7, 0x7fc0, v7, vcc_lo
	flat_store_b16 v[8:9], v7
.LBB14_4890:
	s_wait_xcnt 0x0
	s_or_b32 exec_lo, exec_lo, s40
	s_delay_alu instid0(SALU_CYCLE_1)
	s_and_not1_b32 s40, s25, exec_lo
	s_and_b32 s42, s42, exec_lo
	s_and_not1_b32 s43, s28, exec_lo
	s_and_b32 s29, s29, exec_lo
	s_or_b32 s40, s40, s42
	s_or_b32 s29, s43, s29
                                        ; implicit-def: $vgpr7
                                        ; implicit-def: $vgpr38
                                        ; implicit-def: $vgpr8_vgpr9
.LBB14_4891:
	s_and_not1_saveexec_b32 s41, s41
	s_cbranch_execz .LBB14_4895
; %bb.4892:
	s_mov_b32 s43, -1
	s_mov_b32 s42, s29
	s_mov_b32 s44, exec_lo
	v_cmpx_eq_u16_e32 11, v7
	s_cbranch_execz .LBB14_4894
; %bb.4893:
	v_cmp_neq_f32_e32 vcc_lo, 0, v38
	s_xor_b32 s43, exec_lo, -1
	s_or_b32 s42, s29, exec_lo
	v_cndmask_b32_e64 v7, 0, 1, vcc_lo
	flat_store_b8 v[8:9], v7
.LBB14_4894:
	s_wait_xcnt 0x0
	s_or_b32 exec_lo, exec_lo, s44
	s_delay_alu instid0(SALU_CYCLE_1)
	s_and_not1_b32 s40, s40, exec_lo
	s_and_b32 s43, s43, exec_lo
	s_and_not1_b32 s29, s29, exec_lo
	s_and_b32 s42, s42, exec_lo
	s_or_b32 s40, s40, s43
	s_or_b32 s29, s29, s42
.LBB14_4895:
	s_or_b32 exec_lo, exec_lo, s41
	s_delay_alu instid0(SALU_CYCLE_1)
	s_and_not1_b32 s41, s25, exec_lo
	s_and_b32 s40, s40, exec_lo
	s_and_not1_b32 s28, s28, exec_lo
	s_and_b32 s42, s29, exec_lo
	s_or_b32 s29, s41, s40
	s_or_b32 s28, s28, s42
.LBB14_4896:
	s_or_b32 exec_lo, exec_lo, s27
	s_delay_alu instid0(SALU_CYCLE_1)
	s_and_not1_b32 s25, s25, exec_lo
	s_and_b32 s27, s29, exec_lo
	s_and_not1_b32 s0, s0, exec_lo
	s_and_b32 s28, s28, exec_lo
	s_or_b32 s25, s25, s27
	s_or_b32 s0, s0, s28
.LBB14_4897:
	s_or_b32 exec_lo, exec_lo, s26
	s_delay_alu instid0(SALU_CYCLE_1)
	s_and_not1_b32 s26, s20, exec_lo
	s_and_b32 s25, s25, exec_lo
	s_and_b32 s0, s0, exec_lo
	s_or_b32 s25, s26, s25
                                        ; implicit-def: $vgpr7
                                        ; implicit-def: $vgpr38
                                        ; implicit-def: $vgpr8_vgpr9
.LBB14_4898:
	s_and_not1_saveexec_b32 s22, s22
	s_cbranch_execz .LBB14_4940
; %bb.4899:
	s_mov_b32 s26, exec_lo
	v_cmpx_lt_i16_e32 4, v7
	s_xor_b32 s26, exec_lo, s26
	s_cbranch_execz .LBB14_4921
; %bb.4900:
	s_mov_b32 s27, exec_lo
	v_cmpx_lt_i16_e32 7, v7
	s_xor_b32 s27, exec_lo, s27
	;; [unrolled: 5-line block ×4, first 2 shown]
	s_cbranch_execz .LBB14_4904
; %bb.4903:
	v_cvt_f64_f32_e32 v[80:81], v38
	v_mov_b32_e32 v82, 0
                                        ; implicit-def: $vgpr38
	s_delay_alu instid0(VALU_DEP_1)
	v_mov_b32_e32 v83, v82
	flat_store_b128 v[8:9], v[80:83]
                                        ; implicit-def: $vgpr8_vgpr9
.LBB14_4904:
	s_wait_xcnt 0x0
	s_and_not1_saveexec_b32 s29, s29
	s_cbranch_execz .LBB14_4906
; %bb.4905:
	v_mov_b32_e32 v39, 0
	flat_store_b64 v[8:9], v[38:39]
.LBB14_4906:
	s_wait_xcnt 0x0
	s_or_b32 exec_lo, exec_lo, s29
                                        ; implicit-def: $vgpr38
                                        ; implicit-def: $vgpr8_vgpr9
.LBB14_4907:
	s_and_not1_saveexec_b32 s28, s28
	s_cbranch_execz .LBB14_4909
; %bb.4908:
	v_cvt_f16_f32_e32 v7, v38
	s_delay_alu instid0(VALU_DEP_1)
	v_and_b32_e32 v7, 0xffff, v7
	flat_store_b32 v[8:9], v7
.LBB14_4909:
	s_wait_xcnt 0x0
	s_or_b32 exec_lo, exec_lo, s28
                                        ; implicit-def: $vgpr38
                                        ; implicit-def: $vgpr8_vgpr9
                                        ; implicit-def: $vgpr7
.LBB14_4910:
	s_and_not1_saveexec_b32 s27, s27
	s_cbranch_execz .LBB14_4920
; %bb.4911:
	s_mov_b32 s28, exec_lo
	v_cmpx_lt_i16_e32 5, v7
	s_xor_b32 s28, exec_lo, s28
	s_cbranch_execz .LBB14_4917
; %bb.4912:
	s_mov_b32 s29, exec_lo
	v_cmpx_lt_i16_e32 6, v7
	s_xor_b32 s29, exec_lo, s29
	s_cbranch_execz .LBB14_4914
; %bb.4913:
	v_cvt_f64_f32_e32 v[38:39], v38
	flat_store_b64 v[8:9], v[38:39]
                                        ; implicit-def: $vgpr8_vgpr9
                                        ; implicit-def: $vgpr38
.LBB14_4914:
	s_wait_xcnt 0x0
	s_and_not1_saveexec_b32 s29, s29
	s_cbranch_execz .LBB14_4916
; %bb.4915:
	flat_store_b32 v[8:9], v38
.LBB14_4916:
	s_wait_xcnt 0x0
	s_or_b32 exec_lo, exec_lo, s29
                                        ; implicit-def: $vgpr38
                                        ; implicit-def: $vgpr8_vgpr9
.LBB14_4917:
	s_and_not1_saveexec_b32 s28, s28
	s_cbranch_execz .LBB14_4919
; %bb.4918:
	v_cvt_f16_f32_e32 v7, v38
	flat_store_b16 v[8:9], v7
.LBB14_4919:
	s_wait_xcnt 0x0
	s_or_b32 exec_lo, exec_lo, s28
.LBB14_4920:
	s_delay_alu instid0(SALU_CYCLE_1)
	s_or_b32 exec_lo, exec_lo, s27
                                        ; implicit-def: $vgpr7
                                        ; implicit-def: $vgpr38
                                        ; implicit-def: $vgpr8_vgpr9
.LBB14_4921:
	s_and_not1_saveexec_b32 s26, s26
	s_cbranch_execz .LBB14_4939
; %bb.4922:
	s_mov_b32 s27, exec_lo
	v_cmpx_lt_i16_e32 1, v7
	s_xor_b32 s27, exec_lo, s27
	s_cbranch_execz .LBB14_4932
; %bb.4923:
	s_mov_b32 s28, exec_lo
	v_cmpx_lt_i16_e32 2, v7
	s_xor_b32 s28, exec_lo, s28
	;; [unrolled: 5-line block ×3, first 2 shown]
	s_cbranch_execz .LBB14_4926
; %bb.4925:
	v_trunc_f32_e32 v7, v38
	s_delay_alu instid0(VALU_DEP_1) | instskip(SKIP_1) | instid1(VALU_DEP_2)
	v_mul_f32_e64 v10, 0x2f800000, |v7|
	v_ashrrev_i32_e32 v38, 31, v7
	v_floor_f32_e32 v10, v10
	s_delay_alu instid0(VALU_DEP_1) | instskip(SKIP_1) | instid1(VALU_DEP_2)
	v_fma_f32 v39, 0xcf800000, v10, |v7|
	v_cvt_u32_f32_e32 v7, v10
	v_cvt_u32_f32_e32 v10, v39
	s_delay_alu instid0(VALU_DEP_2) | instskip(NEXT) | instid1(VALU_DEP_2)
	v_dual_mov_b32 v39, v38 :: v_dual_bitop2_b32 v81, v7, v38 bitop3:0x14
	v_xor_b32_e32 v80, v10, v38
	s_delay_alu instid0(VALU_DEP_1)
	v_sub_nc_u64_e32 v[38:39], v[80:81], v[38:39]
	flat_store_b64 v[8:9], v[38:39]
                                        ; implicit-def: $vgpr38
                                        ; implicit-def: $vgpr8_vgpr9
.LBB14_4926:
	s_wait_xcnt 0x0
	s_and_not1_saveexec_b32 s29, s29
	s_cbranch_execz .LBB14_4928
; %bb.4927:
	v_cvt_i32_f32_e32 v7, v38
	flat_store_b32 v[8:9], v7
.LBB14_4928:
	s_wait_xcnt 0x0
	s_or_b32 exec_lo, exec_lo, s29
                                        ; implicit-def: $vgpr38
                                        ; implicit-def: $vgpr8_vgpr9
.LBB14_4929:
	s_and_not1_saveexec_b32 s28, s28
	s_cbranch_execz .LBB14_4931
; %bb.4930:
	v_cvt_i32_f32_e32 v7, v38
	flat_store_b16 v[8:9], v7
.LBB14_4931:
	s_wait_xcnt 0x0
	s_or_b32 exec_lo, exec_lo, s28
                                        ; implicit-def: $vgpr38
                                        ; implicit-def: $vgpr8_vgpr9
                                        ; implicit-def: $vgpr7
.LBB14_4932:
	s_and_not1_saveexec_b32 s27, s27
	s_cbranch_execz .LBB14_4938
; %bb.4933:
	s_mov_b32 s28, exec_lo
	v_cmpx_lt_i16_e32 0, v7
	s_xor_b32 s28, exec_lo, s28
	s_cbranch_execz .LBB14_4935
; %bb.4934:
	v_cvt_i32_f32_e32 v7, v38
                                        ; implicit-def: $vgpr38
	flat_store_b8 v[8:9], v7
                                        ; implicit-def: $vgpr8_vgpr9
.LBB14_4935:
	s_wait_xcnt 0x0
	s_and_not1_saveexec_b32 s28, s28
	s_cbranch_execz .LBB14_4937
; %bb.4936:
	v_trunc_f32_e32 v7, v38
	s_delay_alu instid0(VALU_DEP_1) | instskip(NEXT) | instid1(VALU_DEP_1)
	v_mul_f32_e64 v10, 0x2f800000, |v7|
	v_floor_f32_e32 v10, v10
	s_delay_alu instid0(VALU_DEP_1) | instskip(SKIP_1) | instid1(VALU_DEP_2)
	v_fma_f32 v10, 0xcf800000, v10, |v7|
	v_ashrrev_i32_e32 v7, 31, v7
	v_cvt_u32_f32_e32 v10, v10
	s_delay_alu instid0(VALU_DEP_1) | instskip(NEXT) | instid1(VALU_DEP_1)
	v_xor_b32_e32 v10, v10, v7
	v_sub_nc_u32_e32 v7, v10, v7
	flat_store_b8 v[8:9], v7
.LBB14_4937:
	s_wait_xcnt 0x0
	s_or_b32 exec_lo, exec_lo, s28
.LBB14_4938:
	s_delay_alu instid0(SALU_CYCLE_1)
	s_or_b32 exec_lo, exec_lo, s27
.LBB14_4939:
	s_delay_alu instid0(SALU_CYCLE_1) | instskip(NEXT) | instid1(SALU_CYCLE_1)
	s_or_b32 exec_lo, exec_lo, s26
	s_or_b32 s0, s0, exec_lo
.LBB14_4940:
	s_or_b32 exec_lo, exec_lo, s22
	s_mov_b32 s26, 0
	s_mov_b32 s22, 0
	s_and_saveexec_b32 s27, s0
; %bb.4941:
	v_add_nc_u32_e32 v13, 0x200, v13
	s_mov_b32 s26, exec_lo
	s_delay_alu instid0(VALU_DEP_1)
	v_cmp_lt_i32_e32 vcc_lo, v13, v6
	s_and_b32 s22, vcc_lo, exec_lo
; %bb.4942:
	s_or_b32 exec_lo, exec_lo, s27
	s_delay_alu instid0(SALU_CYCLE_1)
	s_and_not1_b32 s27, s20, exec_lo
	s_and_b32 s25, s25, exec_lo
	s_and_b32 s0, s22, exec_lo
	s_or_b32 s22, s27, s25
	s_or_not1_b32 s26, s26, exec_lo
.LBB14_4943:
	s_or_b32 exec_lo, exec_lo, s23
	s_mov_b32 s25, 0
	s_mov_b32 s27, 0
                                        ; implicit-def: $vgpr8
                                        ; implicit-def: $vgpr7
                                        ; implicit-def: $vgpr38_vgpr39
	s_and_saveexec_b32 s23, s26
	s_cbranch_execz .LBB14_7755
; %bb.4944:
	s_mov_b32 s28, -1
	s_mov_b32 s26, 0
	s_mov_b32 s24, s22
	;; [unrolled: 1-line block ×3, first 2 shown]
	s_and_saveexec_b32 s25, s0
	s_cbranch_execz .LBB14_5072
; %bb.4945:
	v_dual_add_nc_u32 v7, s2, v13 :: v_dual_mov_b32 v9, 0
	s_wait_loadcnt 0xa
	v_mul_f32_e32 v10, v68, v69
	v_cmp_lt_f32_e32 vcc_lo, 0, v69
	s_mov_b32 s0, 0
	v_mul_lo_u32 v8, v7, v12
	v_and_b32_e32 v7, 0xff, v11
	s_mov_b32 s27, s22
	v_cndmask_b32_e32 v38, v10, v69, vcc_lo
	s_mov_b32 s24, exec_lo
	s_delay_alu instid0(VALU_DEP_3)
	v_add_nc_u64_e32 v[8:9], v[0:1], v[8:9]
	v_cmpx_lt_i16_e32 10, v7
	s_xor_b32 s24, exec_lo, s24
	s_cbranch_execz .LBB14_5027
; %bb.4946:
	s_mov_b32 s27, s22
	s_mov_b32 s28, exec_lo
	v_cmpx_lt_i16_e32 25, v7
	s_xor_b32 s28, exec_lo, s28
	s_cbranch_execz .LBB14_4982
; %bb.4947:
	s_mov_b32 s29, s22
	s_mov_b32 s27, exec_lo
	;; [unrolled: 6-line block ×3, first 2 shown]
	v_cmpx_lt_i16_e32 43, v7
	s_xor_b32 s29, exec_lo, s29
	s_cbranch_execz .LBB14_4960
; %bb.4949:
	s_mov_b32 s40, 0
	s_mov_b32 s41, s22
	s_mov_b32 s0, exec_lo
	v_cmpx_lt_i16_e32 45, v7
	s_xor_b32 s0, exec_lo, s0
	s_cbranch_execz .LBB14_4953
; %bb.4950:
	s_mov_b32 s42, -1
	s_mov_b32 s41, exec_lo
	v_cmpx_eq_u16_e32 46, v7
	s_cbranch_execz .LBB14_4952
; %bb.4951:
	v_bfe_u32 v7, v38, 16, 1
	v_cmp_o_f32_e32 vcc_lo, v38, v38
	s_mov_b32 s40, exec_lo
	s_xor_b32 s42, exec_lo, -1
	s_delay_alu instid0(VALU_DEP_2) | instskip(NEXT) | instid1(VALU_DEP_1)
	v_add3_u32 v7, v38, v7, 0x7fff
	v_lshrrev_b32_e32 v7, 16, v7
	s_delay_alu instid0(VALU_DEP_1)
	v_cndmask_b32_e32 v7, 0x7fc0, v7, vcc_lo
	flat_store_b32 v[8:9], v7
.LBB14_4952:
	s_wait_xcnt 0x0
	s_or_b32 exec_lo, exec_lo, s41
	s_delay_alu instid0(SALU_CYCLE_1)
	s_and_not1_b32 s41, s22, exec_lo
	s_and_b32 s42, s42, exec_lo
	s_and_b32 s40, s40, exec_lo
	s_or_b32 s41, s41, s42
                                        ; implicit-def: $vgpr7
                                        ; implicit-def: $vgpr8_vgpr9
                                        ; implicit-def: $vgpr38
.LBB14_4953:
	s_and_not1_saveexec_b32 s42, s0
	s_cbranch_execz .LBB14_4959
; %bb.4954:
	s_mov_b32 s44, -1
	s_mov_b32 s0, s40
	s_mov_b32 s43, exec_lo
	v_cmpx_eq_u16_e32 44, v7
	s_cbranch_execz .LBB14_4958
; %bb.4955:
	v_bfe_u32 v10, v38, 23, 8
	v_mov_b32_e32 v7, 0xff
	s_mov_b32 s44, exec_lo
	s_delay_alu instid0(VALU_DEP_2)
	v_cmpx_ne_u32_e32 0xff, v10
	s_cbranch_execz .LBB14_4957
; %bb.4956:
	v_and_b32_e32 v7, 0x400000, v38
	v_and_or_b32 v10, 0x3fffff, v38, v10
	s_delay_alu instid0(VALU_DEP_2) | instskip(NEXT) | instid1(VALU_DEP_2)
	v_cmp_ne_u32_e32 vcc_lo, 0, v7
	v_cmp_ne_u32_e64 s0, 0, v10
	v_lshrrev_b32_e32 v7, 23, v38
	s_and_b32 s0, vcc_lo, s0
	s_delay_alu instid0(SALU_CYCLE_1) | instskip(NEXT) | instid1(VALU_DEP_1)
	v_cndmask_b32_e64 v10, 0, 1, s0
	v_add_nc_u32_e32 v7, v7, v10
.LBB14_4957:
	s_or_b32 exec_lo, exec_lo, s44
	s_delay_alu instid0(SALU_CYCLE_1)
	s_xor_b32 s44, exec_lo, -1
	s_or_b32 s0, s40, exec_lo
	flat_store_b8 v[8:9], v7
.LBB14_4958:
	s_wait_xcnt 0x0
	s_or_b32 exec_lo, exec_lo, s43
	s_delay_alu instid0(SALU_CYCLE_1)
	s_and_not1_b32 s41, s41, exec_lo
	s_and_b32 s43, s44, exec_lo
	s_and_not1_b32 s40, s40, exec_lo
	s_and_b32 s0, s0, exec_lo
	s_or_b32 s41, s41, s43
	s_or_b32 s40, s40, s0
.LBB14_4959:
	s_or_b32 exec_lo, exec_lo, s42
	s_delay_alu instid0(SALU_CYCLE_1) | instskip(SKIP_1) | instid1(SALU_CYCLE_1)
	s_and_not1_b32 s0, s22, exec_lo
	s_and_b32 s41, s41, exec_lo
                                        ; implicit-def: $vgpr7
                                        ; implicit-def: $vgpr38
                                        ; implicit-def: $vgpr8_vgpr9
	s_or_b32 s41, s0, s41
	s_and_b32 s0, s40, exec_lo
.LBB14_4960:
	s_and_not1_saveexec_b32 s29, s29
	s_cbranch_execz .LBB14_4964
; %bb.4961:
	s_mov_b32 s43, -1
	s_mov_b32 s42, s0
	s_mov_b32 s40, exec_lo
	v_cmpx_eq_u16_e32 29, v7
	s_cbranch_execz .LBB14_4963
; %bb.4962:
	v_trunc_f32_e32 v7, v38
	s_xor_b32 s43, exec_lo, -1
	s_or_b32 s42, s0, exec_lo
	s_delay_alu instid0(VALU_DEP_1) | instskip(NEXT) | instid1(VALU_DEP_1)
	v_mul_f32_e32 v10, 0x2f800000, v7
	v_floor_f32_e32 v10, v10
	s_delay_alu instid0(VALU_DEP_1) | instskip(SKIP_1) | instid1(VALU_DEP_2)
	v_fmamk_f32 v7, v10, 0xcf800000, v7
	v_cvt_u32_f32_e32 v39, v10
	v_cvt_u32_f32_e32 v38, v7
	flat_store_b64 v[8:9], v[38:39]
.LBB14_4963:
	s_wait_xcnt 0x0
	s_or_b32 exec_lo, exec_lo, s40
	s_delay_alu instid0(SALU_CYCLE_1)
	s_and_not1_b32 s40, s41, exec_lo
	s_and_b32 s41, s43, exec_lo
	s_and_not1_b32 s0, s0, exec_lo
	s_and_b32 s42, s42, exec_lo
	s_or_b32 s41, s40, s41
	s_or_b32 s0, s0, s42
.LBB14_4964:
	s_or_b32 exec_lo, exec_lo, s29
	s_delay_alu instid0(SALU_CYCLE_1)
	s_and_not1_b32 s29, s22, exec_lo
	s_and_b32 s40, s41, exec_lo
	s_and_b32 s0, s0, exec_lo
	s_or_b32 s29, s29, s40
                                        ; implicit-def: $vgpr8_vgpr9
                                        ; implicit-def: $vgpr7
                                        ; implicit-def: $vgpr38
.LBB14_4965:
	s_and_not1_saveexec_b32 s27, s27
	s_cbranch_execz .LBB14_4981
; %bb.4966:
	s_mov_b32 s40, exec_lo
	v_cmpx_lt_i16_e32 26, v7
	s_xor_b32 s40, exec_lo, s40
	s_cbranch_execz .LBB14_4972
; %bb.4967:
	v_cmp_lt_i16_e32 vcc_lo, 27, v7
	v_cvt_u32_f32_e32 v7, v38
	s_and_saveexec_b32 s41, vcc_lo
	s_delay_alu instid0(SALU_CYCLE_1)
	s_xor_b32 s41, exec_lo, s41
	s_cbranch_execz .LBB14_4969
; %bb.4968:
	flat_store_b32 v[8:9], v7
                                        ; implicit-def: $vgpr8_vgpr9
                                        ; implicit-def: $vgpr7
.LBB14_4969:
	s_wait_xcnt 0x0
	s_and_not1_saveexec_b32 s41, s41
	s_cbranch_execz .LBB14_4971
; %bb.4970:
	flat_store_b16 v[8:9], v7
.LBB14_4971:
	s_wait_xcnt 0x0
	s_or_b32 exec_lo, exec_lo, s41
                                        ; implicit-def: $vgpr8_vgpr9
                                        ; implicit-def: $vgpr38
.LBB14_4972:
	s_and_not1_saveexec_b32 s40, s40
	s_cbranch_execz .LBB14_4980
; %bb.4973:
	v_and_b32_e32 v7, 0x7fffffff, v38
	v_mov_b32_e32 v10, 0x80
	s_mov_b32 s41, exec_lo
	s_delay_alu instid0(VALU_DEP_2)
	v_cmpx_gt_u32_e32 0x43800000, v7
	s_cbranch_execz .LBB14_4979
; %bb.4974:
	v_cmp_lt_u32_e32 vcc_lo, 0x3bffffff, v7
	s_mov_b32 s42, 0
                                        ; implicit-def: $vgpr7
	s_and_saveexec_b32 s43, vcc_lo
	s_delay_alu instid0(SALU_CYCLE_1)
	s_xor_b32 s43, exec_lo, s43
	s_cbranch_execnz .LBB14_7855
; %bb.4975:
	s_and_not1_saveexec_b32 s43, s43
	s_cbranch_execnz .LBB14_7856
.LBB14_4976:
	s_or_b32 exec_lo, exec_lo, s43
	v_mov_b32_e32 v10, 0
	s_and_saveexec_b32 s43, s42
.LBB14_4977:
	v_lshrrev_b32_e32 v10, 24, v38
	s_delay_alu instid0(VALU_DEP_1)
	v_and_or_b32 v10, 0x80, v10, v7
.LBB14_4978:
	s_or_b32 exec_lo, exec_lo, s43
.LBB14_4979:
	s_delay_alu instid0(SALU_CYCLE_1)
	s_or_b32 exec_lo, exec_lo, s41
	flat_store_b8 v[8:9], v10
.LBB14_4980:
	s_wait_xcnt 0x0
	s_or_b32 exec_lo, exec_lo, s40
	s_delay_alu instid0(SALU_CYCLE_1)
	s_or_b32 s0, s0, exec_lo
.LBB14_4981:
	s_or_b32 exec_lo, exec_lo, s27
	s_delay_alu instid0(SALU_CYCLE_1)
	s_and_not1_b32 s27, s22, exec_lo
	s_and_b32 s29, s29, exec_lo
	s_and_b32 s0, s0, exec_lo
	s_or_b32 s27, s27, s29
                                        ; implicit-def: $vgpr7
                                        ; implicit-def: $vgpr38
                                        ; implicit-def: $vgpr8_vgpr9
.LBB14_4982:
	s_and_not1_saveexec_b32 s28, s28
	s_cbranch_execz .LBB14_5026
; %bb.4983:
	s_mov_b32 s40, s0
	s_mov_b32 s29, exec_lo
	v_cmpx_lt_i16_e32 22, v7
	s_xor_b32 s29, exec_lo, s29
	s_cbranch_execz .LBB14_5015
; %bb.4984:
	s_mov_b32 s40, exec_lo
	v_cmpx_lt_i16_e32 23, v7
	s_xor_b32 s40, exec_lo, s40
	s_cbranch_execz .LBB14_5004
; %bb.4985:
	;; [unrolled: 5-line block ×3, first 2 shown]
	v_and_b32_e32 v7, 0x7fffffff, v38
	v_mov_b32_e32 v10, 0x80
	s_mov_b32 s42, exec_lo
	s_delay_alu instid0(VALU_DEP_2)
	v_cmpx_gt_u32_e32 0x47800000, v7
	s_cbranch_execz .LBB14_4992
; %bb.4987:
	v_cmp_lt_u32_e32 vcc_lo, 0x37ffffff, v7
	s_mov_b32 s43, 0
                                        ; implicit-def: $vgpr7
	s_and_saveexec_b32 s44, vcc_lo
	s_delay_alu instid0(SALU_CYCLE_1)
	s_xor_b32 s44, exec_lo, s44
	s_cbranch_execnz .LBB14_7857
; %bb.4988:
	s_and_not1_saveexec_b32 s44, s44
	s_cbranch_execnz .LBB14_7858
.LBB14_4989:
	s_or_b32 exec_lo, exec_lo, s44
	v_mov_b32_e32 v10, 0
	s_and_saveexec_b32 s44, s43
.LBB14_4990:
	v_lshrrev_b32_e32 v10, 24, v38
	s_delay_alu instid0(VALU_DEP_1)
	v_and_or_b32 v10, 0x80, v10, v7
.LBB14_4991:
	s_or_b32 exec_lo, exec_lo, s44
.LBB14_4992:
	s_delay_alu instid0(SALU_CYCLE_1)
	s_or_b32 exec_lo, exec_lo, s42
	flat_store_b8 v[8:9], v10
                                        ; implicit-def: $vgpr38
                                        ; implicit-def: $vgpr8_vgpr9
.LBB14_4993:
	s_wait_xcnt 0x0
	s_and_not1_saveexec_b32 s41, s41
	s_cbranch_execz .LBB14_5003
; %bb.4994:
	v_and_b32_e32 v10, 0x7fffffff, v38
	s_mov_b32 s42, exec_lo
                                        ; implicit-def: $vgpr7
	s_delay_alu instid0(VALU_DEP_1)
	v_cmpx_gt_u32_e32 0x43f00000, v10
	s_xor_b32 s42, exec_lo, s42
	s_cbranch_execz .LBB14_5000
; %bb.4995:
	s_mov_b32 s43, exec_lo
                                        ; implicit-def: $vgpr7
	v_cmpx_lt_u32_e32 0x3c7fffff, v10
	s_xor_b32 s43, exec_lo, s43
; %bb.4996:
	v_bfe_u32 v7, v38, 20, 1
	s_delay_alu instid0(VALU_DEP_1) | instskip(NEXT) | instid1(VALU_DEP_1)
	v_add3_u32 v7, v38, v7, 0x407ffff
	v_and_b32_e32 v10, 0xff00000, v7
	v_lshrrev_b32_e32 v7, 20, v7
	s_delay_alu instid0(VALU_DEP_2) | instskip(NEXT) | instid1(VALU_DEP_2)
	v_cmp_ne_u32_e32 vcc_lo, 0x7f00000, v10
	v_cndmask_b32_e32 v7, 0x7e, v7, vcc_lo
; %bb.4997:
	s_and_not1_saveexec_b32 s43, s43
; %bb.4998:
	v_add_f32_e64 v7, 0x46800000, |v38|
; %bb.4999:
	s_or_b32 exec_lo, exec_lo, s43
                                        ; implicit-def: $vgpr10
.LBB14_5000:
	s_and_not1_saveexec_b32 s42, s42
; %bb.5001:
	v_mov_b32_e32 v7, 0x7f
	v_cmp_lt_u32_e32 vcc_lo, 0x7f800000, v10
	s_delay_alu instid0(VALU_DEP_2)
	v_cndmask_b32_e32 v7, 0x7e, v7, vcc_lo
; %bb.5002:
	s_or_b32 exec_lo, exec_lo, s42
	v_lshrrev_b32_e32 v10, 24, v38
	s_delay_alu instid0(VALU_DEP_1)
	v_and_or_b32 v7, 0x80, v10, v7
	flat_store_b8 v[8:9], v7
.LBB14_5003:
	s_wait_xcnt 0x0
	s_or_b32 exec_lo, exec_lo, s41
                                        ; implicit-def: $vgpr38
                                        ; implicit-def: $vgpr8_vgpr9
.LBB14_5004:
	s_and_not1_saveexec_b32 s40, s40
	s_cbranch_execz .LBB14_5014
; %bb.5005:
	v_and_b32_e32 v10, 0x7fffffff, v38
	s_mov_b32 s41, exec_lo
                                        ; implicit-def: $vgpr7
	s_delay_alu instid0(VALU_DEP_1)
	v_cmpx_gt_u32_e32 0x47800000, v10
	s_xor_b32 s41, exec_lo, s41
	s_cbranch_execz .LBB14_5011
; %bb.5006:
	s_mov_b32 s42, exec_lo
                                        ; implicit-def: $vgpr7
	v_cmpx_lt_u32_e32 0x387fffff, v10
	s_xor_b32 s42, exec_lo, s42
; %bb.5007:
	v_bfe_u32 v7, v38, 21, 1
	s_delay_alu instid0(VALU_DEP_1) | instskip(NEXT) | instid1(VALU_DEP_1)
	v_add3_u32 v7, v38, v7, 0x80fffff
	v_lshrrev_b32_e32 v7, 21, v7
; %bb.5008:
	s_and_not1_saveexec_b32 s42, s42
; %bb.5009:
	v_add_f32_e64 v7, 0x43000000, |v38|
; %bb.5010:
	s_or_b32 exec_lo, exec_lo, s42
                                        ; implicit-def: $vgpr10
.LBB14_5011:
	s_and_not1_saveexec_b32 s41, s41
; %bb.5012:
	v_mov_b32_e32 v7, 0x7f
	v_cmp_lt_u32_e32 vcc_lo, 0x7f800000, v10
	s_delay_alu instid0(VALU_DEP_2)
	v_cndmask_b32_e32 v7, 0x7c, v7, vcc_lo
; %bb.5013:
	s_or_b32 exec_lo, exec_lo, s41
	v_lshrrev_b32_e32 v10, 24, v38
	s_delay_alu instid0(VALU_DEP_1)
	v_and_or_b32 v7, 0x80, v10, v7
	flat_store_b8 v[8:9], v7
.LBB14_5014:
	s_wait_xcnt 0x0
	s_or_b32 exec_lo, exec_lo, s40
	s_delay_alu instid0(SALU_CYCLE_1)
	s_or_b32 s40, s0, exec_lo
                                        ; implicit-def: $vgpr7
                                        ; implicit-def: $vgpr38
                                        ; implicit-def: $vgpr8_vgpr9
.LBB14_5015:
	s_or_saveexec_b32 s29, s29
	s_mov_b32 s41, s27
	s_xor_b32 exec_lo, exec_lo, s29
	s_cbranch_execz .LBB14_5025
; %bb.5016:
	s_mov_b32 s41, s40
	s_mov_b32 s42, s27
	s_mov_b32 s43, exec_lo
	v_cmpx_lt_i16_e32 14, v7
	s_xor_b32 s43, exec_lo, s43
	s_cbranch_execz .LBB14_5020
; %bb.5017:
	s_mov_b32 s44, -1
	s_mov_b32 s41, s40
	s_mov_b32 s42, exec_lo
	v_cmpx_eq_u16_e32 15, v7
	s_cbranch_execz .LBB14_5019
; %bb.5018:
	v_bfe_u32 v7, v38, 16, 1
	v_cmp_o_f32_e32 vcc_lo, v38, v38
	s_xor_b32 s44, exec_lo, -1
	s_or_b32 s41, s40, exec_lo
	s_delay_alu instid0(VALU_DEP_2) | instskip(NEXT) | instid1(VALU_DEP_1)
	v_add3_u32 v7, v38, v7, 0x7fff
	v_lshrrev_b32_e32 v7, 16, v7
	s_delay_alu instid0(VALU_DEP_1)
	v_cndmask_b32_e32 v7, 0x7fc0, v7, vcc_lo
	flat_store_b16 v[8:9], v7
.LBB14_5019:
	s_wait_xcnt 0x0
	s_or_b32 exec_lo, exec_lo, s42
	s_delay_alu instid0(SALU_CYCLE_1)
	s_and_not1_b32 s42, s27, exec_lo
	s_and_b32 s44, s44, exec_lo
	s_and_not1_b32 s45, s40, exec_lo
	s_and_b32 s41, s41, exec_lo
	s_or_b32 s42, s42, s44
	s_or_b32 s41, s45, s41
                                        ; implicit-def: $vgpr7
                                        ; implicit-def: $vgpr38
                                        ; implicit-def: $vgpr8_vgpr9
.LBB14_5020:
	s_and_not1_saveexec_b32 s43, s43
	s_cbranch_execz .LBB14_5024
; %bb.5021:
	s_mov_b32 s45, -1
	s_mov_b32 s44, s41
	s_mov_b32 s46, exec_lo
	v_cmpx_eq_u16_e32 11, v7
	s_cbranch_execz .LBB14_5023
; %bb.5022:
	v_cmp_neq_f32_e32 vcc_lo, 0, v38
	s_xor_b32 s45, exec_lo, -1
	s_or_b32 s44, s41, exec_lo
	v_cndmask_b32_e64 v7, 0, 1, vcc_lo
	flat_store_b8 v[8:9], v7
.LBB14_5023:
	s_wait_xcnt 0x0
	s_or_b32 exec_lo, exec_lo, s46
	s_delay_alu instid0(SALU_CYCLE_1)
	s_and_not1_b32 s42, s42, exec_lo
	s_and_b32 s45, s45, exec_lo
	s_and_not1_b32 s41, s41, exec_lo
	s_and_b32 s44, s44, exec_lo
	s_or_b32 s42, s42, s45
	s_or_b32 s41, s41, s44
.LBB14_5024:
	s_or_b32 exec_lo, exec_lo, s43
	s_delay_alu instid0(SALU_CYCLE_1)
	s_and_not1_b32 s43, s27, exec_lo
	s_and_b32 s42, s42, exec_lo
	s_and_not1_b32 s40, s40, exec_lo
	s_and_b32 s44, s41, exec_lo
	s_or_b32 s41, s43, s42
	s_or_b32 s40, s40, s44
.LBB14_5025:
	s_or_b32 exec_lo, exec_lo, s29
	s_delay_alu instid0(SALU_CYCLE_1)
	s_and_not1_b32 s27, s27, exec_lo
	s_and_b32 s29, s41, exec_lo
	s_and_not1_b32 s0, s0, exec_lo
	s_and_b32 s40, s40, exec_lo
	s_or_b32 s27, s27, s29
	s_or_b32 s0, s0, s40
.LBB14_5026:
	s_or_b32 exec_lo, exec_lo, s28
	s_delay_alu instid0(SALU_CYCLE_1)
	s_and_not1_b32 s28, s22, exec_lo
	s_and_b32 s27, s27, exec_lo
	s_and_b32 s0, s0, exec_lo
	s_or_b32 s27, s28, s27
                                        ; implicit-def: $vgpr7
                                        ; implicit-def: $vgpr38
                                        ; implicit-def: $vgpr8_vgpr9
.LBB14_5027:
	s_and_not1_saveexec_b32 s24, s24
	s_cbranch_execz .LBB14_5069
; %bb.5028:
	s_mov_b32 s28, exec_lo
	v_cmpx_lt_i16_e32 4, v7
	s_xor_b32 s28, exec_lo, s28
	s_cbranch_execz .LBB14_5050
; %bb.5029:
	s_mov_b32 s29, exec_lo
	v_cmpx_lt_i16_e32 7, v7
	s_xor_b32 s29, exec_lo, s29
	;; [unrolled: 5-line block ×4, first 2 shown]
	s_cbranch_execz .LBB14_5033
; %bb.5032:
	v_cvt_f64_f32_e32 v[80:81], v38
	v_mov_b32_e32 v82, 0
                                        ; implicit-def: $vgpr38
	s_delay_alu instid0(VALU_DEP_1)
	v_mov_b32_e32 v83, v82
	flat_store_b128 v[8:9], v[80:83]
                                        ; implicit-def: $vgpr8_vgpr9
.LBB14_5033:
	s_wait_xcnt 0x0
	s_and_not1_saveexec_b32 s41, s41
	s_cbranch_execz .LBB14_5035
; %bb.5034:
	v_mov_b32_e32 v39, 0
	flat_store_b64 v[8:9], v[38:39]
.LBB14_5035:
	s_wait_xcnt 0x0
	s_or_b32 exec_lo, exec_lo, s41
                                        ; implicit-def: $vgpr38
                                        ; implicit-def: $vgpr8_vgpr9
.LBB14_5036:
	s_and_not1_saveexec_b32 s40, s40
	s_cbranch_execz .LBB14_5038
; %bb.5037:
	v_cvt_f16_f32_e32 v7, v38
	s_delay_alu instid0(VALU_DEP_1)
	v_and_b32_e32 v7, 0xffff, v7
	flat_store_b32 v[8:9], v7
.LBB14_5038:
	s_wait_xcnt 0x0
	s_or_b32 exec_lo, exec_lo, s40
                                        ; implicit-def: $vgpr38
                                        ; implicit-def: $vgpr8_vgpr9
                                        ; implicit-def: $vgpr7
.LBB14_5039:
	s_and_not1_saveexec_b32 s29, s29
	s_cbranch_execz .LBB14_5049
; %bb.5040:
	s_mov_b32 s40, exec_lo
	v_cmpx_lt_i16_e32 5, v7
	s_xor_b32 s40, exec_lo, s40
	s_cbranch_execz .LBB14_5046
; %bb.5041:
	s_mov_b32 s41, exec_lo
	v_cmpx_lt_i16_e32 6, v7
	s_xor_b32 s41, exec_lo, s41
	s_cbranch_execz .LBB14_5043
; %bb.5042:
	v_cvt_f64_f32_e32 v[38:39], v38
	flat_store_b64 v[8:9], v[38:39]
                                        ; implicit-def: $vgpr8_vgpr9
                                        ; implicit-def: $vgpr38
.LBB14_5043:
	s_wait_xcnt 0x0
	s_and_not1_saveexec_b32 s41, s41
	s_cbranch_execz .LBB14_5045
; %bb.5044:
	flat_store_b32 v[8:9], v38
.LBB14_5045:
	s_wait_xcnt 0x0
	s_or_b32 exec_lo, exec_lo, s41
                                        ; implicit-def: $vgpr38
                                        ; implicit-def: $vgpr8_vgpr9
.LBB14_5046:
	s_and_not1_saveexec_b32 s40, s40
	s_cbranch_execz .LBB14_5048
; %bb.5047:
	v_cvt_f16_f32_e32 v7, v38
	flat_store_b16 v[8:9], v7
.LBB14_5048:
	s_wait_xcnt 0x0
	s_or_b32 exec_lo, exec_lo, s40
.LBB14_5049:
	s_delay_alu instid0(SALU_CYCLE_1)
	s_or_b32 exec_lo, exec_lo, s29
                                        ; implicit-def: $vgpr7
                                        ; implicit-def: $vgpr38
                                        ; implicit-def: $vgpr8_vgpr9
.LBB14_5050:
	s_and_not1_saveexec_b32 s28, s28
	s_cbranch_execz .LBB14_5068
; %bb.5051:
	s_mov_b32 s29, exec_lo
	v_cmpx_lt_i16_e32 1, v7
	s_xor_b32 s29, exec_lo, s29
	s_cbranch_execz .LBB14_5061
; %bb.5052:
	s_mov_b32 s40, exec_lo
	v_cmpx_lt_i16_e32 2, v7
	s_xor_b32 s40, exec_lo, s40
	;; [unrolled: 5-line block ×3, first 2 shown]
	s_cbranch_execz .LBB14_5055
; %bb.5054:
	v_trunc_f32_e32 v7, v38
	s_delay_alu instid0(VALU_DEP_1) | instskip(SKIP_1) | instid1(VALU_DEP_2)
	v_mul_f32_e64 v10, 0x2f800000, |v7|
	v_ashrrev_i32_e32 v38, 31, v7
	v_floor_f32_e32 v10, v10
	s_delay_alu instid0(VALU_DEP_1) | instskip(SKIP_1) | instid1(VALU_DEP_2)
	v_fma_f32 v39, 0xcf800000, v10, |v7|
	v_cvt_u32_f32_e32 v7, v10
	v_cvt_u32_f32_e32 v10, v39
	s_delay_alu instid0(VALU_DEP_2) | instskip(NEXT) | instid1(VALU_DEP_2)
	v_dual_mov_b32 v39, v38 :: v_dual_bitop2_b32 v69, v7, v38 bitop3:0x14
	v_xor_b32_e32 v68, v10, v38
	s_delay_alu instid0(VALU_DEP_1)
	v_sub_nc_u64_e32 v[38:39], v[68:69], v[38:39]
	flat_store_b64 v[8:9], v[38:39]
                                        ; implicit-def: $vgpr38
                                        ; implicit-def: $vgpr8_vgpr9
.LBB14_5055:
	s_wait_xcnt 0x0
	s_and_not1_saveexec_b32 s41, s41
	s_cbranch_execz .LBB14_5057
; %bb.5056:
	v_cvt_i32_f32_e32 v7, v38
	flat_store_b32 v[8:9], v7
.LBB14_5057:
	s_wait_xcnt 0x0
	s_or_b32 exec_lo, exec_lo, s41
                                        ; implicit-def: $vgpr38
                                        ; implicit-def: $vgpr8_vgpr9
.LBB14_5058:
	s_and_not1_saveexec_b32 s40, s40
	s_cbranch_execz .LBB14_5060
; %bb.5059:
	v_cvt_i32_f32_e32 v7, v38
	flat_store_b16 v[8:9], v7
.LBB14_5060:
	s_wait_xcnt 0x0
	s_or_b32 exec_lo, exec_lo, s40
                                        ; implicit-def: $vgpr38
                                        ; implicit-def: $vgpr8_vgpr9
                                        ; implicit-def: $vgpr7
.LBB14_5061:
	s_and_not1_saveexec_b32 s29, s29
	s_cbranch_execz .LBB14_5067
; %bb.5062:
	s_mov_b32 s40, exec_lo
	v_cmpx_lt_i16_e32 0, v7
	s_xor_b32 s40, exec_lo, s40
	s_cbranch_execz .LBB14_5064
; %bb.5063:
	v_cvt_i32_f32_e32 v7, v38
                                        ; implicit-def: $vgpr38
	flat_store_b8 v[8:9], v7
                                        ; implicit-def: $vgpr8_vgpr9
.LBB14_5064:
	s_wait_xcnt 0x0
	s_and_not1_saveexec_b32 s40, s40
	s_cbranch_execz .LBB14_5066
; %bb.5065:
	v_trunc_f32_e32 v7, v38
	s_delay_alu instid0(VALU_DEP_1) | instskip(NEXT) | instid1(VALU_DEP_1)
	v_mul_f32_e64 v10, 0x2f800000, |v7|
	v_floor_f32_e32 v10, v10
	s_delay_alu instid0(VALU_DEP_1) | instskip(SKIP_1) | instid1(VALU_DEP_2)
	v_fma_f32 v10, 0xcf800000, v10, |v7|
	v_ashrrev_i32_e32 v7, 31, v7
	v_cvt_u32_f32_e32 v10, v10
	s_delay_alu instid0(VALU_DEP_1) | instskip(NEXT) | instid1(VALU_DEP_1)
	v_xor_b32_e32 v10, v10, v7
	v_sub_nc_u32_e32 v7, v10, v7
	flat_store_b8 v[8:9], v7
.LBB14_5066:
	s_wait_xcnt 0x0
	s_or_b32 exec_lo, exec_lo, s40
.LBB14_5067:
	s_delay_alu instid0(SALU_CYCLE_1)
	s_or_b32 exec_lo, exec_lo, s29
.LBB14_5068:
	s_delay_alu instid0(SALU_CYCLE_1) | instskip(NEXT) | instid1(SALU_CYCLE_1)
	s_or_b32 exec_lo, exec_lo, s28
	s_or_b32 s0, s0, exec_lo
.LBB14_5069:
	s_or_b32 exec_lo, exec_lo, s24
	s_mov_b32 s28, 0
	s_mov_b32 s24, 0
	s_and_saveexec_b32 s29, s0
; %bb.5070:
	v_add_nc_u32_e32 v13, 0x200, v13
	s_mov_b32 s28, exec_lo
	s_delay_alu instid0(VALU_DEP_1)
	v_cmp_lt_i32_e32 vcc_lo, v13, v6
	s_and_b32 s24, vcc_lo, exec_lo
; %bb.5071:
	s_or_b32 exec_lo, exec_lo, s29
	s_delay_alu instid0(SALU_CYCLE_1)
	s_and_not1_b32 s0, s22, exec_lo
	s_and_b32 s27, s27, exec_lo
	s_and_b32 s29, s24, exec_lo
	s_or_b32 s24, s0, s27
	s_or_not1_b32 s28, s28, exec_lo
.LBB14_5072:
	s_or_b32 exec_lo, exec_lo, s25
	s_mov_b32 s0, 0
	s_mov_b32 s27, 0
                                        ; implicit-def: $vgpr8
                                        ; implicit-def: $vgpr7
                                        ; implicit-def: $vgpr38_vgpr39
	s_and_saveexec_b32 s25, s28
	s_cbranch_execz .LBB14_7754
; %bb.5073:
	s_mov_b32 s40, -1
	s_mov_b32 s28, 0
	s_mov_b32 s26, s24
	s_and_saveexec_b32 s27, s29
	s_cbranch_execz .LBB14_5201
; %bb.5074:
	v_dual_add_nc_u32 v7, s2, v13 :: v_dual_mov_b32 v9, 0
	s_wait_loadcnt 0xa
	v_mul_f32_e32 v10, v70, v71
	v_cmp_lt_f32_e32 vcc_lo, 0, v71
	s_mov_b32 s29, s24
	v_mul_lo_u32 v8, v7, v12
	v_and_b32_e32 v7, 0xff, v11
	s_mov_b32 s26, exec_lo
	v_cndmask_b32_e32 v38, v10, v71, vcc_lo
	s_delay_alu instid0(VALU_DEP_3) | instskip(NEXT) | instid1(VALU_DEP_3)
	v_add_nc_u64_e32 v[8:9], v[0:1], v[8:9]
	v_cmpx_lt_i16_e32 10, v7
	s_xor_b32 s26, exec_lo, s26
	s_cbranch_execz .LBB14_5156
; %bb.5075:
	s_mov_b32 s29, s24
	s_mov_b32 s40, exec_lo
	v_cmpx_lt_i16_e32 25, v7
	s_xor_b32 s40, exec_lo, s40
	s_cbranch_execz .LBB14_5111
; %bb.5076:
	s_mov_b32 s41, s24
	s_mov_b32 s29, exec_lo
	;; [unrolled: 6-line block ×3, first 2 shown]
	v_cmpx_lt_i16_e32 43, v7
	s_xor_b32 s41, exec_lo, s41
	s_cbranch_execz .LBB14_5089
; %bb.5078:
	s_mov_b32 s42, 0
	s_mov_b32 s43, s24
	s_mov_b32 s0, exec_lo
	v_cmpx_lt_i16_e32 45, v7
	s_xor_b32 s0, exec_lo, s0
	s_cbranch_execz .LBB14_5082
; %bb.5079:
	s_mov_b32 s44, -1
	s_mov_b32 s43, exec_lo
	v_cmpx_eq_u16_e32 46, v7
	s_cbranch_execz .LBB14_5081
; %bb.5080:
	v_bfe_u32 v7, v38, 16, 1
	v_cmp_o_f32_e32 vcc_lo, v38, v38
	s_mov_b32 s42, exec_lo
	s_xor_b32 s44, exec_lo, -1
	s_delay_alu instid0(VALU_DEP_2) | instskip(NEXT) | instid1(VALU_DEP_1)
	v_add3_u32 v7, v38, v7, 0x7fff
	v_lshrrev_b32_e32 v7, 16, v7
	s_delay_alu instid0(VALU_DEP_1)
	v_cndmask_b32_e32 v7, 0x7fc0, v7, vcc_lo
	flat_store_b32 v[8:9], v7
.LBB14_5081:
	s_wait_xcnt 0x0
	s_or_b32 exec_lo, exec_lo, s43
	s_delay_alu instid0(SALU_CYCLE_1)
	s_and_not1_b32 s43, s24, exec_lo
	s_and_b32 s44, s44, exec_lo
	s_and_b32 s42, s42, exec_lo
	s_or_b32 s43, s43, s44
                                        ; implicit-def: $vgpr7
                                        ; implicit-def: $vgpr8_vgpr9
                                        ; implicit-def: $vgpr38
.LBB14_5082:
	s_and_not1_saveexec_b32 s44, s0
	s_cbranch_execz .LBB14_5088
; %bb.5083:
	s_mov_b32 s46, -1
	s_mov_b32 s0, s42
	s_mov_b32 s45, exec_lo
	v_cmpx_eq_u16_e32 44, v7
	s_cbranch_execz .LBB14_5087
; %bb.5084:
	v_bfe_u32 v10, v38, 23, 8
	v_mov_b32_e32 v7, 0xff
	s_mov_b32 s46, exec_lo
	s_delay_alu instid0(VALU_DEP_2)
	v_cmpx_ne_u32_e32 0xff, v10
	s_cbranch_execz .LBB14_5086
; %bb.5085:
	v_and_b32_e32 v7, 0x400000, v38
	v_and_or_b32 v10, 0x3fffff, v38, v10
	s_delay_alu instid0(VALU_DEP_2) | instskip(NEXT) | instid1(VALU_DEP_2)
	v_cmp_ne_u32_e32 vcc_lo, 0, v7
	v_cmp_ne_u32_e64 s0, 0, v10
	v_lshrrev_b32_e32 v7, 23, v38
	s_and_b32 s0, vcc_lo, s0
	s_delay_alu instid0(SALU_CYCLE_1) | instskip(NEXT) | instid1(VALU_DEP_1)
	v_cndmask_b32_e64 v10, 0, 1, s0
	v_add_nc_u32_e32 v7, v7, v10
.LBB14_5086:
	s_or_b32 exec_lo, exec_lo, s46
	s_delay_alu instid0(SALU_CYCLE_1)
	s_xor_b32 s46, exec_lo, -1
	s_or_b32 s0, s42, exec_lo
	flat_store_b8 v[8:9], v7
.LBB14_5087:
	s_wait_xcnt 0x0
	s_or_b32 exec_lo, exec_lo, s45
	s_delay_alu instid0(SALU_CYCLE_1)
	s_and_not1_b32 s43, s43, exec_lo
	s_and_b32 s45, s46, exec_lo
	s_and_not1_b32 s42, s42, exec_lo
	s_and_b32 s0, s0, exec_lo
	s_or_b32 s43, s43, s45
	s_or_b32 s42, s42, s0
.LBB14_5088:
	s_or_b32 exec_lo, exec_lo, s44
	s_delay_alu instid0(SALU_CYCLE_1) | instskip(SKIP_1) | instid1(SALU_CYCLE_1)
	s_and_not1_b32 s0, s24, exec_lo
	s_and_b32 s43, s43, exec_lo
                                        ; implicit-def: $vgpr7
                                        ; implicit-def: $vgpr38
                                        ; implicit-def: $vgpr8_vgpr9
	s_or_b32 s43, s0, s43
	s_and_b32 s0, s42, exec_lo
.LBB14_5089:
	s_and_not1_saveexec_b32 s41, s41
	s_cbranch_execz .LBB14_5093
; %bb.5090:
	s_mov_b32 s45, -1
	s_mov_b32 s44, s0
	s_mov_b32 s42, exec_lo
	v_cmpx_eq_u16_e32 29, v7
	s_cbranch_execz .LBB14_5092
; %bb.5091:
	v_trunc_f32_e32 v7, v38
	s_xor_b32 s45, exec_lo, -1
	s_or_b32 s44, s0, exec_lo
	s_delay_alu instid0(VALU_DEP_1) | instskip(NEXT) | instid1(VALU_DEP_1)
	v_mul_f32_e32 v10, 0x2f800000, v7
	v_floor_f32_e32 v10, v10
	s_delay_alu instid0(VALU_DEP_1) | instskip(SKIP_1) | instid1(VALU_DEP_2)
	v_fmamk_f32 v7, v10, 0xcf800000, v7
	v_cvt_u32_f32_e32 v39, v10
	v_cvt_u32_f32_e32 v38, v7
	flat_store_b64 v[8:9], v[38:39]
.LBB14_5092:
	s_wait_xcnt 0x0
	s_or_b32 exec_lo, exec_lo, s42
	s_delay_alu instid0(SALU_CYCLE_1)
	s_and_not1_b32 s42, s43, exec_lo
	s_and_b32 s43, s45, exec_lo
	s_and_not1_b32 s0, s0, exec_lo
	s_and_b32 s44, s44, exec_lo
	s_or_b32 s43, s42, s43
	s_or_b32 s0, s0, s44
.LBB14_5093:
	s_or_b32 exec_lo, exec_lo, s41
	s_delay_alu instid0(SALU_CYCLE_1)
	s_and_not1_b32 s41, s24, exec_lo
	s_and_b32 s42, s43, exec_lo
	s_and_b32 s0, s0, exec_lo
	s_or_b32 s41, s41, s42
                                        ; implicit-def: $vgpr8_vgpr9
                                        ; implicit-def: $vgpr7
                                        ; implicit-def: $vgpr38
.LBB14_5094:
	s_and_not1_saveexec_b32 s29, s29
	s_cbranch_execz .LBB14_5110
; %bb.5095:
	s_mov_b32 s42, exec_lo
	v_cmpx_lt_i16_e32 26, v7
	s_xor_b32 s42, exec_lo, s42
	s_cbranch_execz .LBB14_5101
; %bb.5096:
	v_cmp_lt_i16_e32 vcc_lo, 27, v7
	v_cvt_u32_f32_e32 v7, v38
	s_and_saveexec_b32 s43, vcc_lo
	s_delay_alu instid0(SALU_CYCLE_1)
	s_xor_b32 s43, exec_lo, s43
	s_cbranch_execz .LBB14_5098
; %bb.5097:
	flat_store_b32 v[8:9], v7
                                        ; implicit-def: $vgpr8_vgpr9
                                        ; implicit-def: $vgpr7
.LBB14_5098:
	s_wait_xcnt 0x0
	s_and_not1_saveexec_b32 s43, s43
	s_cbranch_execz .LBB14_5100
; %bb.5099:
	flat_store_b16 v[8:9], v7
.LBB14_5100:
	s_wait_xcnt 0x0
	s_or_b32 exec_lo, exec_lo, s43
                                        ; implicit-def: $vgpr8_vgpr9
                                        ; implicit-def: $vgpr38
.LBB14_5101:
	s_and_not1_saveexec_b32 s42, s42
	s_cbranch_execz .LBB14_5109
; %bb.5102:
	v_and_b32_e32 v7, 0x7fffffff, v38
	v_mov_b32_e32 v10, 0x80
	s_mov_b32 s43, exec_lo
	s_delay_alu instid0(VALU_DEP_2)
	v_cmpx_gt_u32_e32 0x43800000, v7
	s_cbranch_execz .LBB14_5108
; %bb.5103:
	v_cmp_lt_u32_e32 vcc_lo, 0x3bffffff, v7
	s_mov_b32 s44, 0
                                        ; implicit-def: $vgpr7
	s_and_saveexec_b32 s45, vcc_lo
	s_delay_alu instid0(SALU_CYCLE_1)
	s_xor_b32 s45, exec_lo, s45
	s_cbranch_execnz .LBB14_7859
; %bb.5104:
	s_and_not1_saveexec_b32 s45, s45
	s_cbranch_execnz .LBB14_7860
.LBB14_5105:
	s_or_b32 exec_lo, exec_lo, s45
	v_mov_b32_e32 v10, 0
	s_and_saveexec_b32 s45, s44
.LBB14_5106:
	v_lshrrev_b32_e32 v10, 24, v38
	s_delay_alu instid0(VALU_DEP_1)
	v_and_or_b32 v10, 0x80, v10, v7
.LBB14_5107:
	s_or_b32 exec_lo, exec_lo, s45
.LBB14_5108:
	s_delay_alu instid0(SALU_CYCLE_1)
	s_or_b32 exec_lo, exec_lo, s43
	flat_store_b8 v[8:9], v10
.LBB14_5109:
	s_wait_xcnt 0x0
	s_or_b32 exec_lo, exec_lo, s42
	s_delay_alu instid0(SALU_CYCLE_1)
	s_or_b32 s0, s0, exec_lo
.LBB14_5110:
	s_or_b32 exec_lo, exec_lo, s29
	s_delay_alu instid0(SALU_CYCLE_1)
	s_and_not1_b32 s29, s24, exec_lo
	s_and_b32 s41, s41, exec_lo
	s_and_b32 s0, s0, exec_lo
	s_or_b32 s29, s29, s41
                                        ; implicit-def: $vgpr7
                                        ; implicit-def: $vgpr38
                                        ; implicit-def: $vgpr8_vgpr9
.LBB14_5111:
	s_and_not1_saveexec_b32 s40, s40
	s_cbranch_execz .LBB14_5155
; %bb.5112:
	s_mov_b32 s42, s0
	s_mov_b32 s41, exec_lo
	v_cmpx_lt_i16_e32 22, v7
	s_xor_b32 s41, exec_lo, s41
	s_cbranch_execz .LBB14_5144
; %bb.5113:
	s_mov_b32 s42, exec_lo
	v_cmpx_lt_i16_e32 23, v7
	s_xor_b32 s42, exec_lo, s42
	s_cbranch_execz .LBB14_5133
; %bb.5114:
	;; [unrolled: 5-line block ×3, first 2 shown]
	v_and_b32_e32 v7, 0x7fffffff, v38
	v_mov_b32_e32 v10, 0x80
	s_mov_b32 s44, exec_lo
	s_delay_alu instid0(VALU_DEP_2)
	v_cmpx_gt_u32_e32 0x47800000, v7
	s_cbranch_execz .LBB14_5121
; %bb.5116:
	v_cmp_lt_u32_e32 vcc_lo, 0x37ffffff, v7
	s_mov_b32 s45, 0
                                        ; implicit-def: $vgpr7
	s_and_saveexec_b32 s46, vcc_lo
	s_delay_alu instid0(SALU_CYCLE_1)
	s_xor_b32 s46, exec_lo, s46
	s_cbranch_execnz .LBB14_7861
; %bb.5117:
	s_and_not1_saveexec_b32 s46, s46
	s_cbranch_execnz .LBB14_7862
.LBB14_5118:
	s_or_b32 exec_lo, exec_lo, s46
	v_mov_b32_e32 v10, 0
	s_and_saveexec_b32 s46, s45
.LBB14_5119:
	v_lshrrev_b32_e32 v10, 24, v38
	s_delay_alu instid0(VALU_DEP_1)
	v_and_or_b32 v10, 0x80, v10, v7
.LBB14_5120:
	s_or_b32 exec_lo, exec_lo, s46
.LBB14_5121:
	s_delay_alu instid0(SALU_CYCLE_1)
	s_or_b32 exec_lo, exec_lo, s44
	flat_store_b8 v[8:9], v10
                                        ; implicit-def: $vgpr38
                                        ; implicit-def: $vgpr8_vgpr9
.LBB14_5122:
	s_wait_xcnt 0x0
	s_and_not1_saveexec_b32 s43, s43
	s_cbranch_execz .LBB14_5132
; %bb.5123:
	v_and_b32_e32 v10, 0x7fffffff, v38
	s_mov_b32 s44, exec_lo
                                        ; implicit-def: $vgpr7
	s_delay_alu instid0(VALU_DEP_1)
	v_cmpx_gt_u32_e32 0x43f00000, v10
	s_xor_b32 s44, exec_lo, s44
	s_cbranch_execz .LBB14_5129
; %bb.5124:
	s_mov_b32 s45, exec_lo
                                        ; implicit-def: $vgpr7
	v_cmpx_lt_u32_e32 0x3c7fffff, v10
	s_xor_b32 s45, exec_lo, s45
; %bb.5125:
	v_bfe_u32 v7, v38, 20, 1
	s_delay_alu instid0(VALU_DEP_1) | instskip(NEXT) | instid1(VALU_DEP_1)
	v_add3_u32 v7, v38, v7, 0x407ffff
	v_and_b32_e32 v10, 0xff00000, v7
	v_lshrrev_b32_e32 v7, 20, v7
	s_delay_alu instid0(VALU_DEP_2) | instskip(NEXT) | instid1(VALU_DEP_2)
	v_cmp_ne_u32_e32 vcc_lo, 0x7f00000, v10
	v_cndmask_b32_e32 v7, 0x7e, v7, vcc_lo
; %bb.5126:
	s_and_not1_saveexec_b32 s45, s45
; %bb.5127:
	v_add_f32_e64 v7, 0x46800000, |v38|
; %bb.5128:
	s_or_b32 exec_lo, exec_lo, s45
                                        ; implicit-def: $vgpr10
.LBB14_5129:
	s_and_not1_saveexec_b32 s44, s44
; %bb.5130:
	v_mov_b32_e32 v7, 0x7f
	v_cmp_lt_u32_e32 vcc_lo, 0x7f800000, v10
	s_delay_alu instid0(VALU_DEP_2)
	v_cndmask_b32_e32 v7, 0x7e, v7, vcc_lo
; %bb.5131:
	s_or_b32 exec_lo, exec_lo, s44
	v_lshrrev_b32_e32 v10, 24, v38
	s_delay_alu instid0(VALU_DEP_1)
	v_and_or_b32 v7, 0x80, v10, v7
	flat_store_b8 v[8:9], v7
.LBB14_5132:
	s_wait_xcnt 0x0
	s_or_b32 exec_lo, exec_lo, s43
                                        ; implicit-def: $vgpr38
                                        ; implicit-def: $vgpr8_vgpr9
.LBB14_5133:
	s_and_not1_saveexec_b32 s42, s42
	s_cbranch_execz .LBB14_5143
; %bb.5134:
	v_and_b32_e32 v10, 0x7fffffff, v38
	s_mov_b32 s43, exec_lo
                                        ; implicit-def: $vgpr7
	s_delay_alu instid0(VALU_DEP_1)
	v_cmpx_gt_u32_e32 0x47800000, v10
	s_xor_b32 s43, exec_lo, s43
	s_cbranch_execz .LBB14_5140
; %bb.5135:
	s_mov_b32 s44, exec_lo
                                        ; implicit-def: $vgpr7
	v_cmpx_lt_u32_e32 0x387fffff, v10
	s_xor_b32 s44, exec_lo, s44
; %bb.5136:
	v_bfe_u32 v7, v38, 21, 1
	s_delay_alu instid0(VALU_DEP_1) | instskip(NEXT) | instid1(VALU_DEP_1)
	v_add3_u32 v7, v38, v7, 0x80fffff
	v_lshrrev_b32_e32 v7, 21, v7
; %bb.5137:
	s_and_not1_saveexec_b32 s44, s44
; %bb.5138:
	v_add_f32_e64 v7, 0x43000000, |v38|
; %bb.5139:
	s_or_b32 exec_lo, exec_lo, s44
                                        ; implicit-def: $vgpr10
.LBB14_5140:
	s_and_not1_saveexec_b32 s43, s43
; %bb.5141:
	v_mov_b32_e32 v7, 0x7f
	v_cmp_lt_u32_e32 vcc_lo, 0x7f800000, v10
	s_delay_alu instid0(VALU_DEP_2)
	v_cndmask_b32_e32 v7, 0x7c, v7, vcc_lo
; %bb.5142:
	s_or_b32 exec_lo, exec_lo, s43
	v_lshrrev_b32_e32 v10, 24, v38
	s_delay_alu instid0(VALU_DEP_1)
	v_and_or_b32 v7, 0x80, v10, v7
	flat_store_b8 v[8:9], v7
.LBB14_5143:
	s_wait_xcnt 0x0
	s_or_b32 exec_lo, exec_lo, s42
	s_delay_alu instid0(SALU_CYCLE_1)
	s_or_b32 s42, s0, exec_lo
                                        ; implicit-def: $vgpr7
                                        ; implicit-def: $vgpr38
                                        ; implicit-def: $vgpr8_vgpr9
.LBB14_5144:
	s_or_saveexec_b32 s41, s41
	s_mov_b32 s43, s29
	s_xor_b32 exec_lo, exec_lo, s41
	s_cbranch_execz .LBB14_5154
; %bb.5145:
	s_mov_b32 s43, s42
	s_mov_b32 s44, s29
	s_mov_b32 s45, exec_lo
	v_cmpx_lt_i16_e32 14, v7
	s_xor_b32 s45, exec_lo, s45
	s_cbranch_execz .LBB14_5149
; %bb.5146:
	s_mov_b32 s46, -1
	s_mov_b32 s43, s42
	s_mov_b32 s44, exec_lo
	v_cmpx_eq_u16_e32 15, v7
	s_cbranch_execz .LBB14_5148
; %bb.5147:
	v_bfe_u32 v7, v38, 16, 1
	v_cmp_o_f32_e32 vcc_lo, v38, v38
	s_xor_b32 s46, exec_lo, -1
	s_or_b32 s43, s42, exec_lo
	s_delay_alu instid0(VALU_DEP_2) | instskip(NEXT) | instid1(VALU_DEP_1)
	v_add3_u32 v7, v38, v7, 0x7fff
	v_lshrrev_b32_e32 v7, 16, v7
	s_delay_alu instid0(VALU_DEP_1)
	v_cndmask_b32_e32 v7, 0x7fc0, v7, vcc_lo
	flat_store_b16 v[8:9], v7
.LBB14_5148:
	s_wait_xcnt 0x0
	s_or_b32 exec_lo, exec_lo, s44
	s_delay_alu instid0(SALU_CYCLE_1)
	s_and_not1_b32 s44, s29, exec_lo
	s_and_b32 s46, s46, exec_lo
	s_and_not1_b32 s47, s42, exec_lo
	s_and_b32 s43, s43, exec_lo
	s_or_b32 s44, s44, s46
	s_or_b32 s43, s47, s43
                                        ; implicit-def: $vgpr7
                                        ; implicit-def: $vgpr38
                                        ; implicit-def: $vgpr8_vgpr9
.LBB14_5149:
	s_and_not1_saveexec_b32 s45, s45
	s_cbranch_execz .LBB14_5153
; %bb.5150:
	s_mov_b32 s47, -1
	s_mov_b32 s46, s43
	s_mov_b32 s56, exec_lo
	v_cmpx_eq_u16_e32 11, v7
	s_cbranch_execz .LBB14_5152
; %bb.5151:
	v_cmp_neq_f32_e32 vcc_lo, 0, v38
	s_xor_b32 s47, exec_lo, -1
	s_or_b32 s46, s43, exec_lo
	v_cndmask_b32_e64 v7, 0, 1, vcc_lo
	flat_store_b8 v[8:9], v7
.LBB14_5152:
	s_wait_xcnt 0x0
	s_or_b32 exec_lo, exec_lo, s56
	s_delay_alu instid0(SALU_CYCLE_1)
	s_and_not1_b32 s44, s44, exec_lo
	s_and_b32 s47, s47, exec_lo
	s_and_not1_b32 s43, s43, exec_lo
	s_and_b32 s46, s46, exec_lo
	s_or_b32 s44, s44, s47
	s_or_b32 s43, s43, s46
.LBB14_5153:
	s_or_b32 exec_lo, exec_lo, s45
	s_delay_alu instid0(SALU_CYCLE_1)
	s_and_not1_b32 s45, s29, exec_lo
	s_and_b32 s44, s44, exec_lo
	s_and_not1_b32 s42, s42, exec_lo
	s_and_b32 s46, s43, exec_lo
	s_or_b32 s43, s45, s44
	s_or_b32 s42, s42, s46
.LBB14_5154:
	s_or_b32 exec_lo, exec_lo, s41
	s_delay_alu instid0(SALU_CYCLE_1)
	s_and_not1_b32 s29, s29, exec_lo
	s_and_b32 s41, s43, exec_lo
	s_and_not1_b32 s0, s0, exec_lo
	s_and_b32 s42, s42, exec_lo
	s_or_b32 s29, s29, s41
	s_or_b32 s0, s0, s42
.LBB14_5155:
	s_or_b32 exec_lo, exec_lo, s40
	s_delay_alu instid0(SALU_CYCLE_1)
	s_and_not1_b32 s40, s24, exec_lo
	s_and_b32 s29, s29, exec_lo
	s_and_b32 s0, s0, exec_lo
	s_or_b32 s29, s40, s29
                                        ; implicit-def: $vgpr7
                                        ; implicit-def: $vgpr38
                                        ; implicit-def: $vgpr8_vgpr9
.LBB14_5156:
	s_and_not1_saveexec_b32 s26, s26
	s_cbranch_execz .LBB14_5198
; %bb.5157:
	s_mov_b32 s40, exec_lo
	v_cmpx_lt_i16_e32 4, v7
	s_xor_b32 s40, exec_lo, s40
	s_cbranch_execz .LBB14_5179
; %bb.5158:
	s_mov_b32 s41, exec_lo
	v_cmpx_lt_i16_e32 7, v7
	s_xor_b32 s41, exec_lo, s41
	;; [unrolled: 5-line block ×4, first 2 shown]
	s_cbranch_execz .LBB14_5162
; %bb.5161:
	v_cvt_f64_f32_e32 v[68:69], v38
	v_mov_b32_e32 v70, 0
                                        ; implicit-def: $vgpr38
	s_delay_alu instid0(VALU_DEP_1)
	v_mov_b32_e32 v71, v70
	flat_store_b128 v[8:9], v[68:71]
                                        ; implicit-def: $vgpr8_vgpr9
.LBB14_5162:
	s_wait_xcnt 0x0
	s_and_not1_saveexec_b32 s43, s43
	s_cbranch_execz .LBB14_5164
; %bb.5163:
	v_mov_b32_e32 v39, 0
	flat_store_b64 v[8:9], v[38:39]
.LBB14_5164:
	s_wait_xcnt 0x0
	s_or_b32 exec_lo, exec_lo, s43
                                        ; implicit-def: $vgpr38
                                        ; implicit-def: $vgpr8_vgpr9
.LBB14_5165:
	s_and_not1_saveexec_b32 s42, s42
	s_cbranch_execz .LBB14_5167
; %bb.5166:
	v_cvt_f16_f32_e32 v7, v38
	s_delay_alu instid0(VALU_DEP_1)
	v_and_b32_e32 v7, 0xffff, v7
	flat_store_b32 v[8:9], v7
.LBB14_5167:
	s_wait_xcnt 0x0
	s_or_b32 exec_lo, exec_lo, s42
                                        ; implicit-def: $vgpr38
                                        ; implicit-def: $vgpr8_vgpr9
                                        ; implicit-def: $vgpr7
.LBB14_5168:
	s_and_not1_saveexec_b32 s41, s41
	s_cbranch_execz .LBB14_5178
; %bb.5169:
	s_mov_b32 s42, exec_lo
	v_cmpx_lt_i16_e32 5, v7
	s_xor_b32 s42, exec_lo, s42
	s_cbranch_execz .LBB14_5175
; %bb.5170:
	s_mov_b32 s43, exec_lo
	v_cmpx_lt_i16_e32 6, v7
	s_xor_b32 s43, exec_lo, s43
	s_cbranch_execz .LBB14_5172
; %bb.5171:
	v_cvt_f64_f32_e32 v[38:39], v38
	flat_store_b64 v[8:9], v[38:39]
                                        ; implicit-def: $vgpr8_vgpr9
                                        ; implicit-def: $vgpr38
.LBB14_5172:
	s_wait_xcnt 0x0
	s_and_not1_saveexec_b32 s43, s43
	s_cbranch_execz .LBB14_5174
; %bb.5173:
	flat_store_b32 v[8:9], v38
.LBB14_5174:
	s_wait_xcnt 0x0
	s_or_b32 exec_lo, exec_lo, s43
                                        ; implicit-def: $vgpr38
                                        ; implicit-def: $vgpr8_vgpr9
.LBB14_5175:
	s_and_not1_saveexec_b32 s42, s42
	s_cbranch_execz .LBB14_5177
; %bb.5176:
	v_cvt_f16_f32_e32 v7, v38
	flat_store_b16 v[8:9], v7
.LBB14_5177:
	s_wait_xcnt 0x0
	s_or_b32 exec_lo, exec_lo, s42
.LBB14_5178:
	s_delay_alu instid0(SALU_CYCLE_1)
	s_or_b32 exec_lo, exec_lo, s41
                                        ; implicit-def: $vgpr7
                                        ; implicit-def: $vgpr38
                                        ; implicit-def: $vgpr8_vgpr9
.LBB14_5179:
	s_and_not1_saveexec_b32 s40, s40
	s_cbranch_execz .LBB14_5197
; %bb.5180:
	s_mov_b32 s41, exec_lo
	v_cmpx_lt_i16_e32 1, v7
	s_xor_b32 s41, exec_lo, s41
	s_cbranch_execz .LBB14_5190
; %bb.5181:
	s_mov_b32 s42, exec_lo
	v_cmpx_lt_i16_e32 2, v7
	s_xor_b32 s42, exec_lo, s42
	;; [unrolled: 5-line block ×3, first 2 shown]
	s_cbranch_execz .LBB14_5184
; %bb.5183:
	v_trunc_f32_e32 v7, v38
	s_delay_alu instid0(VALU_DEP_1) | instskip(SKIP_1) | instid1(VALU_DEP_2)
	v_mul_f32_e64 v10, 0x2f800000, |v7|
	v_ashrrev_i32_e32 v38, 31, v7
	v_floor_f32_e32 v10, v10
	s_delay_alu instid0(VALU_DEP_1) | instskip(SKIP_1) | instid1(VALU_DEP_2)
	v_fma_f32 v39, 0xcf800000, v10, |v7|
	v_cvt_u32_f32_e32 v7, v10
	v_cvt_u32_f32_e32 v10, v39
	s_delay_alu instid0(VALU_DEP_2) | instskip(NEXT) | instid1(VALU_DEP_2)
	v_dual_mov_b32 v39, v38 :: v_dual_bitop2_b32 v69, v7, v38 bitop3:0x14
	v_xor_b32_e32 v68, v10, v38
	s_delay_alu instid0(VALU_DEP_1)
	v_sub_nc_u64_e32 v[38:39], v[68:69], v[38:39]
	flat_store_b64 v[8:9], v[38:39]
                                        ; implicit-def: $vgpr38
                                        ; implicit-def: $vgpr8_vgpr9
.LBB14_5184:
	s_wait_xcnt 0x0
	s_and_not1_saveexec_b32 s43, s43
	s_cbranch_execz .LBB14_5186
; %bb.5185:
	v_cvt_i32_f32_e32 v7, v38
	flat_store_b32 v[8:9], v7
.LBB14_5186:
	s_wait_xcnt 0x0
	s_or_b32 exec_lo, exec_lo, s43
                                        ; implicit-def: $vgpr38
                                        ; implicit-def: $vgpr8_vgpr9
.LBB14_5187:
	s_and_not1_saveexec_b32 s42, s42
	s_cbranch_execz .LBB14_5189
; %bb.5188:
	v_cvt_i32_f32_e32 v7, v38
	flat_store_b16 v[8:9], v7
.LBB14_5189:
	s_wait_xcnt 0x0
	s_or_b32 exec_lo, exec_lo, s42
                                        ; implicit-def: $vgpr38
                                        ; implicit-def: $vgpr8_vgpr9
                                        ; implicit-def: $vgpr7
.LBB14_5190:
	s_and_not1_saveexec_b32 s41, s41
	s_cbranch_execz .LBB14_5196
; %bb.5191:
	s_mov_b32 s42, exec_lo
	v_cmpx_lt_i16_e32 0, v7
	s_xor_b32 s42, exec_lo, s42
	s_cbranch_execz .LBB14_5193
; %bb.5192:
	v_cvt_i32_f32_e32 v7, v38
                                        ; implicit-def: $vgpr38
	flat_store_b8 v[8:9], v7
                                        ; implicit-def: $vgpr8_vgpr9
.LBB14_5193:
	s_wait_xcnt 0x0
	s_and_not1_saveexec_b32 s42, s42
	s_cbranch_execz .LBB14_5195
; %bb.5194:
	v_trunc_f32_e32 v7, v38
	s_delay_alu instid0(VALU_DEP_1) | instskip(NEXT) | instid1(VALU_DEP_1)
	v_mul_f32_e64 v10, 0x2f800000, |v7|
	v_floor_f32_e32 v10, v10
	s_delay_alu instid0(VALU_DEP_1) | instskip(SKIP_1) | instid1(VALU_DEP_2)
	v_fma_f32 v10, 0xcf800000, v10, |v7|
	v_ashrrev_i32_e32 v7, 31, v7
	v_cvt_u32_f32_e32 v10, v10
	s_delay_alu instid0(VALU_DEP_1) | instskip(NEXT) | instid1(VALU_DEP_1)
	v_xor_b32_e32 v10, v10, v7
	v_sub_nc_u32_e32 v7, v10, v7
	flat_store_b8 v[8:9], v7
.LBB14_5195:
	s_wait_xcnt 0x0
	s_or_b32 exec_lo, exec_lo, s42
.LBB14_5196:
	s_delay_alu instid0(SALU_CYCLE_1)
	s_or_b32 exec_lo, exec_lo, s41
.LBB14_5197:
	s_delay_alu instid0(SALU_CYCLE_1) | instskip(NEXT) | instid1(SALU_CYCLE_1)
	s_or_b32 exec_lo, exec_lo, s40
	s_or_b32 s0, s0, exec_lo
.LBB14_5198:
	s_or_b32 exec_lo, exec_lo, s26
	s_mov_b32 s40, 0
	s_mov_b32 s26, 0
	s_and_saveexec_b32 s41, s0
; %bb.5199:
	v_add_nc_u32_e32 v13, 0x200, v13
	s_mov_b32 s40, exec_lo
	s_delay_alu instid0(VALU_DEP_1)
	v_cmp_lt_i32_e32 vcc_lo, v13, v6
	s_and_b32 s26, vcc_lo, exec_lo
; %bb.5200:
	s_or_b32 exec_lo, exec_lo, s41
	s_delay_alu instid0(SALU_CYCLE_1)
	s_and_not1_b32 s41, s24, exec_lo
	s_and_b32 s29, s29, exec_lo
	s_and_b32 s0, s26, exec_lo
	s_or_b32 s26, s41, s29
	s_or_not1_b32 s40, s40, exec_lo
.LBB14_5201:
	s_or_b32 exec_lo, exec_lo, s27
	s_mov_b32 s29, 0
	s_mov_b32 s41, 0
                                        ; implicit-def: $vgpr8
                                        ; implicit-def: $vgpr7
                                        ; implicit-def: $vgpr38_vgpr39
	s_and_saveexec_b32 s27, s40
	s_cbranch_execz .LBB14_7753
; %bb.5202:
	s_mov_b32 s42, -1
	s_mov_b32 s40, 0
	s_mov_b32 s28, s26
	;; [unrolled: 1-line block ×3, first 2 shown]
	s_and_saveexec_b32 s29, s0
	s_cbranch_execz .LBB14_5330
; %bb.5203:
	v_dual_add_nc_u32 v7, s2, v13 :: v_dual_mov_b32 v9, 0
	s_wait_loadcnt 0x9
	v_mul_f32_e32 v10, v64, v65
	v_cmp_lt_f32_e32 vcc_lo, 0, v65
	s_mov_b32 s0, 0
	v_mul_lo_u32 v8, v7, v12
	v_and_b32_e32 v7, 0xff, v11
	s_mov_b32 s41, s26
	v_cndmask_b32_e32 v38, v10, v65, vcc_lo
	s_mov_b32 s28, exec_lo
	s_delay_alu instid0(VALU_DEP_3)
	v_add_nc_u64_e32 v[8:9], v[0:1], v[8:9]
	v_cmpx_lt_i16_e32 10, v7
	s_xor_b32 s28, exec_lo, s28
	s_cbranch_execz .LBB14_5285
; %bb.5204:
	s_mov_b32 s41, s26
	s_mov_b32 s42, exec_lo
	v_cmpx_lt_i16_e32 25, v7
	s_xor_b32 s42, exec_lo, s42
	s_cbranch_execz .LBB14_5240
; %bb.5205:
	s_mov_b32 s43, s26
	s_mov_b32 s41, exec_lo
	;; [unrolled: 6-line block ×3, first 2 shown]
	v_cmpx_lt_i16_e32 43, v7
	s_xor_b32 s43, exec_lo, s43
	s_cbranch_execz .LBB14_5218
; %bb.5207:
	s_mov_b32 s44, 0
	s_mov_b32 s45, s26
	s_mov_b32 s0, exec_lo
	v_cmpx_lt_i16_e32 45, v7
	s_xor_b32 s0, exec_lo, s0
	s_cbranch_execz .LBB14_5211
; %bb.5208:
	s_mov_b32 s46, -1
	s_mov_b32 s45, exec_lo
	v_cmpx_eq_u16_e32 46, v7
	s_cbranch_execz .LBB14_5210
; %bb.5209:
	v_bfe_u32 v7, v38, 16, 1
	v_cmp_o_f32_e32 vcc_lo, v38, v38
	s_mov_b32 s44, exec_lo
	s_xor_b32 s46, exec_lo, -1
	s_delay_alu instid0(VALU_DEP_2) | instskip(NEXT) | instid1(VALU_DEP_1)
	v_add3_u32 v7, v38, v7, 0x7fff
	v_lshrrev_b32_e32 v7, 16, v7
	s_delay_alu instid0(VALU_DEP_1)
	v_cndmask_b32_e32 v7, 0x7fc0, v7, vcc_lo
	flat_store_b32 v[8:9], v7
.LBB14_5210:
	s_wait_xcnt 0x0
	s_or_b32 exec_lo, exec_lo, s45
	s_delay_alu instid0(SALU_CYCLE_1)
	s_and_not1_b32 s45, s26, exec_lo
	s_and_b32 s46, s46, exec_lo
	s_and_b32 s44, s44, exec_lo
	s_or_b32 s45, s45, s46
                                        ; implicit-def: $vgpr7
                                        ; implicit-def: $vgpr8_vgpr9
                                        ; implicit-def: $vgpr38
.LBB14_5211:
	s_and_not1_saveexec_b32 s46, s0
	s_cbranch_execz .LBB14_5217
; %bb.5212:
	s_mov_b32 s56, -1
	s_mov_b32 s0, s44
	s_mov_b32 s47, exec_lo
	v_cmpx_eq_u16_e32 44, v7
	s_cbranch_execz .LBB14_5216
; %bb.5213:
	v_bfe_u32 v10, v38, 23, 8
	v_mov_b32_e32 v7, 0xff
	s_mov_b32 s56, exec_lo
	s_delay_alu instid0(VALU_DEP_2)
	v_cmpx_ne_u32_e32 0xff, v10
	s_cbranch_execz .LBB14_5215
; %bb.5214:
	v_and_b32_e32 v7, 0x400000, v38
	v_and_or_b32 v10, 0x3fffff, v38, v10
	s_delay_alu instid0(VALU_DEP_2) | instskip(NEXT) | instid1(VALU_DEP_2)
	v_cmp_ne_u32_e32 vcc_lo, 0, v7
	v_cmp_ne_u32_e64 s0, 0, v10
	v_lshrrev_b32_e32 v7, 23, v38
	s_and_b32 s0, vcc_lo, s0
	s_delay_alu instid0(SALU_CYCLE_1) | instskip(NEXT) | instid1(VALU_DEP_1)
	v_cndmask_b32_e64 v10, 0, 1, s0
	v_add_nc_u32_e32 v7, v7, v10
.LBB14_5215:
	s_or_b32 exec_lo, exec_lo, s56
	s_delay_alu instid0(SALU_CYCLE_1)
	s_xor_b32 s56, exec_lo, -1
	s_or_b32 s0, s44, exec_lo
	flat_store_b8 v[8:9], v7
.LBB14_5216:
	s_wait_xcnt 0x0
	s_or_b32 exec_lo, exec_lo, s47
	s_delay_alu instid0(SALU_CYCLE_1)
	s_and_not1_b32 s45, s45, exec_lo
	s_and_b32 s47, s56, exec_lo
	s_and_not1_b32 s44, s44, exec_lo
	s_and_b32 s0, s0, exec_lo
	s_or_b32 s45, s45, s47
	s_or_b32 s44, s44, s0
.LBB14_5217:
	s_or_b32 exec_lo, exec_lo, s46
	s_delay_alu instid0(SALU_CYCLE_1) | instskip(SKIP_1) | instid1(SALU_CYCLE_1)
	s_and_not1_b32 s0, s26, exec_lo
	s_and_b32 s45, s45, exec_lo
                                        ; implicit-def: $vgpr7
                                        ; implicit-def: $vgpr38
                                        ; implicit-def: $vgpr8_vgpr9
	s_or_b32 s45, s0, s45
	s_and_b32 s0, s44, exec_lo
.LBB14_5218:
	s_and_not1_saveexec_b32 s43, s43
	s_cbranch_execz .LBB14_5222
; %bb.5219:
	s_mov_b32 s47, -1
	s_mov_b32 s46, s0
	s_mov_b32 s44, exec_lo
	v_cmpx_eq_u16_e32 29, v7
	s_cbranch_execz .LBB14_5221
; %bb.5220:
	v_trunc_f32_e32 v7, v38
	s_xor_b32 s47, exec_lo, -1
	s_or_b32 s46, s0, exec_lo
	s_delay_alu instid0(VALU_DEP_1) | instskip(NEXT) | instid1(VALU_DEP_1)
	v_mul_f32_e32 v10, 0x2f800000, v7
	v_floor_f32_e32 v10, v10
	s_delay_alu instid0(VALU_DEP_1) | instskip(SKIP_1) | instid1(VALU_DEP_2)
	v_fmamk_f32 v7, v10, 0xcf800000, v7
	v_cvt_u32_f32_e32 v39, v10
	v_cvt_u32_f32_e32 v38, v7
	flat_store_b64 v[8:9], v[38:39]
.LBB14_5221:
	s_wait_xcnt 0x0
	s_or_b32 exec_lo, exec_lo, s44
	s_delay_alu instid0(SALU_CYCLE_1)
	s_and_not1_b32 s44, s45, exec_lo
	s_and_b32 s45, s47, exec_lo
	s_and_not1_b32 s0, s0, exec_lo
	s_and_b32 s46, s46, exec_lo
	s_or_b32 s45, s44, s45
	s_or_b32 s0, s0, s46
.LBB14_5222:
	s_or_b32 exec_lo, exec_lo, s43
	s_delay_alu instid0(SALU_CYCLE_1)
	s_and_not1_b32 s43, s26, exec_lo
	s_and_b32 s44, s45, exec_lo
	s_and_b32 s0, s0, exec_lo
	s_or_b32 s43, s43, s44
                                        ; implicit-def: $vgpr8_vgpr9
                                        ; implicit-def: $vgpr7
                                        ; implicit-def: $vgpr38
.LBB14_5223:
	s_and_not1_saveexec_b32 s41, s41
	s_cbranch_execz .LBB14_5239
; %bb.5224:
	s_mov_b32 s44, exec_lo
	v_cmpx_lt_i16_e32 26, v7
	s_xor_b32 s44, exec_lo, s44
	s_cbranch_execz .LBB14_5230
; %bb.5225:
	v_cmp_lt_i16_e32 vcc_lo, 27, v7
	v_cvt_u32_f32_e32 v7, v38
	s_and_saveexec_b32 s45, vcc_lo
	s_delay_alu instid0(SALU_CYCLE_1)
	s_xor_b32 s45, exec_lo, s45
	s_cbranch_execz .LBB14_5227
; %bb.5226:
	flat_store_b32 v[8:9], v7
                                        ; implicit-def: $vgpr8_vgpr9
                                        ; implicit-def: $vgpr7
.LBB14_5227:
	s_wait_xcnt 0x0
	s_and_not1_saveexec_b32 s45, s45
	s_cbranch_execz .LBB14_5229
; %bb.5228:
	flat_store_b16 v[8:9], v7
.LBB14_5229:
	s_wait_xcnt 0x0
	s_or_b32 exec_lo, exec_lo, s45
                                        ; implicit-def: $vgpr8_vgpr9
                                        ; implicit-def: $vgpr38
.LBB14_5230:
	s_and_not1_saveexec_b32 s44, s44
	s_cbranch_execz .LBB14_5238
; %bb.5231:
	v_and_b32_e32 v7, 0x7fffffff, v38
	v_mov_b32_e32 v10, 0x80
	s_mov_b32 s45, exec_lo
	s_delay_alu instid0(VALU_DEP_2)
	v_cmpx_gt_u32_e32 0x43800000, v7
	s_cbranch_execz .LBB14_5237
; %bb.5232:
	v_cmp_lt_u32_e32 vcc_lo, 0x3bffffff, v7
	s_mov_b32 s46, 0
                                        ; implicit-def: $vgpr7
	s_and_saveexec_b32 s47, vcc_lo
	s_delay_alu instid0(SALU_CYCLE_1)
	s_xor_b32 s47, exec_lo, s47
	s_cbranch_execnz .LBB14_7863
; %bb.5233:
	s_and_not1_saveexec_b32 s47, s47
	s_cbranch_execnz .LBB14_7864
.LBB14_5234:
	s_or_b32 exec_lo, exec_lo, s47
	v_mov_b32_e32 v10, 0
	s_and_saveexec_b32 s47, s46
.LBB14_5235:
	v_lshrrev_b32_e32 v10, 24, v38
	s_delay_alu instid0(VALU_DEP_1)
	v_and_or_b32 v10, 0x80, v10, v7
.LBB14_5236:
	s_or_b32 exec_lo, exec_lo, s47
.LBB14_5237:
	s_delay_alu instid0(SALU_CYCLE_1)
	s_or_b32 exec_lo, exec_lo, s45
	flat_store_b8 v[8:9], v10
.LBB14_5238:
	s_wait_xcnt 0x0
	s_or_b32 exec_lo, exec_lo, s44
	s_delay_alu instid0(SALU_CYCLE_1)
	s_or_b32 s0, s0, exec_lo
.LBB14_5239:
	s_or_b32 exec_lo, exec_lo, s41
	s_delay_alu instid0(SALU_CYCLE_1)
	s_and_not1_b32 s41, s26, exec_lo
	s_and_b32 s43, s43, exec_lo
	s_and_b32 s0, s0, exec_lo
	s_or_b32 s41, s41, s43
                                        ; implicit-def: $vgpr7
                                        ; implicit-def: $vgpr38
                                        ; implicit-def: $vgpr8_vgpr9
.LBB14_5240:
	s_and_not1_saveexec_b32 s42, s42
	s_cbranch_execz .LBB14_5284
; %bb.5241:
	s_mov_b32 s44, s0
	s_mov_b32 s43, exec_lo
	v_cmpx_lt_i16_e32 22, v7
	s_xor_b32 s43, exec_lo, s43
	s_cbranch_execz .LBB14_5273
; %bb.5242:
	s_mov_b32 s44, exec_lo
	v_cmpx_lt_i16_e32 23, v7
	s_xor_b32 s44, exec_lo, s44
	s_cbranch_execz .LBB14_5262
; %bb.5243:
	;; [unrolled: 5-line block ×3, first 2 shown]
	v_and_b32_e32 v7, 0x7fffffff, v38
	v_mov_b32_e32 v10, 0x80
	s_mov_b32 s46, exec_lo
	s_delay_alu instid0(VALU_DEP_2)
	v_cmpx_gt_u32_e32 0x47800000, v7
	s_cbranch_execz .LBB14_5250
; %bb.5245:
	v_cmp_lt_u32_e32 vcc_lo, 0x37ffffff, v7
	s_mov_b32 s47, 0
                                        ; implicit-def: $vgpr7
	s_and_saveexec_b32 s56, vcc_lo
	s_delay_alu instid0(SALU_CYCLE_1)
	s_xor_b32 s56, exec_lo, s56
	s_cbranch_execnz .LBB14_7865
; %bb.5246:
	s_and_not1_saveexec_b32 s56, s56
	s_cbranch_execnz .LBB14_7866
.LBB14_5247:
	s_or_b32 exec_lo, exec_lo, s56
	v_mov_b32_e32 v10, 0
	s_and_saveexec_b32 s56, s47
.LBB14_5248:
	v_lshrrev_b32_e32 v10, 24, v38
	s_delay_alu instid0(VALU_DEP_1)
	v_and_or_b32 v10, 0x80, v10, v7
.LBB14_5249:
	s_or_b32 exec_lo, exec_lo, s56
.LBB14_5250:
	s_delay_alu instid0(SALU_CYCLE_1)
	s_or_b32 exec_lo, exec_lo, s46
	flat_store_b8 v[8:9], v10
                                        ; implicit-def: $vgpr38
                                        ; implicit-def: $vgpr8_vgpr9
.LBB14_5251:
	s_wait_xcnt 0x0
	s_and_not1_saveexec_b32 s45, s45
	s_cbranch_execz .LBB14_5261
; %bb.5252:
	v_and_b32_e32 v10, 0x7fffffff, v38
	s_mov_b32 s46, exec_lo
                                        ; implicit-def: $vgpr7
	s_delay_alu instid0(VALU_DEP_1)
	v_cmpx_gt_u32_e32 0x43f00000, v10
	s_xor_b32 s46, exec_lo, s46
	s_cbranch_execz .LBB14_5258
; %bb.5253:
	s_mov_b32 s47, exec_lo
                                        ; implicit-def: $vgpr7
	v_cmpx_lt_u32_e32 0x3c7fffff, v10
	s_xor_b32 s47, exec_lo, s47
; %bb.5254:
	v_bfe_u32 v7, v38, 20, 1
	s_delay_alu instid0(VALU_DEP_1) | instskip(NEXT) | instid1(VALU_DEP_1)
	v_add3_u32 v7, v38, v7, 0x407ffff
	v_and_b32_e32 v10, 0xff00000, v7
	v_lshrrev_b32_e32 v7, 20, v7
	s_delay_alu instid0(VALU_DEP_2) | instskip(NEXT) | instid1(VALU_DEP_2)
	v_cmp_ne_u32_e32 vcc_lo, 0x7f00000, v10
	v_cndmask_b32_e32 v7, 0x7e, v7, vcc_lo
; %bb.5255:
	s_and_not1_saveexec_b32 s47, s47
; %bb.5256:
	v_add_f32_e64 v7, 0x46800000, |v38|
; %bb.5257:
	s_or_b32 exec_lo, exec_lo, s47
                                        ; implicit-def: $vgpr10
.LBB14_5258:
	s_and_not1_saveexec_b32 s46, s46
; %bb.5259:
	v_mov_b32_e32 v7, 0x7f
	v_cmp_lt_u32_e32 vcc_lo, 0x7f800000, v10
	s_delay_alu instid0(VALU_DEP_2)
	v_cndmask_b32_e32 v7, 0x7e, v7, vcc_lo
; %bb.5260:
	s_or_b32 exec_lo, exec_lo, s46
	v_lshrrev_b32_e32 v10, 24, v38
	s_delay_alu instid0(VALU_DEP_1)
	v_and_or_b32 v7, 0x80, v10, v7
	flat_store_b8 v[8:9], v7
.LBB14_5261:
	s_wait_xcnt 0x0
	s_or_b32 exec_lo, exec_lo, s45
                                        ; implicit-def: $vgpr38
                                        ; implicit-def: $vgpr8_vgpr9
.LBB14_5262:
	s_and_not1_saveexec_b32 s44, s44
	s_cbranch_execz .LBB14_5272
; %bb.5263:
	v_and_b32_e32 v10, 0x7fffffff, v38
	s_mov_b32 s45, exec_lo
                                        ; implicit-def: $vgpr7
	s_delay_alu instid0(VALU_DEP_1)
	v_cmpx_gt_u32_e32 0x47800000, v10
	s_xor_b32 s45, exec_lo, s45
	s_cbranch_execz .LBB14_5269
; %bb.5264:
	s_mov_b32 s46, exec_lo
                                        ; implicit-def: $vgpr7
	v_cmpx_lt_u32_e32 0x387fffff, v10
	s_xor_b32 s46, exec_lo, s46
; %bb.5265:
	v_bfe_u32 v7, v38, 21, 1
	s_delay_alu instid0(VALU_DEP_1) | instskip(NEXT) | instid1(VALU_DEP_1)
	v_add3_u32 v7, v38, v7, 0x80fffff
	v_lshrrev_b32_e32 v7, 21, v7
; %bb.5266:
	s_and_not1_saveexec_b32 s46, s46
; %bb.5267:
	v_add_f32_e64 v7, 0x43000000, |v38|
; %bb.5268:
	s_or_b32 exec_lo, exec_lo, s46
                                        ; implicit-def: $vgpr10
.LBB14_5269:
	s_and_not1_saveexec_b32 s45, s45
; %bb.5270:
	v_mov_b32_e32 v7, 0x7f
	v_cmp_lt_u32_e32 vcc_lo, 0x7f800000, v10
	s_delay_alu instid0(VALU_DEP_2)
	v_cndmask_b32_e32 v7, 0x7c, v7, vcc_lo
; %bb.5271:
	s_or_b32 exec_lo, exec_lo, s45
	v_lshrrev_b32_e32 v10, 24, v38
	s_delay_alu instid0(VALU_DEP_1)
	v_and_or_b32 v7, 0x80, v10, v7
	flat_store_b8 v[8:9], v7
.LBB14_5272:
	s_wait_xcnt 0x0
	s_or_b32 exec_lo, exec_lo, s44
	s_delay_alu instid0(SALU_CYCLE_1)
	s_or_b32 s44, s0, exec_lo
                                        ; implicit-def: $vgpr7
                                        ; implicit-def: $vgpr38
                                        ; implicit-def: $vgpr8_vgpr9
.LBB14_5273:
	s_or_saveexec_b32 s43, s43
	s_mov_b32 s45, s41
	s_xor_b32 exec_lo, exec_lo, s43
	s_cbranch_execz .LBB14_5283
; %bb.5274:
	s_mov_b32 s45, s44
	s_mov_b32 s46, s41
	s_mov_b32 s47, exec_lo
	v_cmpx_lt_i16_e32 14, v7
	s_xor_b32 s47, exec_lo, s47
	s_cbranch_execz .LBB14_5278
; %bb.5275:
	s_mov_b32 s56, -1
	s_mov_b32 s45, s44
	s_mov_b32 s46, exec_lo
	v_cmpx_eq_u16_e32 15, v7
	s_cbranch_execz .LBB14_5277
; %bb.5276:
	v_bfe_u32 v7, v38, 16, 1
	v_cmp_o_f32_e32 vcc_lo, v38, v38
	s_xor_b32 s56, exec_lo, -1
	s_or_b32 s45, s44, exec_lo
	s_delay_alu instid0(VALU_DEP_2) | instskip(NEXT) | instid1(VALU_DEP_1)
	v_add3_u32 v7, v38, v7, 0x7fff
	v_lshrrev_b32_e32 v7, 16, v7
	s_delay_alu instid0(VALU_DEP_1)
	v_cndmask_b32_e32 v7, 0x7fc0, v7, vcc_lo
	flat_store_b16 v[8:9], v7
.LBB14_5277:
	s_wait_xcnt 0x0
	s_or_b32 exec_lo, exec_lo, s46
	s_delay_alu instid0(SALU_CYCLE_1)
	s_and_not1_b32 s46, s41, exec_lo
	s_and_b32 s56, s56, exec_lo
	s_and_not1_b32 s57, s44, exec_lo
	s_and_b32 s45, s45, exec_lo
	s_or_b32 s46, s46, s56
	s_or_b32 s45, s57, s45
                                        ; implicit-def: $vgpr7
                                        ; implicit-def: $vgpr38
                                        ; implicit-def: $vgpr8_vgpr9
.LBB14_5278:
	s_and_not1_saveexec_b32 s47, s47
	s_cbranch_execz .LBB14_5282
; %bb.5279:
	s_mov_b32 s57, -1
	s_mov_b32 s56, s45
	s_mov_b32 s58, exec_lo
	v_cmpx_eq_u16_e32 11, v7
	s_cbranch_execz .LBB14_5281
; %bb.5280:
	v_cmp_neq_f32_e32 vcc_lo, 0, v38
	s_xor_b32 s57, exec_lo, -1
	s_or_b32 s56, s45, exec_lo
	v_cndmask_b32_e64 v7, 0, 1, vcc_lo
	flat_store_b8 v[8:9], v7
.LBB14_5281:
	s_wait_xcnt 0x0
	s_or_b32 exec_lo, exec_lo, s58
	s_delay_alu instid0(SALU_CYCLE_1)
	s_and_not1_b32 s46, s46, exec_lo
	s_and_b32 s57, s57, exec_lo
	s_and_not1_b32 s45, s45, exec_lo
	s_and_b32 s56, s56, exec_lo
	s_or_b32 s46, s46, s57
	s_or_b32 s45, s45, s56
.LBB14_5282:
	s_or_b32 exec_lo, exec_lo, s47
	s_delay_alu instid0(SALU_CYCLE_1)
	s_and_not1_b32 s47, s41, exec_lo
	s_and_b32 s46, s46, exec_lo
	s_and_not1_b32 s44, s44, exec_lo
	s_and_b32 s56, s45, exec_lo
	s_or_b32 s45, s47, s46
	s_or_b32 s44, s44, s56
.LBB14_5283:
	s_or_b32 exec_lo, exec_lo, s43
	s_delay_alu instid0(SALU_CYCLE_1)
	s_and_not1_b32 s41, s41, exec_lo
	s_and_b32 s43, s45, exec_lo
	s_and_not1_b32 s0, s0, exec_lo
	s_and_b32 s44, s44, exec_lo
	s_or_b32 s41, s41, s43
	s_or_b32 s0, s0, s44
.LBB14_5284:
	s_or_b32 exec_lo, exec_lo, s42
	s_delay_alu instid0(SALU_CYCLE_1)
	s_and_not1_b32 s42, s26, exec_lo
	s_and_b32 s41, s41, exec_lo
	s_and_b32 s0, s0, exec_lo
	s_or_b32 s41, s42, s41
                                        ; implicit-def: $vgpr7
                                        ; implicit-def: $vgpr38
                                        ; implicit-def: $vgpr8_vgpr9
.LBB14_5285:
	s_and_not1_saveexec_b32 s28, s28
	s_cbranch_execz .LBB14_5327
; %bb.5286:
	s_mov_b32 s42, exec_lo
	v_cmpx_lt_i16_e32 4, v7
	s_xor_b32 s42, exec_lo, s42
	s_cbranch_execz .LBB14_5308
; %bb.5287:
	s_mov_b32 s43, exec_lo
	v_cmpx_lt_i16_e32 7, v7
	s_xor_b32 s43, exec_lo, s43
	;; [unrolled: 5-line block ×4, first 2 shown]
	s_cbranch_execz .LBB14_5291
; %bb.5290:
	v_cvt_f64_f32_e32 v[68:69], v38
	v_mov_b32_e32 v70, 0
                                        ; implicit-def: $vgpr38
	s_delay_alu instid0(VALU_DEP_1)
	v_mov_b32_e32 v71, v70
	flat_store_b128 v[8:9], v[68:71]
                                        ; implicit-def: $vgpr8_vgpr9
.LBB14_5291:
	s_wait_xcnt 0x0
	s_and_not1_saveexec_b32 s45, s45
	s_cbranch_execz .LBB14_5293
; %bb.5292:
	v_mov_b32_e32 v39, 0
	flat_store_b64 v[8:9], v[38:39]
.LBB14_5293:
	s_wait_xcnt 0x0
	s_or_b32 exec_lo, exec_lo, s45
                                        ; implicit-def: $vgpr38
                                        ; implicit-def: $vgpr8_vgpr9
.LBB14_5294:
	s_and_not1_saveexec_b32 s44, s44
	s_cbranch_execz .LBB14_5296
; %bb.5295:
	v_cvt_f16_f32_e32 v7, v38
	s_delay_alu instid0(VALU_DEP_1)
	v_and_b32_e32 v7, 0xffff, v7
	flat_store_b32 v[8:9], v7
.LBB14_5296:
	s_wait_xcnt 0x0
	s_or_b32 exec_lo, exec_lo, s44
                                        ; implicit-def: $vgpr38
                                        ; implicit-def: $vgpr8_vgpr9
                                        ; implicit-def: $vgpr7
.LBB14_5297:
	s_and_not1_saveexec_b32 s43, s43
	s_cbranch_execz .LBB14_5307
; %bb.5298:
	s_mov_b32 s44, exec_lo
	v_cmpx_lt_i16_e32 5, v7
	s_xor_b32 s44, exec_lo, s44
	s_cbranch_execz .LBB14_5304
; %bb.5299:
	s_mov_b32 s45, exec_lo
	v_cmpx_lt_i16_e32 6, v7
	s_xor_b32 s45, exec_lo, s45
	s_cbranch_execz .LBB14_5301
; %bb.5300:
	v_cvt_f64_f32_e32 v[38:39], v38
	flat_store_b64 v[8:9], v[38:39]
                                        ; implicit-def: $vgpr8_vgpr9
                                        ; implicit-def: $vgpr38
.LBB14_5301:
	s_wait_xcnt 0x0
	s_and_not1_saveexec_b32 s45, s45
	s_cbranch_execz .LBB14_5303
; %bb.5302:
	flat_store_b32 v[8:9], v38
.LBB14_5303:
	s_wait_xcnt 0x0
	s_or_b32 exec_lo, exec_lo, s45
                                        ; implicit-def: $vgpr38
                                        ; implicit-def: $vgpr8_vgpr9
.LBB14_5304:
	s_and_not1_saveexec_b32 s44, s44
	s_cbranch_execz .LBB14_5306
; %bb.5305:
	v_cvt_f16_f32_e32 v7, v38
	flat_store_b16 v[8:9], v7
.LBB14_5306:
	s_wait_xcnt 0x0
	s_or_b32 exec_lo, exec_lo, s44
.LBB14_5307:
	s_delay_alu instid0(SALU_CYCLE_1)
	s_or_b32 exec_lo, exec_lo, s43
                                        ; implicit-def: $vgpr7
                                        ; implicit-def: $vgpr38
                                        ; implicit-def: $vgpr8_vgpr9
.LBB14_5308:
	s_and_not1_saveexec_b32 s42, s42
	s_cbranch_execz .LBB14_5326
; %bb.5309:
	s_mov_b32 s43, exec_lo
	v_cmpx_lt_i16_e32 1, v7
	s_xor_b32 s43, exec_lo, s43
	s_cbranch_execz .LBB14_5319
; %bb.5310:
	s_mov_b32 s44, exec_lo
	v_cmpx_lt_i16_e32 2, v7
	s_xor_b32 s44, exec_lo, s44
	;; [unrolled: 5-line block ×3, first 2 shown]
	s_cbranch_execz .LBB14_5313
; %bb.5312:
	v_trunc_f32_e32 v7, v38
	s_delay_alu instid0(VALU_DEP_1) | instskip(SKIP_1) | instid1(VALU_DEP_2)
	v_mul_f32_e64 v10, 0x2f800000, |v7|
	v_ashrrev_i32_e32 v38, 31, v7
	v_floor_f32_e32 v10, v10
	s_delay_alu instid0(VALU_DEP_1) | instskip(SKIP_1) | instid1(VALU_DEP_2)
	v_fma_f32 v39, 0xcf800000, v10, |v7|
	v_cvt_u32_f32_e32 v7, v10
	v_cvt_u32_f32_e32 v10, v39
	s_delay_alu instid0(VALU_DEP_2) | instskip(NEXT) | instid1(VALU_DEP_2)
	v_dual_mov_b32 v39, v38 :: v_dual_bitop2_b32 v65, v7, v38 bitop3:0x14
	v_xor_b32_e32 v64, v10, v38
	s_delay_alu instid0(VALU_DEP_1)
	v_sub_nc_u64_e32 v[38:39], v[64:65], v[38:39]
	flat_store_b64 v[8:9], v[38:39]
                                        ; implicit-def: $vgpr38
                                        ; implicit-def: $vgpr8_vgpr9
.LBB14_5313:
	s_wait_xcnt 0x0
	s_and_not1_saveexec_b32 s45, s45
	s_cbranch_execz .LBB14_5315
; %bb.5314:
	v_cvt_i32_f32_e32 v7, v38
	flat_store_b32 v[8:9], v7
.LBB14_5315:
	s_wait_xcnt 0x0
	s_or_b32 exec_lo, exec_lo, s45
                                        ; implicit-def: $vgpr38
                                        ; implicit-def: $vgpr8_vgpr9
.LBB14_5316:
	s_and_not1_saveexec_b32 s44, s44
	s_cbranch_execz .LBB14_5318
; %bb.5317:
	v_cvt_i32_f32_e32 v7, v38
	flat_store_b16 v[8:9], v7
.LBB14_5318:
	s_wait_xcnt 0x0
	s_or_b32 exec_lo, exec_lo, s44
                                        ; implicit-def: $vgpr38
                                        ; implicit-def: $vgpr8_vgpr9
                                        ; implicit-def: $vgpr7
.LBB14_5319:
	s_and_not1_saveexec_b32 s43, s43
	s_cbranch_execz .LBB14_5325
; %bb.5320:
	s_mov_b32 s44, exec_lo
	v_cmpx_lt_i16_e32 0, v7
	s_xor_b32 s44, exec_lo, s44
	s_cbranch_execz .LBB14_5322
; %bb.5321:
	v_cvt_i32_f32_e32 v7, v38
                                        ; implicit-def: $vgpr38
	flat_store_b8 v[8:9], v7
                                        ; implicit-def: $vgpr8_vgpr9
.LBB14_5322:
	s_wait_xcnt 0x0
	s_and_not1_saveexec_b32 s44, s44
	s_cbranch_execz .LBB14_5324
; %bb.5323:
	v_trunc_f32_e32 v7, v38
	s_delay_alu instid0(VALU_DEP_1) | instskip(NEXT) | instid1(VALU_DEP_1)
	v_mul_f32_e64 v10, 0x2f800000, |v7|
	v_floor_f32_e32 v10, v10
	s_delay_alu instid0(VALU_DEP_1) | instskip(SKIP_1) | instid1(VALU_DEP_2)
	v_fma_f32 v10, 0xcf800000, v10, |v7|
	v_ashrrev_i32_e32 v7, 31, v7
	v_cvt_u32_f32_e32 v10, v10
	s_delay_alu instid0(VALU_DEP_1) | instskip(NEXT) | instid1(VALU_DEP_1)
	v_xor_b32_e32 v10, v10, v7
	v_sub_nc_u32_e32 v7, v10, v7
	flat_store_b8 v[8:9], v7
.LBB14_5324:
	s_wait_xcnt 0x0
	s_or_b32 exec_lo, exec_lo, s44
.LBB14_5325:
	s_delay_alu instid0(SALU_CYCLE_1)
	s_or_b32 exec_lo, exec_lo, s43
.LBB14_5326:
	s_delay_alu instid0(SALU_CYCLE_1) | instskip(NEXT) | instid1(SALU_CYCLE_1)
	s_or_b32 exec_lo, exec_lo, s42
	s_or_b32 s0, s0, exec_lo
.LBB14_5327:
	s_or_b32 exec_lo, exec_lo, s28
	s_mov_b32 s42, 0
	s_mov_b32 s28, 0
	s_and_saveexec_b32 s43, s0
; %bb.5328:
	v_add_nc_u32_e32 v13, 0x200, v13
	s_mov_b32 s42, exec_lo
	s_delay_alu instid0(VALU_DEP_1)
	v_cmp_lt_i32_e32 vcc_lo, v13, v6
	s_and_b32 s28, vcc_lo, exec_lo
; %bb.5329:
	s_or_b32 exec_lo, exec_lo, s43
	s_delay_alu instid0(SALU_CYCLE_1)
	s_and_not1_b32 s0, s26, exec_lo
	s_and_b32 s41, s41, exec_lo
	s_and_b32 s43, s28, exec_lo
	s_or_b32 s28, s0, s41
	s_or_not1_b32 s42, s42, exec_lo
.LBB14_5330:
	s_or_b32 exec_lo, exec_lo, s29
	s_mov_b32 s0, 0
	s_mov_b32 s41, 0
                                        ; implicit-def: $vgpr8
                                        ; implicit-def: $vgpr7
                                        ; implicit-def: $vgpr38_vgpr39
	s_and_saveexec_b32 s29, s42
	s_cbranch_execz .LBB14_7752
; %bb.5331:
	s_mov_b32 s44, -1
	s_mov_b32 s42, 0
	s_mov_b32 s40, s28
	s_and_saveexec_b32 s41, s43
	s_cbranch_execz .LBB14_5459
; %bb.5332:
	v_dual_add_nc_u32 v7, s2, v13 :: v_dual_mov_b32 v9, 0
	s_wait_loadcnt 0x9
	v_mul_f32_e32 v10, v66, v67
	v_cmp_lt_f32_e32 vcc_lo, 0, v67
	s_mov_b32 s43, s28
	v_mul_lo_u32 v8, v7, v12
	v_and_b32_e32 v7, 0xff, v11
	s_mov_b32 s40, exec_lo
	v_cndmask_b32_e32 v38, v10, v67, vcc_lo
	s_delay_alu instid0(VALU_DEP_3) | instskip(NEXT) | instid1(VALU_DEP_3)
	v_add_nc_u64_e32 v[8:9], v[0:1], v[8:9]
	v_cmpx_lt_i16_e32 10, v7
	s_xor_b32 s40, exec_lo, s40
	s_cbranch_execz .LBB14_5414
; %bb.5333:
	s_mov_b32 s43, s28
	s_mov_b32 s44, exec_lo
	v_cmpx_lt_i16_e32 25, v7
	s_xor_b32 s44, exec_lo, s44
	s_cbranch_execz .LBB14_5369
; %bb.5334:
	s_mov_b32 s45, s28
	s_mov_b32 s43, exec_lo
	;; [unrolled: 6-line block ×3, first 2 shown]
	v_cmpx_lt_i16_e32 43, v7
	s_xor_b32 s45, exec_lo, s45
	s_cbranch_execz .LBB14_5347
; %bb.5336:
	s_mov_b32 s46, 0
	s_mov_b32 s47, s28
	s_mov_b32 s0, exec_lo
	v_cmpx_lt_i16_e32 45, v7
	s_xor_b32 s0, exec_lo, s0
	s_cbranch_execz .LBB14_5340
; %bb.5337:
	s_mov_b32 s56, -1
	s_mov_b32 s47, exec_lo
	v_cmpx_eq_u16_e32 46, v7
	s_cbranch_execz .LBB14_5339
; %bb.5338:
	v_bfe_u32 v7, v38, 16, 1
	v_cmp_o_f32_e32 vcc_lo, v38, v38
	s_mov_b32 s46, exec_lo
	s_xor_b32 s56, exec_lo, -1
	s_delay_alu instid0(VALU_DEP_2) | instskip(NEXT) | instid1(VALU_DEP_1)
	v_add3_u32 v7, v38, v7, 0x7fff
	v_lshrrev_b32_e32 v7, 16, v7
	s_delay_alu instid0(VALU_DEP_1)
	v_cndmask_b32_e32 v7, 0x7fc0, v7, vcc_lo
	flat_store_b32 v[8:9], v7
.LBB14_5339:
	s_wait_xcnt 0x0
	s_or_b32 exec_lo, exec_lo, s47
	s_delay_alu instid0(SALU_CYCLE_1)
	s_and_not1_b32 s47, s28, exec_lo
	s_and_b32 s56, s56, exec_lo
	s_and_b32 s46, s46, exec_lo
	s_or_b32 s47, s47, s56
                                        ; implicit-def: $vgpr7
                                        ; implicit-def: $vgpr8_vgpr9
                                        ; implicit-def: $vgpr38
.LBB14_5340:
	s_and_not1_saveexec_b32 s56, s0
	s_cbranch_execz .LBB14_5346
; %bb.5341:
	s_mov_b32 s58, -1
	s_mov_b32 s0, s46
	s_mov_b32 s57, exec_lo
	v_cmpx_eq_u16_e32 44, v7
	s_cbranch_execz .LBB14_5345
; %bb.5342:
	v_bfe_u32 v10, v38, 23, 8
	v_mov_b32_e32 v7, 0xff
	s_mov_b32 s58, exec_lo
	s_delay_alu instid0(VALU_DEP_2)
	v_cmpx_ne_u32_e32 0xff, v10
	s_cbranch_execz .LBB14_5344
; %bb.5343:
	v_and_b32_e32 v7, 0x400000, v38
	v_and_or_b32 v10, 0x3fffff, v38, v10
	s_delay_alu instid0(VALU_DEP_2) | instskip(NEXT) | instid1(VALU_DEP_2)
	v_cmp_ne_u32_e32 vcc_lo, 0, v7
	v_cmp_ne_u32_e64 s0, 0, v10
	v_lshrrev_b32_e32 v7, 23, v38
	s_and_b32 s0, vcc_lo, s0
	s_delay_alu instid0(SALU_CYCLE_1) | instskip(NEXT) | instid1(VALU_DEP_1)
	v_cndmask_b32_e64 v10, 0, 1, s0
	v_add_nc_u32_e32 v7, v7, v10
.LBB14_5344:
	s_or_b32 exec_lo, exec_lo, s58
	s_delay_alu instid0(SALU_CYCLE_1)
	s_xor_b32 s58, exec_lo, -1
	s_or_b32 s0, s46, exec_lo
	flat_store_b8 v[8:9], v7
.LBB14_5345:
	s_wait_xcnt 0x0
	s_or_b32 exec_lo, exec_lo, s57
	s_delay_alu instid0(SALU_CYCLE_1)
	s_and_not1_b32 s47, s47, exec_lo
	s_and_b32 s57, s58, exec_lo
	s_and_not1_b32 s46, s46, exec_lo
	s_and_b32 s0, s0, exec_lo
	s_or_b32 s47, s47, s57
	s_or_b32 s46, s46, s0
.LBB14_5346:
	s_or_b32 exec_lo, exec_lo, s56
	s_delay_alu instid0(SALU_CYCLE_1) | instskip(SKIP_1) | instid1(SALU_CYCLE_1)
	s_and_not1_b32 s0, s28, exec_lo
	s_and_b32 s47, s47, exec_lo
                                        ; implicit-def: $vgpr7
                                        ; implicit-def: $vgpr38
                                        ; implicit-def: $vgpr8_vgpr9
	s_or_b32 s47, s0, s47
	s_and_b32 s0, s46, exec_lo
.LBB14_5347:
	s_and_not1_saveexec_b32 s45, s45
	s_cbranch_execz .LBB14_5351
; %bb.5348:
	s_mov_b32 s57, -1
	s_mov_b32 s56, s0
	s_mov_b32 s46, exec_lo
	v_cmpx_eq_u16_e32 29, v7
	s_cbranch_execz .LBB14_5350
; %bb.5349:
	v_trunc_f32_e32 v7, v38
	s_xor_b32 s57, exec_lo, -1
	s_or_b32 s56, s0, exec_lo
	s_delay_alu instid0(VALU_DEP_1) | instskip(NEXT) | instid1(VALU_DEP_1)
	v_mul_f32_e32 v10, 0x2f800000, v7
	v_floor_f32_e32 v10, v10
	s_delay_alu instid0(VALU_DEP_1) | instskip(SKIP_1) | instid1(VALU_DEP_2)
	v_fmamk_f32 v7, v10, 0xcf800000, v7
	v_cvt_u32_f32_e32 v39, v10
	v_cvt_u32_f32_e32 v38, v7
	flat_store_b64 v[8:9], v[38:39]
.LBB14_5350:
	s_wait_xcnt 0x0
	s_or_b32 exec_lo, exec_lo, s46
	s_delay_alu instid0(SALU_CYCLE_1)
	s_and_not1_b32 s46, s47, exec_lo
	s_and_b32 s47, s57, exec_lo
	s_and_not1_b32 s0, s0, exec_lo
	s_and_b32 s56, s56, exec_lo
	s_or_b32 s47, s46, s47
	s_or_b32 s0, s0, s56
.LBB14_5351:
	s_or_b32 exec_lo, exec_lo, s45
	s_delay_alu instid0(SALU_CYCLE_1)
	s_and_not1_b32 s45, s28, exec_lo
	s_and_b32 s46, s47, exec_lo
	s_and_b32 s0, s0, exec_lo
	s_or_b32 s45, s45, s46
                                        ; implicit-def: $vgpr8_vgpr9
                                        ; implicit-def: $vgpr7
                                        ; implicit-def: $vgpr38
.LBB14_5352:
	s_and_not1_saveexec_b32 s43, s43
	s_cbranch_execz .LBB14_5368
; %bb.5353:
	s_mov_b32 s46, exec_lo
	v_cmpx_lt_i16_e32 26, v7
	s_xor_b32 s46, exec_lo, s46
	s_cbranch_execz .LBB14_5359
; %bb.5354:
	v_cmp_lt_i16_e32 vcc_lo, 27, v7
	v_cvt_u32_f32_e32 v7, v38
	s_and_saveexec_b32 s47, vcc_lo
	s_delay_alu instid0(SALU_CYCLE_1)
	s_xor_b32 s47, exec_lo, s47
	s_cbranch_execz .LBB14_5356
; %bb.5355:
	flat_store_b32 v[8:9], v7
                                        ; implicit-def: $vgpr8_vgpr9
                                        ; implicit-def: $vgpr7
.LBB14_5356:
	s_wait_xcnt 0x0
	s_and_not1_saveexec_b32 s47, s47
	s_cbranch_execz .LBB14_5358
; %bb.5357:
	flat_store_b16 v[8:9], v7
.LBB14_5358:
	s_wait_xcnt 0x0
	s_or_b32 exec_lo, exec_lo, s47
                                        ; implicit-def: $vgpr8_vgpr9
                                        ; implicit-def: $vgpr38
.LBB14_5359:
	s_and_not1_saveexec_b32 s46, s46
	s_cbranch_execz .LBB14_5367
; %bb.5360:
	v_and_b32_e32 v7, 0x7fffffff, v38
	v_mov_b32_e32 v10, 0x80
	s_mov_b32 s47, exec_lo
	s_delay_alu instid0(VALU_DEP_2)
	v_cmpx_gt_u32_e32 0x43800000, v7
	s_cbranch_execz .LBB14_5366
; %bb.5361:
	v_cmp_lt_u32_e32 vcc_lo, 0x3bffffff, v7
	s_mov_b32 s56, 0
                                        ; implicit-def: $vgpr7
	s_and_saveexec_b32 s57, vcc_lo
	s_delay_alu instid0(SALU_CYCLE_1)
	s_xor_b32 s57, exec_lo, s57
	s_cbranch_execnz .LBB14_7867
; %bb.5362:
	s_and_not1_saveexec_b32 s57, s57
	s_cbranch_execnz .LBB14_7868
.LBB14_5363:
	s_or_b32 exec_lo, exec_lo, s57
	v_mov_b32_e32 v10, 0
	s_and_saveexec_b32 s57, s56
.LBB14_5364:
	v_lshrrev_b32_e32 v10, 24, v38
	s_delay_alu instid0(VALU_DEP_1)
	v_and_or_b32 v10, 0x80, v10, v7
.LBB14_5365:
	s_or_b32 exec_lo, exec_lo, s57
.LBB14_5366:
	s_delay_alu instid0(SALU_CYCLE_1)
	s_or_b32 exec_lo, exec_lo, s47
	flat_store_b8 v[8:9], v10
.LBB14_5367:
	s_wait_xcnt 0x0
	s_or_b32 exec_lo, exec_lo, s46
	s_delay_alu instid0(SALU_CYCLE_1)
	s_or_b32 s0, s0, exec_lo
.LBB14_5368:
	s_or_b32 exec_lo, exec_lo, s43
	s_delay_alu instid0(SALU_CYCLE_1)
	s_and_not1_b32 s43, s28, exec_lo
	s_and_b32 s45, s45, exec_lo
	s_and_b32 s0, s0, exec_lo
	s_or_b32 s43, s43, s45
                                        ; implicit-def: $vgpr7
                                        ; implicit-def: $vgpr38
                                        ; implicit-def: $vgpr8_vgpr9
.LBB14_5369:
	s_and_not1_saveexec_b32 s44, s44
	s_cbranch_execz .LBB14_5413
; %bb.5370:
	s_mov_b32 s46, s0
	s_mov_b32 s45, exec_lo
	v_cmpx_lt_i16_e32 22, v7
	s_xor_b32 s45, exec_lo, s45
	s_cbranch_execz .LBB14_5402
; %bb.5371:
	s_mov_b32 s46, exec_lo
	v_cmpx_lt_i16_e32 23, v7
	s_xor_b32 s46, exec_lo, s46
	s_cbranch_execz .LBB14_5391
; %bb.5372:
	;; [unrolled: 5-line block ×3, first 2 shown]
	v_and_b32_e32 v7, 0x7fffffff, v38
	v_mov_b32_e32 v10, 0x80
	s_mov_b32 s56, exec_lo
	s_delay_alu instid0(VALU_DEP_2)
	v_cmpx_gt_u32_e32 0x47800000, v7
	s_cbranch_execz .LBB14_5379
; %bb.5374:
	v_cmp_lt_u32_e32 vcc_lo, 0x37ffffff, v7
	s_mov_b32 s57, 0
                                        ; implicit-def: $vgpr7
	s_and_saveexec_b32 s58, vcc_lo
	s_delay_alu instid0(SALU_CYCLE_1)
	s_xor_b32 s58, exec_lo, s58
	s_cbranch_execnz .LBB14_7869
; %bb.5375:
	s_and_not1_saveexec_b32 s58, s58
	s_cbranch_execnz .LBB14_7870
.LBB14_5376:
	s_or_b32 exec_lo, exec_lo, s58
	v_mov_b32_e32 v10, 0
	s_and_saveexec_b32 s58, s57
.LBB14_5377:
	v_lshrrev_b32_e32 v10, 24, v38
	s_delay_alu instid0(VALU_DEP_1)
	v_and_or_b32 v10, 0x80, v10, v7
.LBB14_5378:
	s_or_b32 exec_lo, exec_lo, s58
.LBB14_5379:
	s_delay_alu instid0(SALU_CYCLE_1)
	s_or_b32 exec_lo, exec_lo, s56
	flat_store_b8 v[8:9], v10
                                        ; implicit-def: $vgpr38
                                        ; implicit-def: $vgpr8_vgpr9
.LBB14_5380:
	s_wait_xcnt 0x0
	s_and_not1_saveexec_b32 s47, s47
	s_cbranch_execz .LBB14_5390
; %bb.5381:
	v_and_b32_e32 v10, 0x7fffffff, v38
	s_mov_b32 s56, exec_lo
                                        ; implicit-def: $vgpr7
	s_delay_alu instid0(VALU_DEP_1)
	v_cmpx_gt_u32_e32 0x43f00000, v10
	s_xor_b32 s56, exec_lo, s56
	s_cbranch_execz .LBB14_5387
; %bb.5382:
	s_mov_b32 s57, exec_lo
                                        ; implicit-def: $vgpr7
	v_cmpx_lt_u32_e32 0x3c7fffff, v10
	s_xor_b32 s57, exec_lo, s57
; %bb.5383:
	v_bfe_u32 v7, v38, 20, 1
	s_delay_alu instid0(VALU_DEP_1) | instskip(NEXT) | instid1(VALU_DEP_1)
	v_add3_u32 v7, v38, v7, 0x407ffff
	v_and_b32_e32 v10, 0xff00000, v7
	v_lshrrev_b32_e32 v7, 20, v7
	s_delay_alu instid0(VALU_DEP_2) | instskip(NEXT) | instid1(VALU_DEP_2)
	v_cmp_ne_u32_e32 vcc_lo, 0x7f00000, v10
	v_cndmask_b32_e32 v7, 0x7e, v7, vcc_lo
; %bb.5384:
	s_and_not1_saveexec_b32 s57, s57
; %bb.5385:
	v_add_f32_e64 v7, 0x46800000, |v38|
; %bb.5386:
	s_or_b32 exec_lo, exec_lo, s57
                                        ; implicit-def: $vgpr10
.LBB14_5387:
	s_and_not1_saveexec_b32 s56, s56
; %bb.5388:
	v_mov_b32_e32 v7, 0x7f
	v_cmp_lt_u32_e32 vcc_lo, 0x7f800000, v10
	s_delay_alu instid0(VALU_DEP_2)
	v_cndmask_b32_e32 v7, 0x7e, v7, vcc_lo
; %bb.5389:
	s_or_b32 exec_lo, exec_lo, s56
	v_lshrrev_b32_e32 v10, 24, v38
	s_delay_alu instid0(VALU_DEP_1)
	v_and_or_b32 v7, 0x80, v10, v7
	flat_store_b8 v[8:9], v7
.LBB14_5390:
	s_wait_xcnt 0x0
	s_or_b32 exec_lo, exec_lo, s47
                                        ; implicit-def: $vgpr38
                                        ; implicit-def: $vgpr8_vgpr9
.LBB14_5391:
	s_and_not1_saveexec_b32 s46, s46
	s_cbranch_execz .LBB14_5401
; %bb.5392:
	v_and_b32_e32 v10, 0x7fffffff, v38
	s_mov_b32 s47, exec_lo
                                        ; implicit-def: $vgpr7
	s_delay_alu instid0(VALU_DEP_1)
	v_cmpx_gt_u32_e32 0x47800000, v10
	s_xor_b32 s47, exec_lo, s47
	s_cbranch_execz .LBB14_5398
; %bb.5393:
	s_mov_b32 s56, exec_lo
                                        ; implicit-def: $vgpr7
	v_cmpx_lt_u32_e32 0x387fffff, v10
	s_xor_b32 s56, exec_lo, s56
; %bb.5394:
	v_bfe_u32 v7, v38, 21, 1
	s_delay_alu instid0(VALU_DEP_1) | instskip(NEXT) | instid1(VALU_DEP_1)
	v_add3_u32 v7, v38, v7, 0x80fffff
	v_lshrrev_b32_e32 v7, 21, v7
; %bb.5395:
	s_and_not1_saveexec_b32 s56, s56
; %bb.5396:
	v_add_f32_e64 v7, 0x43000000, |v38|
; %bb.5397:
	s_or_b32 exec_lo, exec_lo, s56
                                        ; implicit-def: $vgpr10
.LBB14_5398:
	s_and_not1_saveexec_b32 s47, s47
; %bb.5399:
	v_mov_b32_e32 v7, 0x7f
	v_cmp_lt_u32_e32 vcc_lo, 0x7f800000, v10
	s_delay_alu instid0(VALU_DEP_2)
	v_cndmask_b32_e32 v7, 0x7c, v7, vcc_lo
; %bb.5400:
	s_or_b32 exec_lo, exec_lo, s47
	v_lshrrev_b32_e32 v10, 24, v38
	s_delay_alu instid0(VALU_DEP_1)
	v_and_or_b32 v7, 0x80, v10, v7
	flat_store_b8 v[8:9], v7
.LBB14_5401:
	s_wait_xcnt 0x0
	s_or_b32 exec_lo, exec_lo, s46
	s_delay_alu instid0(SALU_CYCLE_1)
	s_or_b32 s46, s0, exec_lo
                                        ; implicit-def: $vgpr7
                                        ; implicit-def: $vgpr38
                                        ; implicit-def: $vgpr8_vgpr9
.LBB14_5402:
	s_or_saveexec_b32 s45, s45
	s_mov_b32 s47, s43
	s_xor_b32 exec_lo, exec_lo, s45
	s_cbranch_execz .LBB14_5412
; %bb.5403:
	s_mov_b32 s47, s46
	s_mov_b32 s56, s43
	s_mov_b32 s57, exec_lo
	v_cmpx_lt_i16_e32 14, v7
	s_xor_b32 s57, exec_lo, s57
	s_cbranch_execz .LBB14_5407
; %bb.5404:
	s_mov_b32 s58, -1
	s_mov_b32 s47, s46
	s_mov_b32 s56, exec_lo
	v_cmpx_eq_u16_e32 15, v7
	s_cbranch_execz .LBB14_5406
; %bb.5405:
	v_bfe_u32 v7, v38, 16, 1
	v_cmp_o_f32_e32 vcc_lo, v38, v38
	s_xor_b32 s58, exec_lo, -1
	s_or_b32 s47, s46, exec_lo
	s_delay_alu instid0(VALU_DEP_2) | instskip(NEXT) | instid1(VALU_DEP_1)
	v_add3_u32 v7, v38, v7, 0x7fff
	v_lshrrev_b32_e32 v7, 16, v7
	s_delay_alu instid0(VALU_DEP_1)
	v_cndmask_b32_e32 v7, 0x7fc0, v7, vcc_lo
	flat_store_b16 v[8:9], v7
.LBB14_5406:
	s_wait_xcnt 0x0
	s_or_b32 exec_lo, exec_lo, s56
	s_delay_alu instid0(SALU_CYCLE_1)
	s_and_not1_b32 s56, s43, exec_lo
	s_and_b32 s58, s58, exec_lo
	s_and_not1_b32 s59, s46, exec_lo
	s_and_b32 s47, s47, exec_lo
	s_or_b32 s56, s56, s58
	s_or_b32 s47, s59, s47
                                        ; implicit-def: $vgpr7
                                        ; implicit-def: $vgpr38
                                        ; implicit-def: $vgpr8_vgpr9
.LBB14_5407:
	s_and_not1_saveexec_b32 s57, s57
	s_cbranch_execz .LBB14_5411
; %bb.5408:
	s_mov_b32 s59, -1
	s_mov_b32 s58, s47
	s_mov_b32 s60, exec_lo
	v_cmpx_eq_u16_e32 11, v7
	s_cbranch_execz .LBB14_5410
; %bb.5409:
	v_cmp_neq_f32_e32 vcc_lo, 0, v38
	s_xor_b32 s59, exec_lo, -1
	s_or_b32 s58, s47, exec_lo
	v_cndmask_b32_e64 v7, 0, 1, vcc_lo
	flat_store_b8 v[8:9], v7
.LBB14_5410:
	s_wait_xcnt 0x0
	s_or_b32 exec_lo, exec_lo, s60
	s_delay_alu instid0(SALU_CYCLE_1)
	s_and_not1_b32 s56, s56, exec_lo
	s_and_b32 s59, s59, exec_lo
	s_and_not1_b32 s47, s47, exec_lo
	s_and_b32 s58, s58, exec_lo
	s_or_b32 s56, s56, s59
	s_or_b32 s47, s47, s58
.LBB14_5411:
	s_or_b32 exec_lo, exec_lo, s57
	s_delay_alu instid0(SALU_CYCLE_1)
	s_and_not1_b32 s57, s43, exec_lo
	s_and_b32 s56, s56, exec_lo
	s_and_not1_b32 s46, s46, exec_lo
	s_and_b32 s58, s47, exec_lo
	s_or_b32 s47, s57, s56
	s_or_b32 s46, s46, s58
.LBB14_5412:
	s_or_b32 exec_lo, exec_lo, s45
	s_delay_alu instid0(SALU_CYCLE_1)
	s_and_not1_b32 s43, s43, exec_lo
	s_and_b32 s45, s47, exec_lo
	s_and_not1_b32 s0, s0, exec_lo
	s_and_b32 s46, s46, exec_lo
	s_or_b32 s43, s43, s45
	s_or_b32 s0, s0, s46
.LBB14_5413:
	s_or_b32 exec_lo, exec_lo, s44
	s_delay_alu instid0(SALU_CYCLE_1)
	s_and_not1_b32 s44, s28, exec_lo
	s_and_b32 s43, s43, exec_lo
	s_and_b32 s0, s0, exec_lo
	s_or_b32 s43, s44, s43
                                        ; implicit-def: $vgpr7
                                        ; implicit-def: $vgpr38
                                        ; implicit-def: $vgpr8_vgpr9
.LBB14_5414:
	s_and_not1_saveexec_b32 s40, s40
	s_cbranch_execz .LBB14_5456
; %bb.5415:
	s_mov_b32 s44, exec_lo
	v_cmpx_lt_i16_e32 4, v7
	s_xor_b32 s44, exec_lo, s44
	s_cbranch_execz .LBB14_5437
; %bb.5416:
	s_mov_b32 s45, exec_lo
	v_cmpx_lt_i16_e32 7, v7
	s_xor_b32 s45, exec_lo, s45
	;; [unrolled: 5-line block ×4, first 2 shown]
	s_cbranch_execz .LBB14_5420
; %bb.5419:
	v_cvt_f64_f32_e32 v[64:65], v38
	v_mov_b32_e32 v66, 0
                                        ; implicit-def: $vgpr38
	s_delay_alu instid0(VALU_DEP_1)
	v_mov_b32_e32 v67, v66
	flat_store_b128 v[8:9], v[64:67]
                                        ; implicit-def: $vgpr8_vgpr9
.LBB14_5420:
	s_wait_xcnt 0x0
	s_and_not1_saveexec_b32 s47, s47
	s_cbranch_execz .LBB14_5422
; %bb.5421:
	v_mov_b32_e32 v39, 0
	flat_store_b64 v[8:9], v[38:39]
.LBB14_5422:
	s_wait_xcnt 0x0
	s_or_b32 exec_lo, exec_lo, s47
                                        ; implicit-def: $vgpr38
                                        ; implicit-def: $vgpr8_vgpr9
.LBB14_5423:
	s_and_not1_saveexec_b32 s46, s46
	s_cbranch_execz .LBB14_5425
; %bb.5424:
	v_cvt_f16_f32_e32 v7, v38
	s_delay_alu instid0(VALU_DEP_1)
	v_and_b32_e32 v7, 0xffff, v7
	flat_store_b32 v[8:9], v7
.LBB14_5425:
	s_wait_xcnt 0x0
	s_or_b32 exec_lo, exec_lo, s46
                                        ; implicit-def: $vgpr38
                                        ; implicit-def: $vgpr8_vgpr9
                                        ; implicit-def: $vgpr7
.LBB14_5426:
	s_and_not1_saveexec_b32 s45, s45
	s_cbranch_execz .LBB14_5436
; %bb.5427:
	s_mov_b32 s46, exec_lo
	v_cmpx_lt_i16_e32 5, v7
	s_xor_b32 s46, exec_lo, s46
	s_cbranch_execz .LBB14_5433
; %bb.5428:
	s_mov_b32 s47, exec_lo
	v_cmpx_lt_i16_e32 6, v7
	s_xor_b32 s47, exec_lo, s47
	s_cbranch_execz .LBB14_5430
; %bb.5429:
	v_cvt_f64_f32_e32 v[38:39], v38
	flat_store_b64 v[8:9], v[38:39]
                                        ; implicit-def: $vgpr8_vgpr9
                                        ; implicit-def: $vgpr38
.LBB14_5430:
	s_wait_xcnt 0x0
	s_and_not1_saveexec_b32 s47, s47
	s_cbranch_execz .LBB14_5432
; %bb.5431:
	flat_store_b32 v[8:9], v38
.LBB14_5432:
	s_wait_xcnt 0x0
	s_or_b32 exec_lo, exec_lo, s47
                                        ; implicit-def: $vgpr38
                                        ; implicit-def: $vgpr8_vgpr9
.LBB14_5433:
	s_and_not1_saveexec_b32 s46, s46
	s_cbranch_execz .LBB14_5435
; %bb.5434:
	v_cvt_f16_f32_e32 v7, v38
	flat_store_b16 v[8:9], v7
.LBB14_5435:
	s_wait_xcnt 0x0
	s_or_b32 exec_lo, exec_lo, s46
.LBB14_5436:
	s_delay_alu instid0(SALU_CYCLE_1)
	s_or_b32 exec_lo, exec_lo, s45
                                        ; implicit-def: $vgpr7
                                        ; implicit-def: $vgpr38
                                        ; implicit-def: $vgpr8_vgpr9
.LBB14_5437:
	s_and_not1_saveexec_b32 s44, s44
	s_cbranch_execz .LBB14_5455
; %bb.5438:
	s_mov_b32 s45, exec_lo
	v_cmpx_lt_i16_e32 1, v7
	s_xor_b32 s45, exec_lo, s45
	s_cbranch_execz .LBB14_5448
; %bb.5439:
	s_mov_b32 s46, exec_lo
	v_cmpx_lt_i16_e32 2, v7
	s_xor_b32 s46, exec_lo, s46
	;; [unrolled: 5-line block ×3, first 2 shown]
	s_cbranch_execz .LBB14_5442
; %bb.5441:
	v_trunc_f32_e32 v7, v38
	s_delay_alu instid0(VALU_DEP_1) | instskip(SKIP_1) | instid1(VALU_DEP_2)
	v_mul_f32_e64 v10, 0x2f800000, |v7|
	v_ashrrev_i32_e32 v38, 31, v7
	v_floor_f32_e32 v10, v10
	s_delay_alu instid0(VALU_DEP_1) | instskip(SKIP_1) | instid1(VALU_DEP_2)
	v_fma_f32 v39, 0xcf800000, v10, |v7|
	v_cvt_u32_f32_e32 v7, v10
	v_cvt_u32_f32_e32 v10, v39
	s_delay_alu instid0(VALU_DEP_2) | instskip(NEXT) | instid1(VALU_DEP_2)
	v_dual_mov_b32 v39, v38 :: v_dual_bitop2_b32 v65, v7, v38 bitop3:0x14
	v_xor_b32_e32 v64, v10, v38
	s_delay_alu instid0(VALU_DEP_1)
	v_sub_nc_u64_e32 v[38:39], v[64:65], v[38:39]
	flat_store_b64 v[8:9], v[38:39]
                                        ; implicit-def: $vgpr38
                                        ; implicit-def: $vgpr8_vgpr9
.LBB14_5442:
	s_wait_xcnt 0x0
	s_and_not1_saveexec_b32 s47, s47
	s_cbranch_execz .LBB14_5444
; %bb.5443:
	v_cvt_i32_f32_e32 v7, v38
	flat_store_b32 v[8:9], v7
.LBB14_5444:
	s_wait_xcnt 0x0
	s_or_b32 exec_lo, exec_lo, s47
                                        ; implicit-def: $vgpr38
                                        ; implicit-def: $vgpr8_vgpr9
.LBB14_5445:
	s_and_not1_saveexec_b32 s46, s46
	s_cbranch_execz .LBB14_5447
; %bb.5446:
	v_cvt_i32_f32_e32 v7, v38
	flat_store_b16 v[8:9], v7
.LBB14_5447:
	s_wait_xcnt 0x0
	s_or_b32 exec_lo, exec_lo, s46
                                        ; implicit-def: $vgpr38
                                        ; implicit-def: $vgpr8_vgpr9
                                        ; implicit-def: $vgpr7
.LBB14_5448:
	s_and_not1_saveexec_b32 s45, s45
	s_cbranch_execz .LBB14_5454
; %bb.5449:
	s_mov_b32 s46, exec_lo
	v_cmpx_lt_i16_e32 0, v7
	s_xor_b32 s46, exec_lo, s46
	s_cbranch_execz .LBB14_5451
; %bb.5450:
	v_cvt_i32_f32_e32 v7, v38
                                        ; implicit-def: $vgpr38
	flat_store_b8 v[8:9], v7
                                        ; implicit-def: $vgpr8_vgpr9
.LBB14_5451:
	s_wait_xcnt 0x0
	s_and_not1_saveexec_b32 s46, s46
	s_cbranch_execz .LBB14_5453
; %bb.5452:
	v_trunc_f32_e32 v7, v38
	s_delay_alu instid0(VALU_DEP_1) | instskip(NEXT) | instid1(VALU_DEP_1)
	v_mul_f32_e64 v10, 0x2f800000, |v7|
	v_floor_f32_e32 v10, v10
	s_delay_alu instid0(VALU_DEP_1) | instskip(SKIP_1) | instid1(VALU_DEP_2)
	v_fma_f32 v10, 0xcf800000, v10, |v7|
	v_ashrrev_i32_e32 v7, 31, v7
	v_cvt_u32_f32_e32 v10, v10
	s_delay_alu instid0(VALU_DEP_1) | instskip(NEXT) | instid1(VALU_DEP_1)
	v_xor_b32_e32 v10, v10, v7
	v_sub_nc_u32_e32 v7, v10, v7
	flat_store_b8 v[8:9], v7
.LBB14_5453:
	s_wait_xcnt 0x0
	s_or_b32 exec_lo, exec_lo, s46
.LBB14_5454:
	s_delay_alu instid0(SALU_CYCLE_1)
	s_or_b32 exec_lo, exec_lo, s45
.LBB14_5455:
	s_delay_alu instid0(SALU_CYCLE_1) | instskip(NEXT) | instid1(SALU_CYCLE_1)
	s_or_b32 exec_lo, exec_lo, s44
	s_or_b32 s0, s0, exec_lo
.LBB14_5456:
	s_or_b32 exec_lo, exec_lo, s40
	s_mov_b32 s44, 0
	s_mov_b32 s40, 0
	s_and_saveexec_b32 s45, s0
; %bb.5457:
	v_add_nc_u32_e32 v13, 0x200, v13
	s_mov_b32 s44, exec_lo
	s_delay_alu instid0(VALU_DEP_1)
	v_cmp_lt_i32_e32 vcc_lo, v13, v6
	s_and_b32 s40, vcc_lo, exec_lo
; %bb.5458:
	s_or_b32 exec_lo, exec_lo, s45
	s_delay_alu instid0(SALU_CYCLE_1)
	s_and_not1_b32 s45, s28, exec_lo
	s_and_b32 s43, s43, exec_lo
	s_and_b32 s0, s40, exec_lo
	s_or_b32 s40, s45, s43
	s_or_not1_b32 s44, s44, exec_lo
.LBB14_5459:
	s_or_b32 exec_lo, exec_lo, s41
	s_mov_b32 s43, 0
	s_mov_b32 s45, 0
                                        ; implicit-def: $vgpr8
                                        ; implicit-def: $vgpr7
                                        ; implicit-def: $vgpr38_vgpr39
	s_and_saveexec_b32 s41, s44
	s_cbranch_execz .LBB14_7751
; %bb.5460:
	s_mov_b32 s46, -1
	s_mov_b32 s44, 0
	s_mov_b32 s42, s40
	;; [unrolled: 1-line block ×3, first 2 shown]
	s_and_saveexec_b32 s43, s0
	s_cbranch_execz .LBB14_5588
; %bb.5461:
	v_dual_add_nc_u32 v7, s2, v13 :: v_dual_mov_b32 v9, 0
	s_wait_loadcnt 0x8
	v_mul_f32_e32 v10, v52, v53
	v_cmp_lt_f32_e32 vcc_lo, 0, v53
	s_mov_b32 s0, 0
	v_mul_lo_u32 v8, v7, v12
	v_and_b32_e32 v7, 0xff, v11
	s_mov_b32 s45, s40
	v_cndmask_b32_e32 v38, v10, v53, vcc_lo
	s_mov_b32 s42, exec_lo
	s_delay_alu instid0(VALU_DEP_3)
	v_add_nc_u64_e32 v[8:9], v[0:1], v[8:9]
	v_cmpx_lt_i16_e32 10, v7
	s_xor_b32 s42, exec_lo, s42
	s_cbranch_execz .LBB14_5543
; %bb.5462:
	s_mov_b32 s45, s40
	s_mov_b32 s46, exec_lo
	v_cmpx_lt_i16_e32 25, v7
	s_xor_b32 s46, exec_lo, s46
	s_cbranch_execz .LBB14_5498
; %bb.5463:
	s_mov_b32 s47, s40
	s_mov_b32 s45, exec_lo
	;; [unrolled: 6-line block ×3, first 2 shown]
	v_cmpx_lt_i16_e32 43, v7
	s_xor_b32 s47, exec_lo, s47
	s_cbranch_execz .LBB14_5476
; %bb.5465:
	s_mov_b32 s56, 0
	s_mov_b32 s57, s40
	s_mov_b32 s0, exec_lo
	v_cmpx_lt_i16_e32 45, v7
	s_xor_b32 s0, exec_lo, s0
	s_cbranch_execz .LBB14_5469
; %bb.5466:
	s_mov_b32 s58, -1
	s_mov_b32 s57, exec_lo
	v_cmpx_eq_u16_e32 46, v7
	s_cbranch_execz .LBB14_5468
; %bb.5467:
	v_bfe_u32 v7, v38, 16, 1
	v_cmp_o_f32_e32 vcc_lo, v38, v38
	s_mov_b32 s56, exec_lo
	s_xor_b32 s58, exec_lo, -1
	s_delay_alu instid0(VALU_DEP_2) | instskip(NEXT) | instid1(VALU_DEP_1)
	v_add3_u32 v7, v38, v7, 0x7fff
	v_lshrrev_b32_e32 v7, 16, v7
	s_delay_alu instid0(VALU_DEP_1)
	v_cndmask_b32_e32 v7, 0x7fc0, v7, vcc_lo
	flat_store_b32 v[8:9], v7
.LBB14_5468:
	s_wait_xcnt 0x0
	s_or_b32 exec_lo, exec_lo, s57
	s_delay_alu instid0(SALU_CYCLE_1)
	s_and_not1_b32 s57, s40, exec_lo
	s_and_b32 s58, s58, exec_lo
	s_and_b32 s56, s56, exec_lo
	s_or_b32 s57, s57, s58
                                        ; implicit-def: $vgpr7
                                        ; implicit-def: $vgpr8_vgpr9
                                        ; implicit-def: $vgpr38
.LBB14_5469:
	s_and_not1_saveexec_b32 s58, s0
	s_cbranch_execz .LBB14_5475
; %bb.5470:
	s_mov_b32 s60, -1
	s_mov_b32 s0, s56
	s_mov_b32 s59, exec_lo
	v_cmpx_eq_u16_e32 44, v7
	s_cbranch_execz .LBB14_5474
; %bb.5471:
	v_bfe_u32 v10, v38, 23, 8
	v_mov_b32_e32 v7, 0xff
	s_mov_b32 s60, exec_lo
	s_delay_alu instid0(VALU_DEP_2)
	v_cmpx_ne_u32_e32 0xff, v10
	s_cbranch_execz .LBB14_5473
; %bb.5472:
	v_and_b32_e32 v7, 0x400000, v38
	v_and_or_b32 v10, 0x3fffff, v38, v10
	s_delay_alu instid0(VALU_DEP_2) | instskip(NEXT) | instid1(VALU_DEP_2)
	v_cmp_ne_u32_e32 vcc_lo, 0, v7
	v_cmp_ne_u32_e64 s0, 0, v10
	v_lshrrev_b32_e32 v7, 23, v38
	s_and_b32 s0, vcc_lo, s0
	s_delay_alu instid0(SALU_CYCLE_1) | instskip(NEXT) | instid1(VALU_DEP_1)
	v_cndmask_b32_e64 v10, 0, 1, s0
	v_add_nc_u32_e32 v7, v7, v10
.LBB14_5473:
	s_or_b32 exec_lo, exec_lo, s60
	s_delay_alu instid0(SALU_CYCLE_1)
	s_xor_b32 s60, exec_lo, -1
	s_or_b32 s0, s56, exec_lo
	flat_store_b8 v[8:9], v7
.LBB14_5474:
	s_wait_xcnt 0x0
	s_or_b32 exec_lo, exec_lo, s59
	s_delay_alu instid0(SALU_CYCLE_1)
	s_and_not1_b32 s57, s57, exec_lo
	s_and_b32 s59, s60, exec_lo
	s_and_not1_b32 s56, s56, exec_lo
	s_and_b32 s0, s0, exec_lo
	s_or_b32 s57, s57, s59
	s_or_b32 s56, s56, s0
.LBB14_5475:
	s_or_b32 exec_lo, exec_lo, s58
	s_delay_alu instid0(SALU_CYCLE_1) | instskip(SKIP_1) | instid1(SALU_CYCLE_1)
	s_and_not1_b32 s0, s40, exec_lo
	s_and_b32 s57, s57, exec_lo
                                        ; implicit-def: $vgpr7
                                        ; implicit-def: $vgpr38
                                        ; implicit-def: $vgpr8_vgpr9
	s_or_b32 s57, s0, s57
	s_and_b32 s0, s56, exec_lo
.LBB14_5476:
	s_and_not1_saveexec_b32 s47, s47
	s_cbranch_execz .LBB14_5480
; %bb.5477:
	s_mov_b32 s59, -1
	s_mov_b32 s58, s0
	s_mov_b32 s56, exec_lo
	v_cmpx_eq_u16_e32 29, v7
	s_cbranch_execz .LBB14_5479
; %bb.5478:
	v_trunc_f32_e32 v7, v38
	s_xor_b32 s59, exec_lo, -1
	s_or_b32 s58, s0, exec_lo
	s_delay_alu instid0(VALU_DEP_1) | instskip(NEXT) | instid1(VALU_DEP_1)
	v_mul_f32_e32 v10, 0x2f800000, v7
	v_floor_f32_e32 v10, v10
	s_delay_alu instid0(VALU_DEP_1) | instskip(SKIP_1) | instid1(VALU_DEP_2)
	v_fmamk_f32 v7, v10, 0xcf800000, v7
	v_cvt_u32_f32_e32 v39, v10
	v_cvt_u32_f32_e32 v38, v7
	flat_store_b64 v[8:9], v[38:39]
.LBB14_5479:
	s_wait_xcnt 0x0
	s_or_b32 exec_lo, exec_lo, s56
	s_delay_alu instid0(SALU_CYCLE_1)
	s_and_not1_b32 s56, s57, exec_lo
	s_and_b32 s57, s59, exec_lo
	s_and_not1_b32 s0, s0, exec_lo
	s_and_b32 s58, s58, exec_lo
	s_or_b32 s57, s56, s57
	s_or_b32 s0, s0, s58
.LBB14_5480:
	s_or_b32 exec_lo, exec_lo, s47
	s_delay_alu instid0(SALU_CYCLE_1)
	s_and_not1_b32 s47, s40, exec_lo
	s_and_b32 s56, s57, exec_lo
	s_and_b32 s0, s0, exec_lo
	s_or_b32 s47, s47, s56
                                        ; implicit-def: $vgpr8_vgpr9
                                        ; implicit-def: $vgpr7
                                        ; implicit-def: $vgpr38
.LBB14_5481:
	s_and_not1_saveexec_b32 s45, s45
	s_cbranch_execz .LBB14_5497
; %bb.5482:
	s_mov_b32 s56, exec_lo
	v_cmpx_lt_i16_e32 26, v7
	s_xor_b32 s56, exec_lo, s56
	s_cbranch_execz .LBB14_5488
; %bb.5483:
	v_cmp_lt_i16_e32 vcc_lo, 27, v7
	v_cvt_u32_f32_e32 v7, v38
	s_and_saveexec_b32 s57, vcc_lo
	s_delay_alu instid0(SALU_CYCLE_1)
	s_xor_b32 s57, exec_lo, s57
	s_cbranch_execz .LBB14_5485
; %bb.5484:
	flat_store_b32 v[8:9], v7
                                        ; implicit-def: $vgpr8_vgpr9
                                        ; implicit-def: $vgpr7
.LBB14_5485:
	s_wait_xcnt 0x0
	s_and_not1_saveexec_b32 s57, s57
	s_cbranch_execz .LBB14_5487
; %bb.5486:
	flat_store_b16 v[8:9], v7
.LBB14_5487:
	s_wait_xcnt 0x0
	s_or_b32 exec_lo, exec_lo, s57
                                        ; implicit-def: $vgpr8_vgpr9
                                        ; implicit-def: $vgpr38
.LBB14_5488:
	s_and_not1_saveexec_b32 s56, s56
	s_cbranch_execz .LBB14_5496
; %bb.5489:
	v_and_b32_e32 v7, 0x7fffffff, v38
	v_mov_b32_e32 v10, 0x80
	s_mov_b32 s57, exec_lo
	s_delay_alu instid0(VALU_DEP_2)
	v_cmpx_gt_u32_e32 0x43800000, v7
	s_cbranch_execz .LBB14_5495
; %bb.5490:
	v_cmp_lt_u32_e32 vcc_lo, 0x3bffffff, v7
	s_mov_b32 s58, 0
                                        ; implicit-def: $vgpr7
	s_and_saveexec_b32 s59, vcc_lo
	s_delay_alu instid0(SALU_CYCLE_1)
	s_xor_b32 s59, exec_lo, s59
	s_cbranch_execnz .LBB14_7871
; %bb.5491:
	s_and_not1_saveexec_b32 s59, s59
	s_cbranch_execnz .LBB14_7872
.LBB14_5492:
	s_or_b32 exec_lo, exec_lo, s59
	v_mov_b32_e32 v10, 0
	s_and_saveexec_b32 s59, s58
.LBB14_5493:
	v_lshrrev_b32_e32 v10, 24, v38
	s_delay_alu instid0(VALU_DEP_1)
	v_and_or_b32 v10, 0x80, v10, v7
.LBB14_5494:
	s_or_b32 exec_lo, exec_lo, s59
.LBB14_5495:
	s_delay_alu instid0(SALU_CYCLE_1)
	s_or_b32 exec_lo, exec_lo, s57
	flat_store_b8 v[8:9], v10
.LBB14_5496:
	s_wait_xcnt 0x0
	s_or_b32 exec_lo, exec_lo, s56
	s_delay_alu instid0(SALU_CYCLE_1)
	s_or_b32 s0, s0, exec_lo
.LBB14_5497:
	s_or_b32 exec_lo, exec_lo, s45
	s_delay_alu instid0(SALU_CYCLE_1)
	s_and_not1_b32 s45, s40, exec_lo
	s_and_b32 s47, s47, exec_lo
	s_and_b32 s0, s0, exec_lo
	s_or_b32 s45, s45, s47
                                        ; implicit-def: $vgpr7
                                        ; implicit-def: $vgpr38
                                        ; implicit-def: $vgpr8_vgpr9
.LBB14_5498:
	s_and_not1_saveexec_b32 s46, s46
	s_cbranch_execz .LBB14_5542
; %bb.5499:
	s_mov_b32 s56, s0
	s_mov_b32 s47, exec_lo
	v_cmpx_lt_i16_e32 22, v7
	s_xor_b32 s47, exec_lo, s47
	s_cbranch_execz .LBB14_5531
; %bb.5500:
	s_mov_b32 s56, exec_lo
	v_cmpx_lt_i16_e32 23, v7
	s_xor_b32 s56, exec_lo, s56
	s_cbranch_execz .LBB14_5520
; %bb.5501:
	;; [unrolled: 5-line block ×3, first 2 shown]
	v_and_b32_e32 v7, 0x7fffffff, v38
	v_mov_b32_e32 v10, 0x80
	s_mov_b32 s58, exec_lo
	s_delay_alu instid0(VALU_DEP_2)
	v_cmpx_gt_u32_e32 0x47800000, v7
	s_cbranch_execz .LBB14_5508
; %bb.5503:
	v_cmp_lt_u32_e32 vcc_lo, 0x37ffffff, v7
	s_mov_b32 s59, 0
                                        ; implicit-def: $vgpr7
	s_and_saveexec_b32 s60, vcc_lo
	s_delay_alu instid0(SALU_CYCLE_1)
	s_xor_b32 s60, exec_lo, s60
	s_cbranch_execnz .LBB14_7873
; %bb.5504:
	s_and_not1_saveexec_b32 s60, s60
	s_cbranch_execnz .LBB14_7874
.LBB14_5505:
	s_or_b32 exec_lo, exec_lo, s60
	v_mov_b32_e32 v10, 0
	s_and_saveexec_b32 s60, s59
.LBB14_5506:
	v_lshrrev_b32_e32 v10, 24, v38
	s_delay_alu instid0(VALU_DEP_1)
	v_and_or_b32 v10, 0x80, v10, v7
.LBB14_5507:
	s_or_b32 exec_lo, exec_lo, s60
.LBB14_5508:
	s_delay_alu instid0(SALU_CYCLE_1)
	s_or_b32 exec_lo, exec_lo, s58
	flat_store_b8 v[8:9], v10
                                        ; implicit-def: $vgpr38
                                        ; implicit-def: $vgpr8_vgpr9
.LBB14_5509:
	s_wait_xcnt 0x0
	s_and_not1_saveexec_b32 s57, s57
	s_cbranch_execz .LBB14_5519
; %bb.5510:
	v_and_b32_e32 v10, 0x7fffffff, v38
	s_mov_b32 s58, exec_lo
                                        ; implicit-def: $vgpr7
	s_delay_alu instid0(VALU_DEP_1)
	v_cmpx_gt_u32_e32 0x43f00000, v10
	s_xor_b32 s58, exec_lo, s58
	s_cbranch_execz .LBB14_5516
; %bb.5511:
	s_mov_b32 s59, exec_lo
                                        ; implicit-def: $vgpr7
	v_cmpx_lt_u32_e32 0x3c7fffff, v10
	s_xor_b32 s59, exec_lo, s59
; %bb.5512:
	v_bfe_u32 v7, v38, 20, 1
	s_delay_alu instid0(VALU_DEP_1) | instskip(NEXT) | instid1(VALU_DEP_1)
	v_add3_u32 v7, v38, v7, 0x407ffff
	v_and_b32_e32 v10, 0xff00000, v7
	v_lshrrev_b32_e32 v7, 20, v7
	s_delay_alu instid0(VALU_DEP_2) | instskip(NEXT) | instid1(VALU_DEP_2)
	v_cmp_ne_u32_e32 vcc_lo, 0x7f00000, v10
	v_cndmask_b32_e32 v7, 0x7e, v7, vcc_lo
; %bb.5513:
	s_and_not1_saveexec_b32 s59, s59
; %bb.5514:
	v_add_f32_e64 v7, 0x46800000, |v38|
; %bb.5515:
	s_or_b32 exec_lo, exec_lo, s59
                                        ; implicit-def: $vgpr10
.LBB14_5516:
	s_and_not1_saveexec_b32 s58, s58
; %bb.5517:
	v_mov_b32_e32 v7, 0x7f
	v_cmp_lt_u32_e32 vcc_lo, 0x7f800000, v10
	s_delay_alu instid0(VALU_DEP_2)
	v_cndmask_b32_e32 v7, 0x7e, v7, vcc_lo
; %bb.5518:
	s_or_b32 exec_lo, exec_lo, s58
	v_lshrrev_b32_e32 v10, 24, v38
	s_delay_alu instid0(VALU_DEP_1)
	v_and_or_b32 v7, 0x80, v10, v7
	flat_store_b8 v[8:9], v7
.LBB14_5519:
	s_wait_xcnt 0x0
	s_or_b32 exec_lo, exec_lo, s57
                                        ; implicit-def: $vgpr38
                                        ; implicit-def: $vgpr8_vgpr9
.LBB14_5520:
	s_and_not1_saveexec_b32 s56, s56
	s_cbranch_execz .LBB14_5530
; %bb.5521:
	v_and_b32_e32 v10, 0x7fffffff, v38
	s_mov_b32 s57, exec_lo
                                        ; implicit-def: $vgpr7
	s_delay_alu instid0(VALU_DEP_1)
	v_cmpx_gt_u32_e32 0x47800000, v10
	s_xor_b32 s57, exec_lo, s57
	s_cbranch_execz .LBB14_5527
; %bb.5522:
	s_mov_b32 s58, exec_lo
                                        ; implicit-def: $vgpr7
	v_cmpx_lt_u32_e32 0x387fffff, v10
	s_xor_b32 s58, exec_lo, s58
; %bb.5523:
	v_bfe_u32 v7, v38, 21, 1
	s_delay_alu instid0(VALU_DEP_1) | instskip(NEXT) | instid1(VALU_DEP_1)
	v_add3_u32 v7, v38, v7, 0x80fffff
	v_lshrrev_b32_e32 v7, 21, v7
; %bb.5524:
	s_and_not1_saveexec_b32 s58, s58
; %bb.5525:
	v_add_f32_e64 v7, 0x43000000, |v38|
; %bb.5526:
	s_or_b32 exec_lo, exec_lo, s58
                                        ; implicit-def: $vgpr10
.LBB14_5527:
	s_and_not1_saveexec_b32 s57, s57
; %bb.5528:
	v_mov_b32_e32 v7, 0x7f
	v_cmp_lt_u32_e32 vcc_lo, 0x7f800000, v10
	s_delay_alu instid0(VALU_DEP_2)
	v_cndmask_b32_e32 v7, 0x7c, v7, vcc_lo
; %bb.5529:
	s_or_b32 exec_lo, exec_lo, s57
	v_lshrrev_b32_e32 v10, 24, v38
	s_delay_alu instid0(VALU_DEP_1)
	v_and_or_b32 v7, 0x80, v10, v7
	flat_store_b8 v[8:9], v7
.LBB14_5530:
	s_wait_xcnt 0x0
	s_or_b32 exec_lo, exec_lo, s56
	s_delay_alu instid0(SALU_CYCLE_1)
	s_or_b32 s56, s0, exec_lo
                                        ; implicit-def: $vgpr7
                                        ; implicit-def: $vgpr38
                                        ; implicit-def: $vgpr8_vgpr9
.LBB14_5531:
	s_or_saveexec_b32 s47, s47
	s_mov_b32 s57, s45
	s_xor_b32 exec_lo, exec_lo, s47
	s_cbranch_execz .LBB14_5541
; %bb.5532:
	s_mov_b32 s57, s56
	s_mov_b32 s58, s45
	s_mov_b32 s59, exec_lo
	v_cmpx_lt_i16_e32 14, v7
	s_xor_b32 s59, exec_lo, s59
	s_cbranch_execz .LBB14_5536
; %bb.5533:
	s_mov_b32 s60, -1
	s_mov_b32 s57, s56
	s_mov_b32 s58, exec_lo
	v_cmpx_eq_u16_e32 15, v7
	s_cbranch_execz .LBB14_5535
; %bb.5534:
	v_bfe_u32 v7, v38, 16, 1
	v_cmp_o_f32_e32 vcc_lo, v38, v38
	s_xor_b32 s60, exec_lo, -1
	s_or_b32 s57, s56, exec_lo
	s_delay_alu instid0(VALU_DEP_2) | instskip(NEXT) | instid1(VALU_DEP_1)
	v_add3_u32 v7, v38, v7, 0x7fff
	v_lshrrev_b32_e32 v7, 16, v7
	s_delay_alu instid0(VALU_DEP_1)
	v_cndmask_b32_e32 v7, 0x7fc0, v7, vcc_lo
	flat_store_b16 v[8:9], v7
.LBB14_5535:
	s_wait_xcnt 0x0
	s_or_b32 exec_lo, exec_lo, s58
	s_delay_alu instid0(SALU_CYCLE_1)
	s_and_not1_b32 s58, s45, exec_lo
	s_and_b32 s60, s60, exec_lo
	s_and_not1_b32 s61, s56, exec_lo
	s_and_b32 s57, s57, exec_lo
	s_or_b32 s58, s58, s60
	s_or_b32 s57, s61, s57
                                        ; implicit-def: $vgpr7
                                        ; implicit-def: $vgpr38
                                        ; implicit-def: $vgpr8_vgpr9
.LBB14_5536:
	s_and_not1_saveexec_b32 s59, s59
	s_cbranch_execz .LBB14_5540
; %bb.5537:
	s_mov_b32 s61, -1
	s_mov_b32 s60, s57
	s_mov_b32 s62, exec_lo
	v_cmpx_eq_u16_e32 11, v7
	s_cbranch_execz .LBB14_5539
; %bb.5538:
	v_cmp_neq_f32_e32 vcc_lo, 0, v38
	s_xor_b32 s61, exec_lo, -1
	s_or_b32 s60, s57, exec_lo
	v_cndmask_b32_e64 v7, 0, 1, vcc_lo
	flat_store_b8 v[8:9], v7
.LBB14_5539:
	s_wait_xcnt 0x0
	s_or_b32 exec_lo, exec_lo, s62
	s_delay_alu instid0(SALU_CYCLE_1)
	s_and_not1_b32 s58, s58, exec_lo
	s_and_b32 s61, s61, exec_lo
	s_and_not1_b32 s57, s57, exec_lo
	s_and_b32 s60, s60, exec_lo
	s_or_b32 s58, s58, s61
	s_or_b32 s57, s57, s60
.LBB14_5540:
	s_or_b32 exec_lo, exec_lo, s59
	s_delay_alu instid0(SALU_CYCLE_1)
	s_and_not1_b32 s59, s45, exec_lo
	s_and_b32 s58, s58, exec_lo
	s_and_not1_b32 s56, s56, exec_lo
	s_and_b32 s60, s57, exec_lo
	s_or_b32 s57, s59, s58
	s_or_b32 s56, s56, s60
.LBB14_5541:
	s_or_b32 exec_lo, exec_lo, s47
	s_delay_alu instid0(SALU_CYCLE_1)
	s_and_not1_b32 s45, s45, exec_lo
	s_and_b32 s47, s57, exec_lo
	s_and_not1_b32 s0, s0, exec_lo
	s_and_b32 s56, s56, exec_lo
	s_or_b32 s45, s45, s47
	s_or_b32 s0, s0, s56
.LBB14_5542:
	s_or_b32 exec_lo, exec_lo, s46
	s_delay_alu instid0(SALU_CYCLE_1)
	s_and_not1_b32 s46, s40, exec_lo
	s_and_b32 s45, s45, exec_lo
	s_and_b32 s0, s0, exec_lo
	s_or_b32 s45, s46, s45
                                        ; implicit-def: $vgpr7
                                        ; implicit-def: $vgpr38
                                        ; implicit-def: $vgpr8_vgpr9
.LBB14_5543:
	s_and_not1_saveexec_b32 s42, s42
	s_cbranch_execz .LBB14_5585
; %bb.5544:
	s_mov_b32 s46, exec_lo
	v_cmpx_lt_i16_e32 4, v7
	s_xor_b32 s46, exec_lo, s46
	s_cbranch_execz .LBB14_5566
; %bb.5545:
	s_mov_b32 s47, exec_lo
	v_cmpx_lt_i16_e32 7, v7
	s_xor_b32 s47, exec_lo, s47
	;; [unrolled: 5-line block ×4, first 2 shown]
	s_cbranch_execz .LBB14_5549
; %bb.5548:
	v_cvt_f64_f32_e32 v[64:65], v38
	v_mov_b32_e32 v66, 0
                                        ; implicit-def: $vgpr38
	s_delay_alu instid0(VALU_DEP_1)
	v_mov_b32_e32 v67, v66
	flat_store_b128 v[8:9], v[64:67]
                                        ; implicit-def: $vgpr8_vgpr9
.LBB14_5549:
	s_wait_xcnt 0x0
	s_and_not1_saveexec_b32 s57, s57
	s_cbranch_execz .LBB14_5551
; %bb.5550:
	v_mov_b32_e32 v39, 0
	flat_store_b64 v[8:9], v[38:39]
.LBB14_5551:
	s_wait_xcnt 0x0
	s_or_b32 exec_lo, exec_lo, s57
                                        ; implicit-def: $vgpr38
                                        ; implicit-def: $vgpr8_vgpr9
.LBB14_5552:
	s_and_not1_saveexec_b32 s56, s56
	s_cbranch_execz .LBB14_5554
; %bb.5553:
	v_cvt_f16_f32_e32 v7, v38
	s_delay_alu instid0(VALU_DEP_1)
	v_and_b32_e32 v7, 0xffff, v7
	flat_store_b32 v[8:9], v7
.LBB14_5554:
	s_wait_xcnt 0x0
	s_or_b32 exec_lo, exec_lo, s56
                                        ; implicit-def: $vgpr38
                                        ; implicit-def: $vgpr8_vgpr9
                                        ; implicit-def: $vgpr7
.LBB14_5555:
	s_and_not1_saveexec_b32 s47, s47
	s_cbranch_execz .LBB14_5565
; %bb.5556:
	s_mov_b32 s56, exec_lo
	v_cmpx_lt_i16_e32 5, v7
	s_xor_b32 s56, exec_lo, s56
	s_cbranch_execz .LBB14_5562
; %bb.5557:
	s_mov_b32 s57, exec_lo
	v_cmpx_lt_i16_e32 6, v7
	s_xor_b32 s57, exec_lo, s57
	s_cbranch_execz .LBB14_5559
; %bb.5558:
	v_cvt_f64_f32_e32 v[38:39], v38
	flat_store_b64 v[8:9], v[38:39]
                                        ; implicit-def: $vgpr8_vgpr9
                                        ; implicit-def: $vgpr38
.LBB14_5559:
	s_wait_xcnt 0x0
	s_and_not1_saveexec_b32 s57, s57
	s_cbranch_execz .LBB14_5561
; %bb.5560:
	flat_store_b32 v[8:9], v38
.LBB14_5561:
	s_wait_xcnt 0x0
	s_or_b32 exec_lo, exec_lo, s57
                                        ; implicit-def: $vgpr38
                                        ; implicit-def: $vgpr8_vgpr9
.LBB14_5562:
	s_and_not1_saveexec_b32 s56, s56
	s_cbranch_execz .LBB14_5564
; %bb.5563:
	v_cvt_f16_f32_e32 v7, v38
	flat_store_b16 v[8:9], v7
.LBB14_5564:
	s_wait_xcnt 0x0
	s_or_b32 exec_lo, exec_lo, s56
.LBB14_5565:
	s_delay_alu instid0(SALU_CYCLE_1)
	s_or_b32 exec_lo, exec_lo, s47
                                        ; implicit-def: $vgpr7
                                        ; implicit-def: $vgpr38
                                        ; implicit-def: $vgpr8_vgpr9
.LBB14_5566:
	s_and_not1_saveexec_b32 s46, s46
	s_cbranch_execz .LBB14_5584
; %bb.5567:
	s_mov_b32 s47, exec_lo
	v_cmpx_lt_i16_e32 1, v7
	s_xor_b32 s47, exec_lo, s47
	s_cbranch_execz .LBB14_5577
; %bb.5568:
	s_mov_b32 s56, exec_lo
	v_cmpx_lt_i16_e32 2, v7
	s_xor_b32 s56, exec_lo, s56
	;; [unrolled: 5-line block ×3, first 2 shown]
	s_cbranch_execz .LBB14_5571
; %bb.5570:
	v_trunc_f32_e32 v7, v38
	s_delay_alu instid0(VALU_DEP_1) | instskip(SKIP_1) | instid1(VALU_DEP_2)
	v_mul_f32_e64 v10, 0x2f800000, |v7|
	v_ashrrev_i32_e32 v38, 31, v7
	v_floor_f32_e32 v10, v10
	s_delay_alu instid0(VALU_DEP_1) | instskip(SKIP_1) | instid1(VALU_DEP_2)
	v_fma_f32 v39, 0xcf800000, v10, |v7|
	v_cvt_u32_f32_e32 v7, v10
	v_cvt_u32_f32_e32 v10, v39
	s_delay_alu instid0(VALU_DEP_2) | instskip(NEXT) | instid1(VALU_DEP_2)
	v_dual_mov_b32 v39, v38 :: v_dual_bitop2_b32 v53, v7, v38 bitop3:0x14
	v_xor_b32_e32 v52, v10, v38
	s_delay_alu instid0(VALU_DEP_1)
	v_sub_nc_u64_e32 v[38:39], v[52:53], v[38:39]
	flat_store_b64 v[8:9], v[38:39]
                                        ; implicit-def: $vgpr38
                                        ; implicit-def: $vgpr8_vgpr9
.LBB14_5571:
	s_wait_xcnt 0x0
	s_and_not1_saveexec_b32 s57, s57
	s_cbranch_execz .LBB14_5573
; %bb.5572:
	v_cvt_i32_f32_e32 v7, v38
	flat_store_b32 v[8:9], v7
.LBB14_5573:
	s_wait_xcnt 0x0
	s_or_b32 exec_lo, exec_lo, s57
                                        ; implicit-def: $vgpr38
                                        ; implicit-def: $vgpr8_vgpr9
.LBB14_5574:
	s_and_not1_saveexec_b32 s56, s56
	s_cbranch_execz .LBB14_5576
; %bb.5575:
	v_cvt_i32_f32_e32 v7, v38
	flat_store_b16 v[8:9], v7
.LBB14_5576:
	s_wait_xcnt 0x0
	s_or_b32 exec_lo, exec_lo, s56
                                        ; implicit-def: $vgpr38
                                        ; implicit-def: $vgpr8_vgpr9
                                        ; implicit-def: $vgpr7
.LBB14_5577:
	s_and_not1_saveexec_b32 s47, s47
	s_cbranch_execz .LBB14_5583
; %bb.5578:
	s_mov_b32 s56, exec_lo
	v_cmpx_lt_i16_e32 0, v7
	s_xor_b32 s56, exec_lo, s56
	s_cbranch_execz .LBB14_5580
; %bb.5579:
	v_cvt_i32_f32_e32 v7, v38
                                        ; implicit-def: $vgpr38
	flat_store_b8 v[8:9], v7
                                        ; implicit-def: $vgpr8_vgpr9
.LBB14_5580:
	s_wait_xcnt 0x0
	s_and_not1_saveexec_b32 s56, s56
	s_cbranch_execz .LBB14_5582
; %bb.5581:
	v_trunc_f32_e32 v7, v38
	s_delay_alu instid0(VALU_DEP_1) | instskip(NEXT) | instid1(VALU_DEP_1)
	v_mul_f32_e64 v10, 0x2f800000, |v7|
	v_floor_f32_e32 v10, v10
	s_delay_alu instid0(VALU_DEP_1) | instskip(SKIP_1) | instid1(VALU_DEP_2)
	v_fma_f32 v10, 0xcf800000, v10, |v7|
	v_ashrrev_i32_e32 v7, 31, v7
	v_cvt_u32_f32_e32 v10, v10
	s_delay_alu instid0(VALU_DEP_1) | instskip(NEXT) | instid1(VALU_DEP_1)
	v_xor_b32_e32 v10, v10, v7
	v_sub_nc_u32_e32 v7, v10, v7
	flat_store_b8 v[8:9], v7
.LBB14_5582:
	s_wait_xcnt 0x0
	s_or_b32 exec_lo, exec_lo, s56
.LBB14_5583:
	s_delay_alu instid0(SALU_CYCLE_1)
	s_or_b32 exec_lo, exec_lo, s47
.LBB14_5584:
	s_delay_alu instid0(SALU_CYCLE_1) | instskip(NEXT) | instid1(SALU_CYCLE_1)
	s_or_b32 exec_lo, exec_lo, s46
	s_or_b32 s0, s0, exec_lo
.LBB14_5585:
	s_or_b32 exec_lo, exec_lo, s42
	s_mov_b32 s46, 0
	s_mov_b32 s42, 0
	s_and_saveexec_b32 s47, s0
; %bb.5586:
	v_add_nc_u32_e32 v13, 0x200, v13
	s_mov_b32 s46, exec_lo
	s_delay_alu instid0(VALU_DEP_1)
	v_cmp_lt_i32_e32 vcc_lo, v13, v6
	s_and_b32 s42, vcc_lo, exec_lo
; %bb.5587:
	s_or_b32 exec_lo, exec_lo, s47
	s_delay_alu instid0(SALU_CYCLE_1)
	s_and_not1_b32 s0, s40, exec_lo
	s_and_b32 s45, s45, exec_lo
	s_and_b32 s47, s42, exec_lo
	s_or_b32 s42, s0, s45
	s_or_not1_b32 s46, s46, exec_lo
.LBB14_5588:
	s_or_b32 exec_lo, exec_lo, s43
	s_mov_b32 s0, 0
	s_mov_b32 s45, 0
                                        ; implicit-def: $vgpr8
                                        ; implicit-def: $vgpr7
                                        ; implicit-def: $vgpr38_vgpr39
	s_and_saveexec_b32 s43, s46
	s_cbranch_execz .LBB14_7750
; %bb.5589:
	s_mov_b32 s56, -1
	s_mov_b32 s46, 0
	s_mov_b32 s44, s42
	s_and_saveexec_b32 s45, s47
	s_cbranch_execz .LBB14_5717
; %bb.5590:
	v_dual_add_nc_u32 v7, s2, v13 :: v_dual_mov_b32 v9, 0
	s_wait_loadcnt 0x8
	v_mul_f32_e32 v10, v54, v55
	v_cmp_lt_f32_e32 vcc_lo, 0, v55
	s_mov_b32 s47, s42
	v_mul_lo_u32 v8, v7, v12
	v_and_b32_e32 v7, 0xff, v11
	s_mov_b32 s44, exec_lo
	v_cndmask_b32_e32 v38, v10, v55, vcc_lo
	s_delay_alu instid0(VALU_DEP_3) | instskip(NEXT) | instid1(VALU_DEP_3)
	v_add_nc_u64_e32 v[8:9], v[0:1], v[8:9]
	v_cmpx_lt_i16_e32 10, v7
	s_xor_b32 s44, exec_lo, s44
	s_cbranch_execz .LBB14_5672
; %bb.5591:
	s_mov_b32 s47, s42
	s_mov_b32 s56, exec_lo
	v_cmpx_lt_i16_e32 25, v7
	s_xor_b32 s56, exec_lo, s56
	s_cbranch_execz .LBB14_5627
; %bb.5592:
	s_mov_b32 s57, s42
	s_mov_b32 s47, exec_lo
	;; [unrolled: 6-line block ×3, first 2 shown]
	v_cmpx_lt_i16_e32 43, v7
	s_xor_b32 s57, exec_lo, s57
	s_cbranch_execz .LBB14_5605
; %bb.5594:
	s_mov_b32 s58, 0
	s_mov_b32 s59, s42
	s_mov_b32 s0, exec_lo
	v_cmpx_lt_i16_e32 45, v7
	s_xor_b32 s0, exec_lo, s0
	s_cbranch_execz .LBB14_5598
; %bb.5595:
	s_mov_b32 s60, -1
	s_mov_b32 s59, exec_lo
	v_cmpx_eq_u16_e32 46, v7
	s_cbranch_execz .LBB14_5597
; %bb.5596:
	v_bfe_u32 v7, v38, 16, 1
	v_cmp_o_f32_e32 vcc_lo, v38, v38
	s_mov_b32 s58, exec_lo
	s_xor_b32 s60, exec_lo, -1
	s_delay_alu instid0(VALU_DEP_2) | instskip(NEXT) | instid1(VALU_DEP_1)
	v_add3_u32 v7, v38, v7, 0x7fff
	v_lshrrev_b32_e32 v7, 16, v7
	s_delay_alu instid0(VALU_DEP_1)
	v_cndmask_b32_e32 v7, 0x7fc0, v7, vcc_lo
	flat_store_b32 v[8:9], v7
.LBB14_5597:
	s_wait_xcnt 0x0
	s_or_b32 exec_lo, exec_lo, s59
	s_delay_alu instid0(SALU_CYCLE_1)
	s_and_not1_b32 s59, s42, exec_lo
	s_and_b32 s60, s60, exec_lo
	s_and_b32 s58, s58, exec_lo
	s_or_b32 s59, s59, s60
                                        ; implicit-def: $vgpr7
                                        ; implicit-def: $vgpr8_vgpr9
                                        ; implicit-def: $vgpr38
.LBB14_5598:
	s_and_not1_saveexec_b32 s60, s0
	s_cbranch_execz .LBB14_5604
; %bb.5599:
	s_mov_b32 s62, -1
	s_mov_b32 s0, s58
	s_mov_b32 s61, exec_lo
	v_cmpx_eq_u16_e32 44, v7
	s_cbranch_execz .LBB14_5603
; %bb.5600:
	v_bfe_u32 v10, v38, 23, 8
	v_mov_b32_e32 v7, 0xff
	s_mov_b32 s62, exec_lo
	s_delay_alu instid0(VALU_DEP_2)
	v_cmpx_ne_u32_e32 0xff, v10
	s_cbranch_execz .LBB14_5602
; %bb.5601:
	v_and_b32_e32 v7, 0x400000, v38
	v_and_or_b32 v10, 0x3fffff, v38, v10
	s_delay_alu instid0(VALU_DEP_2) | instskip(NEXT) | instid1(VALU_DEP_2)
	v_cmp_ne_u32_e32 vcc_lo, 0, v7
	v_cmp_ne_u32_e64 s0, 0, v10
	v_lshrrev_b32_e32 v7, 23, v38
	s_and_b32 s0, vcc_lo, s0
	s_delay_alu instid0(SALU_CYCLE_1) | instskip(NEXT) | instid1(VALU_DEP_1)
	v_cndmask_b32_e64 v10, 0, 1, s0
	v_add_nc_u32_e32 v7, v7, v10
.LBB14_5602:
	s_or_b32 exec_lo, exec_lo, s62
	s_delay_alu instid0(SALU_CYCLE_1)
	s_xor_b32 s62, exec_lo, -1
	s_or_b32 s0, s58, exec_lo
	flat_store_b8 v[8:9], v7
.LBB14_5603:
	s_wait_xcnt 0x0
	s_or_b32 exec_lo, exec_lo, s61
	s_delay_alu instid0(SALU_CYCLE_1)
	s_and_not1_b32 s59, s59, exec_lo
	s_and_b32 s61, s62, exec_lo
	s_and_not1_b32 s58, s58, exec_lo
	s_and_b32 s0, s0, exec_lo
	s_or_b32 s59, s59, s61
	s_or_b32 s58, s58, s0
.LBB14_5604:
	s_or_b32 exec_lo, exec_lo, s60
	s_delay_alu instid0(SALU_CYCLE_1) | instskip(SKIP_1) | instid1(SALU_CYCLE_1)
	s_and_not1_b32 s0, s42, exec_lo
	s_and_b32 s59, s59, exec_lo
                                        ; implicit-def: $vgpr7
                                        ; implicit-def: $vgpr38
                                        ; implicit-def: $vgpr8_vgpr9
	s_or_b32 s59, s0, s59
	s_and_b32 s0, s58, exec_lo
.LBB14_5605:
	s_and_not1_saveexec_b32 s57, s57
	s_cbranch_execz .LBB14_5609
; %bb.5606:
	s_mov_b32 s61, -1
	s_mov_b32 s60, s0
	s_mov_b32 s58, exec_lo
	v_cmpx_eq_u16_e32 29, v7
	s_cbranch_execz .LBB14_5608
; %bb.5607:
	v_trunc_f32_e32 v7, v38
	s_xor_b32 s61, exec_lo, -1
	s_or_b32 s60, s0, exec_lo
	s_delay_alu instid0(VALU_DEP_1) | instskip(NEXT) | instid1(VALU_DEP_1)
	v_mul_f32_e32 v10, 0x2f800000, v7
	v_floor_f32_e32 v10, v10
	s_delay_alu instid0(VALU_DEP_1) | instskip(SKIP_1) | instid1(VALU_DEP_2)
	v_fmamk_f32 v7, v10, 0xcf800000, v7
	v_cvt_u32_f32_e32 v39, v10
	v_cvt_u32_f32_e32 v38, v7
	flat_store_b64 v[8:9], v[38:39]
.LBB14_5608:
	s_wait_xcnt 0x0
	s_or_b32 exec_lo, exec_lo, s58
	s_delay_alu instid0(SALU_CYCLE_1)
	s_and_not1_b32 s58, s59, exec_lo
	s_and_b32 s59, s61, exec_lo
	s_and_not1_b32 s0, s0, exec_lo
	s_and_b32 s60, s60, exec_lo
	s_or_b32 s59, s58, s59
	s_or_b32 s0, s0, s60
.LBB14_5609:
	s_or_b32 exec_lo, exec_lo, s57
	s_delay_alu instid0(SALU_CYCLE_1)
	s_and_not1_b32 s57, s42, exec_lo
	s_and_b32 s58, s59, exec_lo
	s_and_b32 s0, s0, exec_lo
	s_or_b32 s57, s57, s58
                                        ; implicit-def: $vgpr8_vgpr9
                                        ; implicit-def: $vgpr7
                                        ; implicit-def: $vgpr38
.LBB14_5610:
	s_and_not1_saveexec_b32 s47, s47
	s_cbranch_execz .LBB14_5626
; %bb.5611:
	s_mov_b32 s58, exec_lo
	v_cmpx_lt_i16_e32 26, v7
	s_xor_b32 s58, exec_lo, s58
	s_cbranch_execz .LBB14_5617
; %bb.5612:
	v_cmp_lt_i16_e32 vcc_lo, 27, v7
	v_cvt_u32_f32_e32 v7, v38
	s_and_saveexec_b32 s59, vcc_lo
	s_delay_alu instid0(SALU_CYCLE_1)
	s_xor_b32 s59, exec_lo, s59
	s_cbranch_execz .LBB14_5614
; %bb.5613:
	flat_store_b32 v[8:9], v7
                                        ; implicit-def: $vgpr8_vgpr9
                                        ; implicit-def: $vgpr7
.LBB14_5614:
	s_wait_xcnt 0x0
	s_and_not1_saveexec_b32 s59, s59
	s_cbranch_execz .LBB14_5616
; %bb.5615:
	flat_store_b16 v[8:9], v7
.LBB14_5616:
	s_wait_xcnt 0x0
	s_or_b32 exec_lo, exec_lo, s59
                                        ; implicit-def: $vgpr8_vgpr9
                                        ; implicit-def: $vgpr38
.LBB14_5617:
	s_and_not1_saveexec_b32 s58, s58
	s_cbranch_execz .LBB14_5625
; %bb.5618:
	v_and_b32_e32 v7, 0x7fffffff, v38
	v_mov_b32_e32 v10, 0x80
	s_mov_b32 s59, exec_lo
	s_delay_alu instid0(VALU_DEP_2)
	v_cmpx_gt_u32_e32 0x43800000, v7
	s_cbranch_execz .LBB14_5624
; %bb.5619:
	v_cmp_lt_u32_e32 vcc_lo, 0x3bffffff, v7
	s_mov_b32 s60, 0
                                        ; implicit-def: $vgpr7
	s_and_saveexec_b32 s61, vcc_lo
	s_delay_alu instid0(SALU_CYCLE_1)
	s_xor_b32 s61, exec_lo, s61
	s_cbranch_execnz .LBB14_7875
; %bb.5620:
	s_and_not1_saveexec_b32 s61, s61
	s_cbranch_execnz .LBB14_7876
.LBB14_5621:
	s_or_b32 exec_lo, exec_lo, s61
	v_mov_b32_e32 v10, 0
	s_and_saveexec_b32 s61, s60
.LBB14_5622:
	v_lshrrev_b32_e32 v10, 24, v38
	s_delay_alu instid0(VALU_DEP_1)
	v_and_or_b32 v10, 0x80, v10, v7
.LBB14_5623:
	s_or_b32 exec_lo, exec_lo, s61
.LBB14_5624:
	s_delay_alu instid0(SALU_CYCLE_1)
	s_or_b32 exec_lo, exec_lo, s59
	flat_store_b8 v[8:9], v10
.LBB14_5625:
	s_wait_xcnt 0x0
	s_or_b32 exec_lo, exec_lo, s58
	s_delay_alu instid0(SALU_CYCLE_1)
	s_or_b32 s0, s0, exec_lo
.LBB14_5626:
	s_or_b32 exec_lo, exec_lo, s47
	s_delay_alu instid0(SALU_CYCLE_1)
	s_and_not1_b32 s47, s42, exec_lo
	s_and_b32 s57, s57, exec_lo
	s_and_b32 s0, s0, exec_lo
	s_or_b32 s47, s47, s57
                                        ; implicit-def: $vgpr7
                                        ; implicit-def: $vgpr38
                                        ; implicit-def: $vgpr8_vgpr9
.LBB14_5627:
	s_and_not1_saveexec_b32 s56, s56
	s_cbranch_execz .LBB14_5671
; %bb.5628:
	s_mov_b32 s58, s0
	s_mov_b32 s57, exec_lo
	v_cmpx_lt_i16_e32 22, v7
	s_xor_b32 s57, exec_lo, s57
	s_cbranch_execz .LBB14_5660
; %bb.5629:
	s_mov_b32 s58, exec_lo
	v_cmpx_lt_i16_e32 23, v7
	s_xor_b32 s58, exec_lo, s58
	s_cbranch_execz .LBB14_5649
; %bb.5630:
	;; [unrolled: 5-line block ×3, first 2 shown]
	v_and_b32_e32 v7, 0x7fffffff, v38
	v_mov_b32_e32 v10, 0x80
	s_mov_b32 s60, exec_lo
	s_delay_alu instid0(VALU_DEP_2)
	v_cmpx_gt_u32_e32 0x47800000, v7
	s_cbranch_execz .LBB14_5637
; %bb.5632:
	v_cmp_lt_u32_e32 vcc_lo, 0x37ffffff, v7
	s_mov_b32 s61, 0
                                        ; implicit-def: $vgpr7
	s_and_saveexec_b32 s62, vcc_lo
	s_delay_alu instid0(SALU_CYCLE_1)
	s_xor_b32 s62, exec_lo, s62
	s_cbranch_execnz .LBB14_7877
; %bb.5633:
	s_and_not1_saveexec_b32 s62, s62
	s_cbranch_execnz .LBB14_7878
.LBB14_5634:
	s_or_b32 exec_lo, exec_lo, s62
	v_mov_b32_e32 v10, 0
	s_and_saveexec_b32 s62, s61
.LBB14_5635:
	v_lshrrev_b32_e32 v10, 24, v38
	s_delay_alu instid0(VALU_DEP_1)
	v_and_or_b32 v10, 0x80, v10, v7
.LBB14_5636:
	s_or_b32 exec_lo, exec_lo, s62
.LBB14_5637:
	s_delay_alu instid0(SALU_CYCLE_1)
	s_or_b32 exec_lo, exec_lo, s60
	flat_store_b8 v[8:9], v10
                                        ; implicit-def: $vgpr38
                                        ; implicit-def: $vgpr8_vgpr9
.LBB14_5638:
	s_wait_xcnt 0x0
	s_and_not1_saveexec_b32 s59, s59
	s_cbranch_execz .LBB14_5648
; %bb.5639:
	v_and_b32_e32 v10, 0x7fffffff, v38
	s_mov_b32 s60, exec_lo
                                        ; implicit-def: $vgpr7
	s_delay_alu instid0(VALU_DEP_1)
	v_cmpx_gt_u32_e32 0x43f00000, v10
	s_xor_b32 s60, exec_lo, s60
	s_cbranch_execz .LBB14_5645
; %bb.5640:
	s_mov_b32 s61, exec_lo
                                        ; implicit-def: $vgpr7
	v_cmpx_lt_u32_e32 0x3c7fffff, v10
	s_xor_b32 s61, exec_lo, s61
; %bb.5641:
	v_bfe_u32 v7, v38, 20, 1
	s_delay_alu instid0(VALU_DEP_1) | instskip(NEXT) | instid1(VALU_DEP_1)
	v_add3_u32 v7, v38, v7, 0x407ffff
	v_and_b32_e32 v10, 0xff00000, v7
	v_lshrrev_b32_e32 v7, 20, v7
	s_delay_alu instid0(VALU_DEP_2) | instskip(NEXT) | instid1(VALU_DEP_2)
	v_cmp_ne_u32_e32 vcc_lo, 0x7f00000, v10
	v_cndmask_b32_e32 v7, 0x7e, v7, vcc_lo
; %bb.5642:
	s_and_not1_saveexec_b32 s61, s61
; %bb.5643:
	v_add_f32_e64 v7, 0x46800000, |v38|
; %bb.5644:
	s_or_b32 exec_lo, exec_lo, s61
                                        ; implicit-def: $vgpr10
.LBB14_5645:
	s_and_not1_saveexec_b32 s60, s60
; %bb.5646:
	v_mov_b32_e32 v7, 0x7f
	v_cmp_lt_u32_e32 vcc_lo, 0x7f800000, v10
	s_delay_alu instid0(VALU_DEP_2)
	v_cndmask_b32_e32 v7, 0x7e, v7, vcc_lo
; %bb.5647:
	s_or_b32 exec_lo, exec_lo, s60
	v_lshrrev_b32_e32 v10, 24, v38
	s_delay_alu instid0(VALU_DEP_1)
	v_and_or_b32 v7, 0x80, v10, v7
	flat_store_b8 v[8:9], v7
.LBB14_5648:
	s_wait_xcnt 0x0
	s_or_b32 exec_lo, exec_lo, s59
                                        ; implicit-def: $vgpr38
                                        ; implicit-def: $vgpr8_vgpr9
.LBB14_5649:
	s_and_not1_saveexec_b32 s58, s58
	s_cbranch_execz .LBB14_5659
; %bb.5650:
	v_and_b32_e32 v10, 0x7fffffff, v38
	s_mov_b32 s59, exec_lo
                                        ; implicit-def: $vgpr7
	s_delay_alu instid0(VALU_DEP_1)
	v_cmpx_gt_u32_e32 0x47800000, v10
	s_xor_b32 s59, exec_lo, s59
	s_cbranch_execz .LBB14_5656
; %bb.5651:
	s_mov_b32 s60, exec_lo
                                        ; implicit-def: $vgpr7
	v_cmpx_lt_u32_e32 0x387fffff, v10
	s_xor_b32 s60, exec_lo, s60
; %bb.5652:
	v_bfe_u32 v7, v38, 21, 1
	s_delay_alu instid0(VALU_DEP_1) | instskip(NEXT) | instid1(VALU_DEP_1)
	v_add3_u32 v7, v38, v7, 0x80fffff
	v_lshrrev_b32_e32 v7, 21, v7
; %bb.5653:
	s_and_not1_saveexec_b32 s60, s60
; %bb.5654:
	v_add_f32_e64 v7, 0x43000000, |v38|
; %bb.5655:
	s_or_b32 exec_lo, exec_lo, s60
                                        ; implicit-def: $vgpr10
.LBB14_5656:
	s_and_not1_saveexec_b32 s59, s59
; %bb.5657:
	v_mov_b32_e32 v7, 0x7f
	v_cmp_lt_u32_e32 vcc_lo, 0x7f800000, v10
	s_delay_alu instid0(VALU_DEP_2)
	v_cndmask_b32_e32 v7, 0x7c, v7, vcc_lo
; %bb.5658:
	s_or_b32 exec_lo, exec_lo, s59
	v_lshrrev_b32_e32 v10, 24, v38
	s_delay_alu instid0(VALU_DEP_1)
	v_and_or_b32 v7, 0x80, v10, v7
	flat_store_b8 v[8:9], v7
.LBB14_5659:
	s_wait_xcnt 0x0
	s_or_b32 exec_lo, exec_lo, s58
	s_delay_alu instid0(SALU_CYCLE_1)
	s_or_b32 s58, s0, exec_lo
                                        ; implicit-def: $vgpr7
                                        ; implicit-def: $vgpr38
                                        ; implicit-def: $vgpr8_vgpr9
.LBB14_5660:
	s_or_saveexec_b32 s57, s57
	s_mov_b32 s59, s47
	s_xor_b32 exec_lo, exec_lo, s57
	s_cbranch_execz .LBB14_5670
; %bb.5661:
	s_mov_b32 s59, s58
	s_mov_b32 s60, s47
	s_mov_b32 s61, exec_lo
	v_cmpx_lt_i16_e32 14, v7
	s_xor_b32 s61, exec_lo, s61
	s_cbranch_execz .LBB14_5665
; %bb.5662:
	s_mov_b32 s62, -1
	s_mov_b32 s59, s58
	s_mov_b32 s60, exec_lo
	v_cmpx_eq_u16_e32 15, v7
	s_cbranch_execz .LBB14_5664
; %bb.5663:
	v_bfe_u32 v7, v38, 16, 1
	v_cmp_o_f32_e32 vcc_lo, v38, v38
	s_xor_b32 s62, exec_lo, -1
	s_or_b32 s59, s58, exec_lo
	s_delay_alu instid0(VALU_DEP_2) | instskip(NEXT) | instid1(VALU_DEP_1)
	v_add3_u32 v7, v38, v7, 0x7fff
	v_lshrrev_b32_e32 v7, 16, v7
	s_delay_alu instid0(VALU_DEP_1)
	v_cndmask_b32_e32 v7, 0x7fc0, v7, vcc_lo
	flat_store_b16 v[8:9], v7
.LBB14_5664:
	s_wait_xcnt 0x0
	s_or_b32 exec_lo, exec_lo, s60
	s_delay_alu instid0(SALU_CYCLE_1)
	s_and_not1_b32 s60, s47, exec_lo
	s_and_b32 s62, s62, exec_lo
	s_and_not1_b32 s63, s58, exec_lo
	s_and_b32 s59, s59, exec_lo
	s_or_b32 s60, s60, s62
	s_or_b32 s59, s63, s59
                                        ; implicit-def: $vgpr7
                                        ; implicit-def: $vgpr38
                                        ; implicit-def: $vgpr8_vgpr9
.LBB14_5665:
	s_and_not1_saveexec_b32 s61, s61
	s_cbranch_execz .LBB14_5669
; %bb.5666:
	s_mov_b32 s63, -1
	s_mov_b32 s62, s59
	s_mov_b32 s72, exec_lo
	v_cmpx_eq_u16_e32 11, v7
	s_cbranch_execz .LBB14_5668
; %bb.5667:
	v_cmp_neq_f32_e32 vcc_lo, 0, v38
	s_xor_b32 s63, exec_lo, -1
	s_or_b32 s62, s59, exec_lo
	v_cndmask_b32_e64 v7, 0, 1, vcc_lo
	flat_store_b8 v[8:9], v7
.LBB14_5668:
	s_wait_xcnt 0x0
	s_or_b32 exec_lo, exec_lo, s72
	s_delay_alu instid0(SALU_CYCLE_1)
	s_and_not1_b32 s60, s60, exec_lo
	s_and_b32 s63, s63, exec_lo
	s_and_not1_b32 s59, s59, exec_lo
	s_and_b32 s62, s62, exec_lo
	s_or_b32 s60, s60, s63
	s_or_b32 s59, s59, s62
.LBB14_5669:
	s_or_b32 exec_lo, exec_lo, s61
	s_delay_alu instid0(SALU_CYCLE_1)
	s_and_not1_b32 s61, s47, exec_lo
	s_and_b32 s60, s60, exec_lo
	s_and_not1_b32 s58, s58, exec_lo
	s_and_b32 s62, s59, exec_lo
	s_or_b32 s59, s61, s60
	s_or_b32 s58, s58, s62
.LBB14_5670:
	s_or_b32 exec_lo, exec_lo, s57
	s_delay_alu instid0(SALU_CYCLE_1)
	s_and_not1_b32 s47, s47, exec_lo
	s_and_b32 s57, s59, exec_lo
	s_and_not1_b32 s0, s0, exec_lo
	s_and_b32 s58, s58, exec_lo
	s_or_b32 s47, s47, s57
	s_or_b32 s0, s0, s58
.LBB14_5671:
	s_or_b32 exec_lo, exec_lo, s56
	s_delay_alu instid0(SALU_CYCLE_1)
	s_and_not1_b32 s56, s42, exec_lo
	s_and_b32 s47, s47, exec_lo
	s_and_b32 s0, s0, exec_lo
	s_or_b32 s47, s56, s47
                                        ; implicit-def: $vgpr7
                                        ; implicit-def: $vgpr38
                                        ; implicit-def: $vgpr8_vgpr9
.LBB14_5672:
	s_and_not1_saveexec_b32 s44, s44
	s_cbranch_execz .LBB14_5714
; %bb.5673:
	s_mov_b32 s56, exec_lo
	v_cmpx_lt_i16_e32 4, v7
	s_xor_b32 s56, exec_lo, s56
	s_cbranch_execz .LBB14_5695
; %bb.5674:
	s_mov_b32 s57, exec_lo
	v_cmpx_lt_i16_e32 7, v7
	s_xor_b32 s57, exec_lo, s57
	s_cbranch_execz .LBB14_5684
; %bb.5675:
	s_mov_b32 s58, exec_lo
	v_cmpx_lt_i16_e32 8, v7
	s_xor_b32 s58, exec_lo, s58
	s_cbranch_execz .LBB14_5681
; %bb.5676:
	s_mov_b32 s59, exec_lo
	v_cmpx_lt_i16_e32 9, v7
	s_xor_b32 s59, exec_lo, s59
	s_cbranch_execz .LBB14_5678
; %bb.5677:
	v_cvt_f64_f32_e32 v[52:53], v38
	v_mov_b32_e32 v54, 0
                                        ; implicit-def: $vgpr38
	s_delay_alu instid0(VALU_DEP_1)
	v_mov_b32_e32 v55, v54
	flat_store_b128 v[8:9], v[52:55]
                                        ; implicit-def: $vgpr8_vgpr9
.LBB14_5678:
	s_wait_xcnt 0x0
	s_and_not1_saveexec_b32 s59, s59
	s_cbranch_execz .LBB14_5680
; %bb.5679:
	v_mov_b32_e32 v39, 0
	flat_store_b64 v[8:9], v[38:39]
.LBB14_5680:
	s_wait_xcnt 0x0
	s_or_b32 exec_lo, exec_lo, s59
                                        ; implicit-def: $vgpr38
                                        ; implicit-def: $vgpr8_vgpr9
.LBB14_5681:
	s_and_not1_saveexec_b32 s58, s58
	s_cbranch_execz .LBB14_5683
; %bb.5682:
	v_cvt_f16_f32_e32 v7, v38
	s_delay_alu instid0(VALU_DEP_1)
	v_and_b32_e32 v7, 0xffff, v7
	flat_store_b32 v[8:9], v7
.LBB14_5683:
	s_wait_xcnt 0x0
	s_or_b32 exec_lo, exec_lo, s58
                                        ; implicit-def: $vgpr38
                                        ; implicit-def: $vgpr8_vgpr9
                                        ; implicit-def: $vgpr7
.LBB14_5684:
	s_and_not1_saveexec_b32 s57, s57
	s_cbranch_execz .LBB14_5694
; %bb.5685:
	s_mov_b32 s58, exec_lo
	v_cmpx_lt_i16_e32 5, v7
	s_xor_b32 s58, exec_lo, s58
	s_cbranch_execz .LBB14_5691
; %bb.5686:
	s_mov_b32 s59, exec_lo
	v_cmpx_lt_i16_e32 6, v7
	s_xor_b32 s59, exec_lo, s59
	s_cbranch_execz .LBB14_5688
; %bb.5687:
	v_cvt_f64_f32_e32 v[38:39], v38
	flat_store_b64 v[8:9], v[38:39]
                                        ; implicit-def: $vgpr8_vgpr9
                                        ; implicit-def: $vgpr38
.LBB14_5688:
	s_wait_xcnt 0x0
	s_and_not1_saveexec_b32 s59, s59
	s_cbranch_execz .LBB14_5690
; %bb.5689:
	flat_store_b32 v[8:9], v38
.LBB14_5690:
	s_wait_xcnt 0x0
	s_or_b32 exec_lo, exec_lo, s59
                                        ; implicit-def: $vgpr38
                                        ; implicit-def: $vgpr8_vgpr9
.LBB14_5691:
	s_and_not1_saveexec_b32 s58, s58
	s_cbranch_execz .LBB14_5693
; %bb.5692:
	v_cvt_f16_f32_e32 v7, v38
	flat_store_b16 v[8:9], v7
.LBB14_5693:
	s_wait_xcnt 0x0
	s_or_b32 exec_lo, exec_lo, s58
.LBB14_5694:
	s_delay_alu instid0(SALU_CYCLE_1)
	s_or_b32 exec_lo, exec_lo, s57
                                        ; implicit-def: $vgpr7
                                        ; implicit-def: $vgpr38
                                        ; implicit-def: $vgpr8_vgpr9
.LBB14_5695:
	s_and_not1_saveexec_b32 s56, s56
	s_cbranch_execz .LBB14_5713
; %bb.5696:
	s_mov_b32 s57, exec_lo
	v_cmpx_lt_i16_e32 1, v7
	s_xor_b32 s57, exec_lo, s57
	s_cbranch_execz .LBB14_5706
; %bb.5697:
	s_mov_b32 s58, exec_lo
	v_cmpx_lt_i16_e32 2, v7
	s_xor_b32 s58, exec_lo, s58
	s_cbranch_execz .LBB14_5703
; %bb.5698:
	s_mov_b32 s59, exec_lo
	v_cmpx_lt_i16_e32 3, v7
	s_xor_b32 s59, exec_lo, s59
	s_cbranch_execz .LBB14_5700
; %bb.5699:
	v_trunc_f32_e32 v7, v38
	s_delay_alu instid0(VALU_DEP_1) | instskip(SKIP_1) | instid1(VALU_DEP_2)
	v_mul_f32_e64 v10, 0x2f800000, |v7|
	v_ashrrev_i32_e32 v38, 31, v7
	v_floor_f32_e32 v10, v10
	s_delay_alu instid0(VALU_DEP_1) | instskip(SKIP_1) | instid1(VALU_DEP_2)
	v_fma_f32 v39, 0xcf800000, v10, |v7|
	v_cvt_u32_f32_e32 v7, v10
	v_cvt_u32_f32_e32 v10, v39
	s_delay_alu instid0(VALU_DEP_2) | instskip(NEXT) | instid1(VALU_DEP_2)
	v_dual_mov_b32 v39, v38 :: v_dual_bitop2_b32 v53, v7, v38 bitop3:0x14
	v_xor_b32_e32 v52, v10, v38
	s_delay_alu instid0(VALU_DEP_1)
	v_sub_nc_u64_e32 v[38:39], v[52:53], v[38:39]
	flat_store_b64 v[8:9], v[38:39]
                                        ; implicit-def: $vgpr38
                                        ; implicit-def: $vgpr8_vgpr9
.LBB14_5700:
	s_wait_xcnt 0x0
	s_and_not1_saveexec_b32 s59, s59
	s_cbranch_execz .LBB14_5702
; %bb.5701:
	v_cvt_i32_f32_e32 v7, v38
	flat_store_b32 v[8:9], v7
.LBB14_5702:
	s_wait_xcnt 0x0
	s_or_b32 exec_lo, exec_lo, s59
                                        ; implicit-def: $vgpr38
                                        ; implicit-def: $vgpr8_vgpr9
.LBB14_5703:
	s_and_not1_saveexec_b32 s58, s58
	s_cbranch_execz .LBB14_5705
; %bb.5704:
	v_cvt_i32_f32_e32 v7, v38
	flat_store_b16 v[8:9], v7
.LBB14_5705:
	s_wait_xcnt 0x0
	s_or_b32 exec_lo, exec_lo, s58
                                        ; implicit-def: $vgpr38
                                        ; implicit-def: $vgpr8_vgpr9
                                        ; implicit-def: $vgpr7
.LBB14_5706:
	s_and_not1_saveexec_b32 s57, s57
	s_cbranch_execz .LBB14_5712
; %bb.5707:
	s_mov_b32 s58, exec_lo
	v_cmpx_lt_i16_e32 0, v7
	s_xor_b32 s58, exec_lo, s58
	s_cbranch_execz .LBB14_5709
; %bb.5708:
	v_cvt_i32_f32_e32 v7, v38
                                        ; implicit-def: $vgpr38
	flat_store_b8 v[8:9], v7
                                        ; implicit-def: $vgpr8_vgpr9
.LBB14_5709:
	s_wait_xcnt 0x0
	s_and_not1_saveexec_b32 s58, s58
	s_cbranch_execz .LBB14_5711
; %bb.5710:
	v_trunc_f32_e32 v7, v38
	s_delay_alu instid0(VALU_DEP_1) | instskip(NEXT) | instid1(VALU_DEP_1)
	v_mul_f32_e64 v10, 0x2f800000, |v7|
	v_floor_f32_e32 v10, v10
	s_delay_alu instid0(VALU_DEP_1) | instskip(SKIP_1) | instid1(VALU_DEP_2)
	v_fma_f32 v10, 0xcf800000, v10, |v7|
	v_ashrrev_i32_e32 v7, 31, v7
	v_cvt_u32_f32_e32 v10, v10
	s_delay_alu instid0(VALU_DEP_1) | instskip(NEXT) | instid1(VALU_DEP_1)
	v_xor_b32_e32 v10, v10, v7
	v_sub_nc_u32_e32 v7, v10, v7
	flat_store_b8 v[8:9], v7
.LBB14_5711:
	s_wait_xcnt 0x0
	s_or_b32 exec_lo, exec_lo, s58
.LBB14_5712:
	s_delay_alu instid0(SALU_CYCLE_1)
	s_or_b32 exec_lo, exec_lo, s57
.LBB14_5713:
	s_delay_alu instid0(SALU_CYCLE_1) | instskip(NEXT) | instid1(SALU_CYCLE_1)
	s_or_b32 exec_lo, exec_lo, s56
	s_or_b32 s0, s0, exec_lo
.LBB14_5714:
	s_or_b32 exec_lo, exec_lo, s44
	s_mov_b32 s56, 0
	s_mov_b32 s44, 0
	s_and_saveexec_b32 s57, s0
; %bb.5715:
	v_add_nc_u32_e32 v13, 0x200, v13
	s_mov_b32 s56, exec_lo
	s_delay_alu instid0(VALU_DEP_1)
	v_cmp_lt_i32_e32 vcc_lo, v13, v6
	s_and_b32 s44, vcc_lo, exec_lo
; %bb.5716:
	s_or_b32 exec_lo, exec_lo, s57
	s_delay_alu instid0(SALU_CYCLE_1)
	s_and_not1_b32 s57, s42, exec_lo
	s_and_b32 s47, s47, exec_lo
	s_and_b32 s0, s44, exec_lo
	s_or_b32 s44, s57, s47
	s_or_not1_b32 s56, s56, exec_lo
.LBB14_5717:
	s_or_b32 exec_lo, exec_lo, s45
	s_mov_b32 s47, 0
	s_mov_b32 s57, 0
                                        ; implicit-def: $vgpr8
                                        ; implicit-def: $vgpr7
                                        ; implicit-def: $vgpr38_vgpr39
	s_and_saveexec_b32 s45, s56
	s_cbranch_execz .LBB14_7749
; %bb.5718:
	s_mov_b32 s58, -1
	s_mov_b32 s56, 0
	s_mov_b32 s46, s44
	;; [unrolled: 1-line block ×3, first 2 shown]
	s_and_saveexec_b32 s47, s0
	s_cbranch_execz .LBB14_5846
; %bb.5719:
	v_dual_add_nc_u32 v7, s2, v13 :: v_dual_mov_b32 v9, 0
	s_wait_loadcnt 0x7
	v_mul_f32_e32 v10, v48, v49
	v_cmp_lt_f32_e32 vcc_lo, 0, v49
	s_mov_b32 s0, 0
	v_mul_lo_u32 v8, v7, v12
	v_and_b32_e32 v7, 0xff, v11
	s_mov_b32 s57, s44
	v_cndmask_b32_e32 v38, v10, v49, vcc_lo
	s_mov_b32 s46, exec_lo
	s_delay_alu instid0(VALU_DEP_3)
	v_add_nc_u64_e32 v[8:9], v[0:1], v[8:9]
	v_cmpx_lt_i16_e32 10, v7
	s_xor_b32 s46, exec_lo, s46
	s_cbranch_execz .LBB14_5801
; %bb.5720:
	s_mov_b32 s57, s44
	s_mov_b32 s58, exec_lo
	v_cmpx_lt_i16_e32 25, v7
	s_xor_b32 s58, exec_lo, s58
	s_cbranch_execz .LBB14_5756
; %bb.5721:
	s_mov_b32 s59, s44
	s_mov_b32 s57, exec_lo
	;; [unrolled: 6-line block ×3, first 2 shown]
	v_cmpx_lt_i16_e32 43, v7
	s_xor_b32 s59, exec_lo, s59
	s_cbranch_execz .LBB14_5734
; %bb.5723:
	s_mov_b32 s60, 0
	s_mov_b32 s61, s44
	s_mov_b32 s0, exec_lo
	v_cmpx_lt_i16_e32 45, v7
	s_xor_b32 s0, exec_lo, s0
	s_cbranch_execz .LBB14_5727
; %bb.5724:
	s_mov_b32 s62, -1
	s_mov_b32 s61, exec_lo
	v_cmpx_eq_u16_e32 46, v7
	s_cbranch_execz .LBB14_5726
; %bb.5725:
	v_bfe_u32 v7, v38, 16, 1
	v_cmp_o_f32_e32 vcc_lo, v38, v38
	s_mov_b32 s60, exec_lo
	s_xor_b32 s62, exec_lo, -1
	s_delay_alu instid0(VALU_DEP_2) | instskip(NEXT) | instid1(VALU_DEP_1)
	v_add3_u32 v7, v38, v7, 0x7fff
	v_lshrrev_b32_e32 v7, 16, v7
	s_delay_alu instid0(VALU_DEP_1)
	v_cndmask_b32_e32 v7, 0x7fc0, v7, vcc_lo
	flat_store_b32 v[8:9], v7
.LBB14_5726:
	s_wait_xcnt 0x0
	s_or_b32 exec_lo, exec_lo, s61
	s_delay_alu instid0(SALU_CYCLE_1)
	s_and_not1_b32 s61, s44, exec_lo
	s_and_b32 s62, s62, exec_lo
	s_and_b32 s60, s60, exec_lo
	s_or_b32 s61, s61, s62
                                        ; implicit-def: $vgpr7
                                        ; implicit-def: $vgpr8_vgpr9
                                        ; implicit-def: $vgpr38
.LBB14_5727:
	s_and_not1_saveexec_b32 s62, s0
	s_cbranch_execz .LBB14_5733
; %bb.5728:
	s_mov_b32 s72, -1
	s_mov_b32 s0, s60
	s_mov_b32 s63, exec_lo
	v_cmpx_eq_u16_e32 44, v7
	s_cbranch_execz .LBB14_5732
; %bb.5729:
	v_bfe_u32 v10, v38, 23, 8
	v_mov_b32_e32 v7, 0xff
	s_mov_b32 s72, exec_lo
	s_delay_alu instid0(VALU_DEP_2)
	v_cmpx_ne_u32_e32 0xff, v10
	s_cbranch_execz .LBB14_5731
; %bb.5730:
	v_and_b32_e32 v7, 0x400000, v38
	v_and_or_b32 v10, 0x3fffff, v38, v10
	s_delay_alu instid0(VALU_DEP_2) | instskip(NEXT) | instid1(VALU_DEP_2)
	v_cmp_ne_u32_e32 vcc_lo, 0, v7
	v_cmp_ne_u32_e64 s0, 0, v10
	v_lshrrev_b32_e32 v7, 23, v38
	s_and_b32 s0, vcc_lo, s0
	s_delay_alu instid0(SALU_CYCLE_1) | instskip(NEXT) | instid1(VALU_DEP_1)
	v_cndmask_b32_e64 v10, 0, 1, s0
	v_add_nc_u32_e32 v7, v7, v10
.LBB14_5731:
	s_or_b32 exec_lo, exec_lo, s72
	s_delay_alu instid0(SALU_CYCLE_1)
	s_xor_b32 s72, exec_lo, -1
	s_or_b32 s0, s60, exec_lo
	flat_store_b8 v[8:9], v7
.LBB14_5732:
	s_wait_xcnt 0x0
	s_or_b32 exec_lo, exec_lo, s63
	s_delay_alu instid0(SALU_CYCLE_1)
	s_and_not1_b32 s61, s61, exec_lo
	s_and_b32 s63, s72, exec_lo
	s_and_not1_b32 s60, s60, exec_lo
	s_and_b32 s0, s0, exec_lo
	s_or_b32 s61, s61, s63
	s_or_b32 s60, s60, s0
.LBB14_5733:
	s_or_b32 exec_lo, exec_lo, s62
	s_delay_alu instid0(SALU_CYCLE_1) | instskip(SKIP_1) | instid1(SALU_CYCLE_1)
	s_and_not1_b32 s0, s44, exec_lo
	s_and_b32 s61, s61, exec_lo
                                        ; implicit-def: $vgpr7
                                        ; implicit-def: $vgpr38
                                        ; implicit-def: $vgpr8_vgpr9
	s_or_b32 s61, s0, s61
	s_and_b32 s0, s60, exec_lo
.LBB14_5734:
	s_and_not1_saveexec_b32 s59, s59
	s_cbranch_execz .LBB14_5738
; %bb.5735:
	s_mov_b32 s63, -1
	s_mov_b32 s62, s0
	s_mov_b32 s60, exec_lo
	v_cmpx_eq_u16_e32 29, v7
	s_cbranch_execz .LBB14_5737
; %bb.5736:
	v_trunc_f32_e32 v7, v38
	s_xor_b32 s63, exec_lo, -1
	s_or_b32 s62, s0, exec_lo
	s_delay_alu instid0(VALU_DEP_1) | instskip(NEXT) | instid1(VALU_DEP_1)
	v_mul_f32_e32 v10, 0x2f800000, v7
	v_floor_f32_e32 v10, v10
	s_delay_alu instid0(VALU_DEP_1) | instskip(SKIP_1) | instid1(VALU_DEP_2)
	v_fmamk_f32 v7, v10, 0xcf800000, v7
	v_cvt_u32_f32_e32 v39, v10
	v_cvt_u32_f32_e32 v38, v7
	flat_store_b64 v[8:9], v[38:39]
.LBB14_5737:
	s_wait_xcnt 0x0
	s_or_b32 exec_lo, exec_lo, s60
	s_delay_alu instid0(SALU_CYCLE_1)
	s_and_not1_b32 s60, s61, exec_lo
	s_and_b32 s61, s63, exec_lo
	s_and_not1_b32 s0, s0, exec_lo
	s_and_b32 s62, s62, exec_lo
	s_or_b32 s61, s60, s61
	s_or_b32 s0, s0, s62
.LBB14_5738:
	s_or_b32 exec_lo, exec_lo, s59
	s_delay_alu instid0(SALU_CYCLE_1)
	s_and_not1_b32 s59, s44, exec_lo
	s_and_b32 s60, s61, exec_lo
	s_and_b32 s0, s0, exec_lo
	s_or_b32 s59, s59, s60
                                        ; implicit-def: $vgpr8_vgpr9
                                        ; implicit-def: $vgpr7
                                        ; implicit-def: $vgpr38
.LBB14_5739:
	s_and_not1_saveexec_b32 s57, s57
	s_cbranch_execz .LBB14_5755
; %bb.5740:
	s_mov_b32 s60, exec_lo
	v_cmpx_lt_i16_e32 26, v7
	s_xor_b32 s60, exec_lo, s60
	s_cbranch_execz .LBB14_5746
; %bb.5741:
	v_cmp_lt_i16_e32 vcc_lo, 27, v7
	v_cvt_u32_f32_e32 v7, v38
	s_and_saveexec_b32 s61, vcc_lo
	s_delay_alu instid0(SALU_CYCLE_1)
	s_xor_b32 s61, exec_lo, s61
	s_cbranch_execz .LBB14_5743
; %bb.5742:
	flat_store_b32 v[8:9], v7
                                        ; implicit-def: $vgpr8_vgpr9
                                        ; implicit-def: $vgpr7
.LBB14_5743:
	s_wait_xcnt 0x0
	s_and_not1_saveexec_b32 s61, s61
	s_cbranch_execz .LBB14_5745
; %bb.5744:
	flat_store_b16 v[8:9], v7
.LBB14_5745:
	s_wait_xcnt 0x0
	s_or_b32 exec_lo, exec_lo, s61
                                        ; implicit-def: $vgpr8_vgpr9
                                        ; implicit-def: $vgpr38
.LBB14_5746:
	s_and_not1_saveexec_b32 s60, s60
	s_cbranch_execz .LBB14_5754
; %bb.5747:
	v_and_b32_e32 v7, 0x7fffffff, v38
	v_mov_b32_e32 v10, 0x80
	s_mov_b32 s61, exec_lo
	s_delay_alu instid0(VALU_DEP_2)
	v_cmpx_gt_u32_e32 0x43800000, v7
	s_cbranch_execz .LBB14_5753
; %bb.5748:
	v_cmp_lt_u32_e32 vcc_lo, 0x3bffffff, v7
	s_mov_b32 s62, 0
                                        ; implicit-def: $vgpr7
	s_and_saveexec_b32 s63, vcc_lo
	s_delay_alu instid0(SALU_CYCLE_1)
	s_xor_b32 s63, exec_lo, s63
	s_cbranch_execnz .LBB14_7879
; %bb.5749:
	s_and_not1_saveexec_b32 s63, s63
	s_cbranch_execnz .LBB14_7880
.LBB14_5750:
	s_or_b32 exec_lo, exec_lo, s63
	v_mov_b32_e32 v10, 0
	s_and_saveexec_b32 s63, s62
.LBB14_5751:
	v_lshrrev_b32_e32 v10, 24, v38
	s_delay_alu instid0(VALU_DEP_1)
	v_and_or_b32 v10, 0x80, v10, v7
.LBB14_5752:
	s_or_b32 exec_lo, exec_lo, s63
.LBB14_5753:
	s_delay_alu instid0(SALU_CYCLE_1)
	s_or_b32 exec_lo, exec_lo, s61
	flat_store_b8 v[8:9], v10
.LBB14_5754:
	s_wait_xcnt 0x0
	s_or_b32 exec_lo, exec_lo, s60
	s_delay_alu instid0(SALU_CYCLE_1)
	s_or_b32 s0, s0, exec_lo
.LBB14_5755:
	s_or_b32 exec_lo, exec_lo, s57
	s_delay_alu instid0(SALU_CYCLE_1)
	s_and_not1_b32 s57, s44, exec_lo
	s_and_b32 s59, s59, exec_lo
	s_and_b32 s0, s0, exec_lo
	s_or_b32 s57, s57, s59
                                        ; implicit-def: $vgpr7
                                        ; implicit-def: $vgpr38
                                        ; implicit-def: $vgpr8_vgpr9
.LBB14_5756:
	s_and_not1_saveexec_b32 s58, s58
	s_cbranch_execz .LBB14_5800
; %bb.5757:
	s_mov_b32 s60, s0
	s_mov_b32 s59, exec_lo
	v_cmpx_lt_i16_e32 22, v7
	s_xor_b32 s59, exec_lo, s59
	s_cbranch_execz .LBB14_5789
; %bb.5758:
	s_mov_b32 s60, exec_lo
	v_cmpx_lt_i16_e32 23, v7
	s_xor_b32 s60, exec_lo, s60
	s_cbranch_execz .LBB14_5778
; %bb.5759:
	;; [unrolled: 5-line block ×3, first 2 shown]
	v_and_b32_e32 v7, 0x7fffffff, v38
	v_mov_b32_e32 v10, 0x80
	s_mov_b32 s62, exec_lo
	s_delay_alu instid0(VALU_DEP_2)
	v_cmpx_gt_u32_e32 0x47800000, v7
	s_cbranch_execz .LBB14_5766
; %bb.5761:
	v_cmp_lt_u32_e32 vcc_lo, 0x37ffffff, v7
	s_mov_b32 s63, 0
                                        ; implicit-def: $vgpr7
	s_and_saveexec_b32 s72, vcc_lo
	s_delay_alu instid0(SALU_CYCLE_1)
	s_xor_b32 s72, exec_lo, s72
	s_cbranch_execnz .LBB14_7881
; %bb.5762:
	s_and_not1_saveexec_b32 s72, s72
	s_cbranch_execnz .LBB14_7882
.LBB14_5763:
	s_or_b32 exec_lo, exec_lo, s72
	v_mov_b32_e32 v10, 0
	s_and_saveexec_b32 s72, s63
.LBB14_5764:
	v_lshrrev_b32_e32 v10, 24, v38
	s_delay_alu instid0(VALU_DEP_1)
	v_and_or_b32 v10, 0x80, v10, v7
.LBB14_5765:
	s_or_b32 exec_lo, exec_lo, s72
.LBB14_5766:
	s_delay_alu instid0(SALU_CYCLE_1)
	s_or_b32 exec_lo, exec_lo, s62
	flat_store_b8 v[8:9], v10
                                        ; implicit-def: $vgpr38
                                        ; implicit-def: $vgpr8_vgpr9
.LBB14_5767:
	s_wait_xcnt 0x0
	s_and_not1_saveexec_b32 s61, s61
	s_cbranch_execz .LBB14_5777
; %bb.5768:
	v_and_b32_e32 v10, 0x7fffffff, v38
	s_mov_b32 s62, exec_lo
                                        ; implicit-def: $vgpr7
	s_delay_alu instid0(VALU_DEP_1)
	v_cmpx_gt_u32_e32 0x43f00000, v10
	s_xor_b32 s62, exec_lo, s62
	s_cbranch_execz .LBB14_5774
; %bb.5769:
	s_mov_b32 s63, exec_lo
                                        ; implicit-def: $vgpr7
	v_cmpx_lt_u32_e32 0x3c7fffff, v10
	s_xor_b32 s63, exec_lo, s63
; %bb.5770:
	v_bfe_u32 v7, v38, 20, 1
	s_delay_alu instid0(VALU_DEP_1) | instskip(NEXT) | instid1(VALU_DEP_1)
	v_add3_u32 v7, v38, v7, 0x407ffff
	v_and_b32_e32 v10, 0xff00000, v7
	v_lshrrev_b32_e32 v7, 20, v7
	s_delay_alu instid0(VALU_DEP_2) | instskip(NEXT) | instid1(VALU_DEP_2)
	v_cmp_ne_u32_e32 vcc_lo, 0x7f00000, v10
	v_cndmask_b32_e32 v7, 0x7e, v7, vcc_lo
; %bb.5771:
	s_and_not1_saveexec_b32 s63, s63
; %bb.5772:
	v_add_f32_e64 v7, 0x46800000, |v38|
; %bb.5773:
	s_or_b32 exec_lo, exec_lo, s63
                                        ; implicit-def: $vgpr10
.LBB14_5774:
	s_and_not1_saveexec_b32 s62, s62
; %bb.5775:
	v_mov_b32_e32 v7, 0x7f
	v_cmp_lt_u32_e32 vcc_lo, 0x7f800000, v10
	s_delay_alu instid0(VALU_DEP_2)
	v_cndmask_b32_e32 v7, 0x7e, v7, vcc_lo
; %bb.5776:
	s_or_b32 exec_lo, exec_lo, s62
	v_lshrrev_b32_e32 v10, 24, v38
	s_delay_alu instid0(VALU_DEP_1)
	v_and_or_b32 v7, 0x80, v10, v7
	flat_store_b8 v[8:9], v7
.LBB14_5777:
	s_wait_xcnt 0x0
	s_or_b32 exec_lo, exec_lo, s61
                                        ; implicit-def: $vgpr38
                                        ; implicit-def: $vgpr8_vgpr9
.LBB14_5778:
	s_and_not1_saveexec_b32 s60, s60
	s_cbranch_execz .LBB14_5788
; %bb.5779:
	v_and_b32_e32 v10, 0x7fffffff, v38
	s_mov_b32 s61, exec_lo
                                        ; implicit-def: $vgpr7
	s_delay_alu instid0(VALU_DEP_1)
	v_cmpx_gt_u32_e32 0x47800000, v10
	s_xor_b32 s61, exec_lo, s61
	s_cbranch_execz .LBB14_5785
; %bb.5780:
	s_mov_b32 s62, exec_lo
                                        ; implicit-def: $vgpr7
	v_cmpx_lt_u32_e32 0x387fffff, v10
	s_xor_b32 s62, exec_lo, s62
; %bb.5781:
	v_bfe_u32 v7, v38, 21, 1
	s_delay_alu instid0(VALU_DEP_1) | instskip(NEXT) | instid1(VALU_DEP_1)
	v_add3_u32 v7, v38, v7, 0x80fffff
	v_lshrrev_b32_e32 v7, 21, v7
; %bb.5782:
	s_and_not1_saveexec_b32 s62, s62
; %bb.5783:
	v_add_f32_e64 v7, 0x43000000, |v38|
; %bb.5784:
	s_or_b32 exec_lo, exec_lo, s62
                                        ; implicit-def: $vgpr10
.LBB14_5785:
	s_and_not1_saveexec_b32 s61, s61
; %bb.5786:
	v_mov_b32_e32 v7, 0x7f
	v_cmp_lt_u32_e32 vcc_lo, 0x7f800000, v10
	s_delay_alu instid0(VALU_DEP_2)
	v_cndmask_b32_e32 v7, 0x7c, v7, vcc_lo
; %bb.5787:
	s_or_b32 exec_lo, exec_lo, s61
	v_lshrrev_b32_e32 v10, 24, v38
	s_delay_alu instid0(VALU_DEP_1)
	v_and_or_b32 v7, 0x80, v10, v7
	flat_store_b8 v[8:9], v7
.LBB14_5788:
	s_wait_xcnt 0x0
	s_or_b32 exec_lo, exec_lo, s60
	s_delay_alu instid0(SALU_CYCLE_1)
	s_or_b32 s60, s0, exec_lo
                                        ; implicit-def: $vgpr7
                                        ; implicit-def: $vgpr38
                                        ; implicit-def: $vgpr8_vgpr9
.LBB14_5789:
	s_or_saveexec_b32 s59, s59
	s_mov_b32 s61, s57
	s_xor_b32 exec_lo, exec_lo, s59
	s_cbranch_execz .LBB14_5799
; %bb.5790:
	s_mov_b32 s61, s60
	s_mov_b32 s62, s57
	s_mov_b32 s63, exec_lo
	v_cmpx_lt_i16_e32 14, v7
	s_xor_b32 s63, exec_lo, s63
	s_cbranch_execz .LBB14_5794
; %bb.5791:
	s_mov_b32 s72, -1
	s_mov_b32 s61, s60
	s_mov_b32 s62, exec_lo
	v_cmpx_eq_u16_e32 15, v7
	s_cbranch_execz .LBB14_5793
; %bb.5792:
	v_bfe_u32 v7, v38, 16, 1
	v_cmp_o_f32_e32 vcc_lo, v38, v38
	s_xor_b32 s72, exec_lo, -1
	s_or_b32 s61, s60, exec_lo
	s_delay_alu instid0(VALU_DEP_2) | instskip(NEXT) | instid1(VALU_DEP_1)
	v_add3_u32 v7, v38, v7, 0x7fff
	v_lshrrev_b32_e32 v7, 16, v7
	s_delay_alu instid0(VALU_DEP_1)
	v_cndmask_b32_e32 v7, 0x7fc0, v7, vcc_lo
	flat_store_b16 v[8:9], v7
.LBB14_5793:
	s_wait_xcnt 0x0
	s_or_b32 exec_lo, exec_lo, s62
	s_delay_alu instid0(SALU_CYCLE_1)
	s_and_not1_b32 s62, s57, exec_lo
	s_and_b32 s72, s72, exec_lo
	s_and_not1_b32 s73, s60, exec_lo
	s_and_b32 s61, s61, exec_lo
	s_or_b32 s62, s62, s72
	s_or_b32 s61, s73, s61
                                        ; implicit-def: $vgpr7
                                        ; implicit-def: $vgpr38
                                        ; implicit-def: $vgpr8_vgpr9
.LBB14_5794:
	s_and_not1_saveexec_b32 s63, s63
	s_cbranch_execz .LBB14_5798
; %bb.5795:
	s_mov_b32 s73, -1
	s_mov_b32 s72, s61
	s_mov_b32 s74, exec_lo
	v_cmpx_eq_u16_e32 11, v7
	s_cbranch_execz .LBB14_5797
; %bb.5796:
	v_cmp_neq_f32_e32 vcc_lo, 0, v38
	s_xor_b32 s73, exec_lo, -1
	s_or_b32 s72, s61, exec_lo
	v_cndmask_b32_e64 v7, 0, 1, vcc_lo
	flat_store_b8 v[8:9], v7
.LBB14_5797:
	s_wait_xcnt 0x0
	s_or_b32 exec_lo, exec_lo, s74
	s_delay_alu instid0(SALU_CYCLE_1)
	s_and_not1_b32 s62, s62, exec_lo
	s_and_b32 s73, s73, exec_lo
	s_and_not1_b32 s61, s61, exec_lo
	s_and_b32 s72, s72, exec_lo
	s_or_b32 s62, s62, s73
	s_or_b32 s61, s61, s72
.LBB14_5798:
	s_or_b32 exec_lo, exec_lo, s63
	s_delay_alu instid0(SALU_CYCLE_1)
	s_and_not1_b32 s63, s57, exec_lo
	s_and_b32 s62, s62, exec_lo
	s_and_not1_b32 s60, s60, exec_lo
	s_and_b32 s72, s61, exec_lo
	s_or_b32 s61, s63, s62
	s_or_b32 s60, s60, s72
.LBB14_5799:
	s_or_b32 exec_lo, exec_lo, s59
	s_delay_alu instid0(SALU_CYCLE_1)
	s_and_not1_b32 s57, s57, exec_lo
	s_and_b32 s59, s61, exec_lo
	s_and_not1_b32 s0, s0, exec_lo
	s_and_b32 s60, s60, exec_lo
	s_or_b32 s57, s57, s59
	s_or_b32 s0, s0, s60
.LBB14_5800:
	s_or_b32 exec_lo, exec_lo, s58
	s_delay_alu instid0(SALU_CYCLE_1)
	s_and_not1_b32 s58, s44, exec_lo
	s_and_b32 s57, s57, exec_lo
	s_and_b32 s0, s0, exec_lo
	s_or_b32 s57, s58, s57
                                        ; implicit-def: $vgpr7
                                        ; implicit-def: $vgpr38
                                        ; implicit-def: $vgpr8_vgpr9
.LBB14_5801:
	s_and_not1_saveexec_b32 s46, s46
	s_cbranch_execz .LBB14_5843
; %bb.5802:
	s_mov_b32 s58, exec_lo
	v_cmpx_lt_i16_e32 4, v7
	s_xor_b32 s58, exec_lo, s58
	s_cbranch_execz .LBB14_5824
; %bb.5803:
	s_mov_b32 s59, exec_lo
	v_cmpx_lt_i16_e32 7, v7
	s_xor_b32 s59, exec_lo, s59
	;; [unrolled: 5-line block ×4, first 2 shown]
	s_cbranch_execz .LBB14_5807
; %bb.5806:
	v_cvt_f64_f32_e32 v[52:53], v38
	v_mov_b32_e32 v54, 0
                                        ; implicit-def: $vgpr38
	s_delay_alu instid0(VALU_DEP_1)
	v_mov_b32_e32 v55, v54
	flat_store_b128 v[8:9], v[52:55]
                                        ; implicit-def: $vgpr8_vgpr9
.LBB14_5807:
	s_wait_xcnt 0x0
	s_and_not1_saveexec_b32 s61, s61
	s_cbranch_execz .LBB14_5809
; %bb.5808:
	v_mov_b32_e32 v39, 0
	flat_store_b64 v[8:9], v[38:39]
.LBB14_5809:
	s_wait_xcnt 0x0
	s_or_b32 exec_lo, exec_lo, s61
                                        ; implicit-def: $vgpr38
                                        ; implicit-def: $vgpr8_vgpr9
.LBB14_5810:
	s_and_not1_saveexec_b32 s60, s60
	s_cbranch_execz .LBB14_5812
; %bb.5811:
	v_cvt_f16_f32_e32 v7, v38
	s_delay_alu instid0(VALU_DEP_1)
	v_and_b32_e32 v7, 0xffff, v7
	flat_store_b32 v[8:9], v7
.LBB14_5812:
	s_wait_xcnt 0x0
	s_or_b32 exec_lo, exec_lo, s60
                                        ; implicit-def: $vgpr38
                                        ; implicit-def: $vgpr8_vgpr9
                                        ; implicit-def: $vgpr7
.LBB14_5813:
	s_and_not1_saveexec_b32 s59, s59
	s_cbranch_execz .LBB14_5823
; %bb.5814:
	s_mov_b32 s60, exec_lo
	v_cmpx_lt_i16_e32 5, v7
	s_xor_b32 s60, exec_lo, s60
	s_cbranch_execz .LBB14_5820
; %bb.5815:
	s_mov_b32 s61, exec_lo
	v_cmpx_lt_i16_e32 6, v7
	s_xor_b32 s61, exec_lo, s61
	s_cbranch_execz .LBB14_5817
; %bb.5816:
	v_cvt_f64_f32_e32 v[38:39], v38
	flat_store_b64 v[8:9], v[38:39]
                                        ; implicit-def: $vgpr8_vgpr9
                                        ; implicit-def: $vgpr38
.LBB14_5817:
	s_wait_xcnt 0x0
	s_and_not1_saveexec_b32 s61, s61
	s_cbranch_execz .LBB14_5819
; %bb.5818:
	flat_store_b32 v[8:9], v38
.LBB14_5819:
	s_wait_xcnt 0x0
	s_or_b32 exec_lo, exec_lo, s61
                                        ; implicit-def: $vgpr38
                                        ; implicit-def: $vgpr8_vgpr9
.LBB14_5820:
	s_and_not1_saveexec_b32 s60, s60
	s_cbranch_execz .LBB14_5822
; %bb.5821:
	v_cvt_f16_f32_e32 v7, v38
	flat_store_b16 v[8:9], v7
.LBB14_5822:
	s_wait_xcnt 0x0
	s_or_b32 exec_lo, exec_lo, s60
.LBB14_5823:
	s_delay_alu instid0(SALU_CYCLE_1)
	s_or_b32 exec_lo, exec_lo, s59
                                        ; implicit-def: $vgpr7
                                        ; implicit-def: $vgpr38
                                        ; implicit-def: $vgpr8_vgpr9
.LBB14_5824:
	s_and_not1_saveexec_b32 s58, s58
	s_cbranch_execz .LBB14_5842
; %bb.5825:
	s_mov_b32 s59, exec_lo
	v_cmpx_lt_i16_e32 1, v7
	s_xor_b32 s59, exec_lo, s59
	s_cbranch_execz .LBB14_5835
; %bb.5826:
	s_mov_b32 s60, exec_lo
	v_cmpx_lt_i16_e32 2, v7
	s_xor_b32 s60, exec_lo, s60
	;; [unrolled: 5-line block ×3, first 2 shown]
	s_cbranch_execz .LBB14_5829
; %bb.5828:
	v_trunc_f32_e32 v7, v38
	s_delay_alu instid0(VALU_DEP_1) | instskip(SKIP_1) | instid1(VALU_DEP_2)
	v_mul_f32_e64 v10, 0x2f800000, |v7|
	v_ashrrev_i32_e32 v38, 31, v7
	v_floor_f32_e32 v10, v10
	s_delay_alu instid0(VALU_DEP_1) | instskip(SKIP_1) | instid1(VALU_DEP_2)
	v_fma_f32 v39, 0xcf800000, v10, |v7|
	v_cvt_u32_f32_e32 v7, v10
	v_cvt_u32_f32_e32 v10, v39
	s_delay_alu instid0(VALU_DEP_2) | instskip(NEXT) | instid1(VALU_DEP_2)
	v_dual_mov_b32 v39, v38 :: v_dual_bitop2_b32 v49, v7, v38 bitop3:0x14
	v_xor_b32_e32 v48, v10, v38
	s_delay_alu instid0(VALU_DEP_1)
	v_sub_nc_u64_e32 v[38:39], v[48:49], v[38:39]
	flat_store_b64 v[8:9], v[38:39]
                                        ; implicit-def: $vgpr38
                                        ; implicit-def: $vgpr8_vgpr9
.LBB14_5829:
	s_wait_xcnt 0x0
	s_and_not1_saveexec_b32 s61, s61
	s_cbranch_execz .LBB14_5831
; %bb.5830:
	v_cvt_i32_f32_e32 v7, v38
	flat_store_b32 v[8:9], v7
.LBB14_5831:
	s_wait_xcnt 0x0
	s_or_b32 exec_lo, exec_lo, s61
                                        ; implicit-def: $vgpr38
                                        ; implicit-def: $vgpr8_vgpr9
.LBB14_5832:
	s_and_not1_saveexec_b32 s60, s60
	s_cbranch_execz .LBB14_5834
; %bb.5833:
	v_cvt_i32_f32_e32 v7, v38
	flat_store_b16 v[8:9], v7
.LBB14_5834:
	s_wait_xcnt 0x0
	s_or_b32 exec_lo, exec_lo, s60
                                        ; implicit-def: $vgpr38
                                        ; implicit-def: $vgpr8_vgpr9
                                        ; implicit-def: $vgpr7
.LBB14_5835:
	s_and_not1_saveexec_b32 s59, s59
	s_cbranch_execz .LBB14_5841
; %bb.5836:
	s_mov_b32 s60, exec_lo
	v_cmpx_lt_i16_e32 0, v7
	s_xor_b32 s60, exec_lo, s60
	s_cbranch_execz .LBB14_5838
; %bb.5837:
	v_cvt_i32_f32_e32 v7, v38
                                        ; implicit-def: $vgpr38
	flat_store_b8 v[8:9], v7
                                        ; implicit-def: $vgpr8_vgpr9
.LBB14_5838:
	s_wait_xcnt 0x0
	s_and_not1_saveexec_b32 s60, s60
	s_cbranch_execz .LBB14_5840
; %bb.5839:
	v_trunc_f32_e32 v7, v38
	s_delay_alu instid0(VALU_DEP_1) | instskip(NEXT) | instid1(VALU_DEP_1)
	v_mul_f32_e64 v10, 0x2f800000, |v7|
	v_floor_f32_e32 v10, v10
	s_delay_alu instid0(VALU_DEP_1) | instskip(SKIP_1) | instid1(VALU_DEP_2)
	v_fma_f32 v10, 0xcf800000, v10, |v7|
	v_ashrrev_i32_e32 v7, 31, v7
	v_cvt_u32_f32_e32 v10, v10
	s_delay_alu instid0(VALU_DEP_1) | instskip(NEXT) | instid1(VALU_DEP_1)
	v_xor_b32_e32 v10, v10, v7
	v_sub_nc_u32_e32 v7, v10, v7
	flat_store_b8 v[8:9], v7
.LBB14_5840:
	s_wait_xcnt 0x0
	s_or_b32 exec_lo, exec_lo, s60
.LBB14_5841:
	s_delay_alu instid0(SALU_CYCLE_1)
	s_or_b32 exec_lo, exec_lo, s59
.LBB14_5842:
	s_delay_alu instid0(SALU_CYCLE_1) | instskip(NEXT) | instid1(SALU_CYCLE_1)
	s_or_b32 exec_lo, exec_lo, s58
	s_or_b32 s0, s0, exec_lo
.LBB14_5843:
	s_or_b32 exec_lo, exec_lo, s46
	s_mov_b32 s58, 0
	s_mov_b32 s46, 0
	s_and_saveexec_b32 s59, s0
; %bb.5844:
	v_add_nc_u32_e32 v13, 0x200, v13
	s_mov_b32 s58, exec_lo
	s_delay_alu instid0(VALU_DEP_1)
	v_cmp_lt_i32_e32 vcc_lo, v13, v6
	s_and_b32 s46, vcc_lo, exec_lo
; %bb.5845:
	s_or_b32 exec_lo, exec_lo, s59
	s_delay_alu instid0(SALU_CYCLE_1)
	s_and_not1_b32 s0, s44, exec_lo
	s_and_b32 s57, s57, exec_lo
	s_and_b32 s59, s46, exec_lo
	s_or_b32 s46, s0, s57
	s_or_not1_b32 s58, s58, exec_lo
.LBB14_5846:
	s_or_b32 exec_lo, exec_lo, s47
	s_mov_b32 s0, 0
	s_mov_b32 s57, 0
                                        ; implicit-def: $vgpr8
                                        ; implicit-def: $vgpr7
                                        ; implicit-def: $vgpr38_vgpr39
	s_and_saveexec_b32 s47, s58
	s_cbranch_execz .LBB14_7748
; %bb.5847:
	s_mov_b32 s60, -1
	s_mov_b32 s58, 0
	s_mov_b32 s56, s46
	s_and_saveexec_b32 s57, s59
	s_cbranch_execz .LBB14_5975
; %bb.5848:
	v_dual_add_nc_u32 v7, s2, v13 :: v_dual_mov_b32 v9, 0
	s_wait_loadcnt 0x7
	v_mul_f32_e32 v10, v50, v51
	v_cmp_lt_f32_e32 vcc_lo, 0, v51
	s_mov_b32 s59, s46
	v_mul_lo_u32 v8, v7, v12
	v_and_b32_e32 v7, 0xff, v11
	s_mov_b32 s56, exec_lo
	v_cndmask_b32_e32 v38, v10, v51, vcc_lo
	s_delay_alu instid0(VALU_DEP_3) | instskip(NEXT) | instid1(VALU_DEP_3)
	v_add_nc_u64_e32 v[8:9], v[0:1], v[8:9]
	v_cmpx_lt_i16_e32 10, v7
	s_xor_b32 s56, exec_lo, s56
	s_cbranch_execz .LBB14_5930
; %bb.5849:
	s_mov_b32 s59, s46
	s_mov_b32 s60, exec_lo
	v_cmpx_lt_i16_e32 25, v7
	s_xor_b32 s60, exec_lo, s60
	s_cbranch_execz .LBB14_5885
; %bb.5850:
	s_mov_b32 s61, s46
	s_mov_b32 s59, exec_lo
	;; [unrolled: 6-line block ×3, first 2 shown]
	v_cmpx_lt_i16_e32 43, v7
	s_xor_b32 s61, exec_lo, s61
	s_cbranch_execz .LBB14_5863
; %bb.5852:
	s_mov_b32 s62, 0
	s_mov_b32 s63, s46
	s_mov_b32 s0, exec_lo
	v_cmpx_lt_i16_e32 45, v7
	s_xor_b32 s0, exec_lo, s0
	s_cbranch_execz .LBB14_5856
; %bb.5853:
	s_mov_b32 s72, -1
	s_mov_b32 s63, exec_lo
	v_cmpx_eq_u16_e32 46, v7
	s_cbranch_execz .LBB14_5855
; %bb.5854:
	v_bfe_u32 v7, v38, 16, 1
	v_cmp_o_f32_e32 vcc_lo, v38, v38
	s_mov_b32 s62, exec_lo
	s_xor_b32 s72, exec_lo, -1
	s_delay_alu instid0(VALU_DEP_2) | instskip(NEXT) | instid1(VALU_DEP_1)
	v_add3_u32 v7, v38, v7, 0x7fff
	v_lshrrev_b32_e32 v7, 16, v7
	s_delay_alu instid0(VALU_DEP_1)
	v_cndmask_b32_e32 v7, 0x7fc0, v7, vcc_lo
	flat_store_b32 v[8:9], v7
.LBB14_5855:
	s_wait_xcnt 0x0
	s_or_b32 exec_lo, exec_lo, s63
	s_delay_alu instid0(SALU_CYCLE_1)
	s_and_not1_b32 s63, s46, exec_lo
	s_and_b32 s72, s72, exec_lo
	s_and_b32 s62, s62, exec_lo
	s_or_b32 s63, s63, s72
                                        ; implicit-def: $vgpr7
                                        ; implicit-def: $vgpr8_vgpr9
                                        ; implicit-def: $vgpr38
.LBB14_5856:
	s_and_not1_saveexec_b32 s72, s0
	s_cbranch_execz .LBB14_5862
; %bb.5857:
	s_mov_b32 s74, -1
	s_mov_b32 s0, s62
	s_mov_b32 s73, exec_lo
	v_cmpx_eq_u16_e32 44, v7
	s_cbranch_execz .LBB14_5861
; %bb.5858:
	v_bfe_u32 v10, v38, 23, 8
	v_mov_b32_e32 v7, 0xff
	s_mov_b32 s74, exec_lo
	s_delay_alu instid0(VALU_DEP_2)
	v_cmpx_ne_u32_e32 0xff, v10
	s_cbranch_execz .LBB14_5860
; %bb.5859:
	v_and_b32_e32 v7, 0x400000, v38
	v_and_or_b32 v10, 0x3fffff, v38, v10
	s_delay_alu instid0(VALU_DEP_2) | instskip(NEXT) | instid1(VALU_DEP_2)
	v_cmp_ne_u32_e32 vcc_lo, 0, v7
	v_cmp_ne_u32_e64 s0, 0, v10
	v_lshrrev_b32_e32 v7, 23, v38
	s_and_b32 s0, vcc_lo, s0
	s_delay_alu instid0(SALU_CYCLE_1) | instskip(NEXT) | instid1(VALU_DEP_1)
	v_cndmask_b32_e64 v10, 0, 1, s0
	v_add_nc_u32_e32 v7, v7, v10
.LBB14_5860:
	s_or_b32 exec_lo, exec_lo, s74
	s_delay_alu instid0(SALU_CYCLE_1)
	s_xor_b32 s74, exec_lo, -1
	s_or_b32 s0, s62, exec_lo
	flat_store_b8 v[8:9], v7
.LBB14_5861:
	s_wait_xcnt 0x0
	s_or_b32 exec_lo, exec_lo, s73
	s_delay_alu instid0(SALU_CYCLE_1)
	s_and_not1_b32 s63, s63, exec_lo
	s_and_b32 s73, s74, exec_lo
	s_and_not1_b32 s62, s62, exec_lo
	s_and_b32 s0, s0, exec_lo
	s_or_b32 s63, s63, s73
	s_or_b32 s62, s62, s0
.LBB14_5862:
	s_or_b32 exec_lo, exec_lo, s72
	s_delay_alu instid0(SALU_CYCLE_1) | instskip(SKIP_1) | instid1(SALU_CYCLE_1)
	s_and_not1_b32 s0, s46, exec_lo
	s_and_b32 s63, s63, exec_lo
                                        ; implicit-def: $vgpr7
                                        ; implicit-def: $vgpr38
                                        ; implicit-def: $vgpr8_vgpr9
	s_or_b32 s63, s0, s63
	s_and_b32 s0, s62, exec_lo
.LBB14_5863:
	s_and_not1_saveexec_b32 s61, s61
	s_cbranch_execz .LBB14_5867
; %bb.5864:
	s_mov_b32 s73, -1
	s_mov_b32 s72, s0
	s_mov_b32 s62, exec_lo
	v_cmpx_eq_u16_e32 29, v7
	s_cbranch_execz .LBB14_5866
; %bb.5865:
	v_trunc_f32_e32 v7, v38
	s_xor_b32 s73, exec_lo, -1
	s_or_b32 s72, s0, exec_lo
	s_delay_alu instid0(VALU_DEP_1) | instskip(NEXT) | instid1(VALU_DEP_1)
	v_mul_f32_e32 v10, 0x2f800000, v7
	v_floor_f32_e32 v10, v10
	s_delay_alu instid0(VALU_DEP_1) | instskip(SKIP_1) | instid1(VALU_DEP_2)
	v_fmamk_f32 v7, v10, 0xcf800000, v7
	v_cvt_u32_f32_e32 v39, v10
	v_cvt_u32_f32_e32 v38, v7
	flat_store_b64 v[8:9], v[38:39]
.LBB14_5866:
	s_wait_xcnt 0x0
	s_or_b32 exec_lo, exec_lo, s62
	s_delay_alu instid0(SALU_CYCLE_1)
	s_and_not1_b32 s62, s63, exec_lo
	s_and_b32 s63, s73, exec_lo
	s_and_not1_b32 s0, s0, exec_lo
	s_and_b32 s72, s72, exec_lo
	s_or_b32 s63, s62, s63
	s_or_b32 s0, s0, s72
.LBB14_5867:
	s_or_b32 exec_lo, exec_lo, s61
	s_delay_alu instid0(SALU_CYCLE_1)
	s_and_not1_b32 s61, s46, exec_lo
	s_and_b32 s62, s63, exec_lo
	s_and_b32 s0, s0, exec_lo
	s_or_b32 s61, s61, s62
                                        ; implicit-def: $vgpr8_vgpr9
                                        ; implicit-def: $vgpr7
                                        ; implicit-def: $vgpr38
.LBB14_5868:
	s_and_not1_saveexec_b32 s59, s59
	s_cbranch_execz .LBB14_5884
; %bb.5869:
	s_mov_b32 s62, exec_lo
	v_cmpx_lt_i16_e32 26, v7
	s_xor_b32 s62, exec_lo, s62
	s_cbranch_execz .LBB14_5875
; %bb.5870:
	v_cmp_lt_i16_e32 vcc_lo, 27, v7
	v_cvt_u32_f32_e32 v7, v38
	s_and_saveexec_b32 s63, vcc_lo
	s_delay_alu instid0(SALU_CYCLE_1)
	s_xor_b32 s63, exec_lo, s63
	s_cbranch_execz .LBB14_5872
; %bb.5871:
	flat_store_b32 v[8:9], v7
                                        ; implicit-def: $vgpr8_vgpr9
                                        ; implicit-def: $vgpr7
.LBB14_5872:
	s_wait_xcnt 0x0
	s_and_not1_saveexec_b32 s63, s63
	s_cbranch_execz .LBB14_5874
; %bb.5873:
	flat_store_b16 v[8:9], v7
.LBB14_5874:
	s_wait_xcnt 0x0
	s_or_b32 exec_lo, exec_lo, s63
                                        ; implicit-def: $vgpr8_vgpr9
                                        ; implicit-def: $vgpr38
.LBB14_5875:
	s_and_not1_saveexec_b32 s62, s62
	s_cbranch_execz .LBB14_5883
; %bb.5876:
	v_and_b32_e32 v7, 0x7fffffff, v38
	v_mov_b32_e32 v10, 0x80
	s_mov_b32 s63, exec_lo
	s_delay_alu instid0(VALU_DEP_2)
	v_cmpx_gt_u32_e32 0x43800000, v7
	s_cbranch_execz .LBB14_5882
; %bb.5877:
	v_cmp_lt_u32_e32 vcc_lo, 0x3bffffff, v7
	s_mov_b32 s72, 0
                                        ; implicit-def: $vgpr7
	s_and_saveexec_b32 s73, vcc_lo
	s_delay_alu instid0(SALU_CYCLE_1)
	s_xor_b32 s73, exec_lo, s73
	s_cbranch_execnz .LBB14_7883
; %bb.5878:
	s_and_not1_saveexec_b32 s73, s73
	s_cbranch_execnz .LBB14_7884
.LBB14_5879:
	s_or_b32 exec_lo, exec_lo, s73
	v_mov_b32_e32 v10, 0
	s_and_saveexec_b32 s73, s72
.LBB14_5880:
	v_lshrrev_b32_e32 v10, 24, v38
	s_delay_alu instid0(VALU_DEP_1)
	v_and_or_b32 v10, 0x80, v10, v7
.LBB14_5881:
	s_or_b32 exec_lo, exec_lo, s73
.LBB14_5882:
	s_delay_alu instid0(SALU_CYCLE_1)
	s_or_b32 exec_lo, exec_lo, s63
	flat_store_b8 v[8:9], v10
.LBB14_5883:
	s_wait_xcnt 0x0
	s_or_b32 exec_lo, exec_lo, s62
	s_delay_alu instid0(SALU_CYCLE_1)
	s_or_b32 s0, s0, exec_lo
.LBB14_5884:
	s_or_b32 exec_lo, exec_lo, s59
	s_delay_alu instid0(SALU_CYCLE_1)
	s_and_not1_b32 s59, s46, exec_lo
	s_and_b32 s61, s61, exec_lo
	s_and_b32 s0, s0, exec_lo
	s_or_b32 s59, s59, s61
                                        ; implicit-def: $vgpr7
                                        ; implicit-def: $vgpr38
                                        ; implicit-def: $vgpr8_vgpr9
.LBB14_5885:
	s_and_not1_saveexec_b32 s60, s60
	s_cbranch_execz .LBB14_5929
; %bb.5886:
	s_mov_b32 s62, s0
	s_mov_b32 s61, exec_lo
	v_cmpx_lt_i16_e32 22, v7
	s_xor_b32 s61, exec_lo, s61
	s_cbranch_execz .LBB14_5918
; %bb.5887:
	s_mov_b32 s62, exec_lo
	v_cmpx_lt_i16_e32 23, v7
	s_xor_b32 s62, exec_lo, s62
	s_cbranch_execz .LBB14_5907
; %bb.5888:
	;; [unrolled: 5-line block ×3, first 2 shown]
	v_and_b32_e32 v7, 0x7fffffff, v38
	v_mov_b32_e32 v10, 0x80
	s_mov_b32 s72, exec_lo
	s_delay_alu instid0(VALU_DEP_2)
	v_cmpx_gt_u32_e32 0x47800000, v7
	s_cbranch_execz .LBB14_5895
; %bb.5890:
	v_cmp_lt_u32_e32 vcc_lo, 0x37ffffff, v7
	s_mov_b32 s73, 0
                                        ; implicit-def: $vgpr7
	s_and_saveexec_b32 s74, vcc_lo
	s_delay_alu instid0(SALU_CYCLE_1)
	s_xor_b32 s74, exec_lo, s74
	s_cbranch_execnz .LBB14_7885
; %bb.5891:
	s_and_not1_saveexec_b32 s74, s74
	s_cbranch_execnz .LBB14_7886
.LBB14_5892:
	s_or_b32 exec_lo, exec_lo, s74
	v_mov_b32_e32 v10, 0
	s_and_saveexec_b32 s74, s73
.LBB14_5893:
	v_lshrrev_b32_e32 v10, 24, v38
	s_delay_alu instid0(VALU_DEP_1)
	v_and_or_b32 v10, 0x80, v10, v7
.LBB14_5894:
	s_or_b32 exec_lo, exec_lo, s74
.LBB14_5895:
	s_delay_alu instid0(SALU_CYCLE_1)
	s_or_b32 exec_lo, exec_lo, s72
	flat_store_b8 v[8:9], v10
                                        ; implicit-def: $vgpr38
                                        ; implicit-def: $vgpr8_vgpr9
.LBB14_5896:
	s_wait_xcnt 0x0
	s_and_not1_saveexec_b32 s63, s63
	s_cbranch_execz .LBB14_5906
; %bb.5897:
	v_and_b32_e32 v10, 0x7fffffff, v38
	s_mov_b32 s72, exec_lo
                                        ; implicit-def: $vgpr7
	s_delay_alu instid0(VALU_DEP_1)
	v_cmpx_gt_u32_e32 0x43f00000, v10
	s_xor_b32 s72, exec_lo, s72
	s_cbranch_execz .LBB14_5903
; %bb.5898:
	s_mov_b32 s73, exec_lo
                                        ; implicit-def: $vgpr7
	v_cmpx_lt_u32_e32 0x3c7fffff, v10
	s_xor_b32 s73, exec_lo, s73
; %bb.5899:
	v_bfe_u32 v7, v38, 20, 1
	s_delay_alu instid0(VALU_DEP_1) | instskip(NEXT) | instid1(VALU_DEP_1)
	v_add3_u32 v7, v38, v7, 0x407ffff
	v_and_b32_e32 v10, 0xff00000, v7
	v_lshrrev_b32_e32 v7, 20, v7
	s_delay_alu instid0(VALU_DEP_2) | instskip(NEXT) | instid1(VALU_DEP_2)
	v_cmp_ne_u32_e32 vcc_lo, 0x7f00000, v10
	v_cndmask_b32_e32 v7, 0x7e, v7, vcc_lo
; %bb.5900:
	s_and_not1_saveexec_b32 s73, s73
; %bb.5901:
	v_add_f32_e64 v7, 0x46800000, |v38|
; %bb.5902:
	s_or_b32 exec_lo, exec_lo, s73
                                        ; implicit-def: $vgpr10
.LBB14_5903:
	s_and_not1_saveexec_b32 s72, s72
; %bb.5904:
	v_mov_b32_e32 v7, 0x7f
	v_cmp_lt_u32_e32 vcc_lo, 0x7f800000, v10
	s_delay_alu instid0(VALU_DEP_2)
	v_cndmask_b32_e32 v7, 0x7e, v7, vcc_lo
; %bb.5905:
	s_or_b32 exec_lo, exec_lo, s72
	v_lshrrev_b32_e32 v10, 24, v38
	s_delay_alu instid0(VALU_DEP_1)
	v_and_or_b32 v7, 0x80, v10, v7
	flat_store_b8 v[8:9], v7
.LBB14_5906:
	s_wait_xcnt 0x0
	s_or_b32 exec_lo, exec_lo, s63
                                        ; implicit-def: $vgpr38
                                        ; implicit-def: $vgpr8_vgpr9
.LBB14_5907:
	s_and_not1_saveexec_b32 s62, s62
	s_cbranch_execz .LBB14_5917
; %bb.5908:
	v_and_b32_e32 v10, 0x7fffffff, v38
	s_mov_b32 s63, exec_lo
                                        ; implicit-def: $vgpr7
	s_delay_alu instid0(VALU_DEP_1)
	v_cmpx_gt_u32_e32 0x47800000, v10
	s_xor_b32 s63, exec_lo, s63
	s_cbranch_execz .LBB14_5914
; %bb.5909:
	s_mov_b32 s72, exec_lo
                                        ; implicit-def: $vgpr7
	v_cmpx_lt_u32_e32 0x387fffff, v10
	s_xor_b32 s72, exec_lo, s72
; %bb.5910:
	v_bfe_u32 v7, v38, 21, 1
	s_delay_alu instid0(VALU_DEP_1) | instskip(NEXT) | instid1(VALU_DEP_1)
	v_add3_u32 v7, v38, v7, 0x80fffff
	v_lshrrev_b32_e32 v7, 21, v7
; %bb.5911:
	s_and_not1_saveexec_b32 s72, s72
; %bb.5912:
	v_add_f32_e64 v7, 0x43000000, |v38|
; %bb.5913:
	s_or_b32 exec_lo, exec_lo, s72
                                        ; implicit-def: $vgpr10
.LBB14_5914:
	s_and_not1_saveexec_b32 s63, s63
; %bb.5915:
	v_mov_b32_e32 v7, 0x7f
	v_cmp_lt_u32_e32 vcc_lo, 0x7f800000, v10
	s_delay_alu instid0(VALU_DEP_2)
	v_cndmask_b32_e32 v7, 0x7c, v7, vcc_lo
; %bb.5916:
	s_or_b32 exec_lo, exec_lo, s63
	v_lshrrev_b32_e32 v10, 24, v38
	s_delay_alu instid0(VALU_DEP_1)
	v_and_or_b32 v7, 0x80, v10, v7
	flat_store_b8 v[8:9], v7
.LBB14_5917:
	s_wait_xcnt 0x0
	s_or_b32 exec_lo, exec_lo, s62
	s_delay_alu instid0(SALU_CYCLE_1)
	s_or_b32 s62, s0, exec_lo
                                        ; implicit-def: $vgpr7
                                        ; implicit-def: $vgpr38
                                        ; implicit-def: $vgpr8_vgpr9
.LBB14_5918:
	s_or_saveexec_b32 s61, s61
	s_mov_b32 s63, s59
	s_xor_b32 exec_lo, exec_lo, s61
	s_cbranch_execz .LBB14_5928
; %bb.5919:
	s_mov_b32 s63, s62
	s_mov_b32 s72, s59
	s_mov_b32 s73, exec_lo
	v_cmpx_lt_i16_e32 14, v7
	s_xor_b32 s73, exec_lo, s73
	s_cbranch_execz .LBB14_5923
; %bb.5920:
	s_mov_b32 s74, -1
	s_mov_b32 s63, s62
	s_mov_b32 s72, exec_lo
	v_cmpx_eq_u16_e32 15, v7
	s_cbranch_execz .LBB14_5922
; %bb.5921:
	v_bfe_u32 v7, v38, 16, 1
	v_cmp_o_f32_e32 vcc_lo, v38, v38
	s_xor_b32 s74, exec_lo, -1
	s_or_b32 s63, s62, exec_lo
	s_delay_alu instid0(VALU_DEP_2) | instskip(NEXT) | instid1(VALU_DEP_1)
	v_add3_u32 v7, v38, v7, 0x7fff
	v_lshrrev_b32_e32 v7, 16, v7
	s_delay_alu instid0(VALU_DEP_1)
	v_cndmask_b32_e32 v7, 0x7fc0, v7, vcc_lo
	flat_store_b16 v[8:9], v7
.LBB14_5922:
	s_wait_xcnt 0x0
	s_or_b32 exec_lo, exec_lo, s72
	s_delay_alu instid0(SALU_CYCLE_1)
	s_and_not1_b32 s72, s59, exec_lo
	s_and_b32 s74, s74, exec_lo
	s_and_not1_b32 s75, s62, exec_lo
	s_and_b32 s63, s63, exec_lo
	s_or_b32 s72, s72, s74
	s_or_b32 s63, s75, s63
                                        ; implicit-def: $vgpr7
                                        ; implicit-def: $vgpr38
                                        ; implicit-def: $vgpr8_vgpr9
.LBB14_5923:
	s_and_not1_saveexec_b32 s73, s73
	s_cbranch_execz .LBB14_5927
; %bb.5924:
	s_mov_b32 s75, -1
	s_mov_b32 s74, s63
	s_mov_b32 s76, exec_lo
	v_cmpx_eq_u16_e32 11, v7
	s_cbranch_execz .LBB14_5926
; %bb.5925:
	v_cmp_neq_f32_e32 vcc_lo, 0, v38
	s_xor_b32 s75, exec_lo, -1
	s_or_b32 s74, s63, exec_lo
	v_cndmask_b32_e64 v7, 0, 1, vcc_lo
	flat_store_b8 v[8:9], v7
.LBB14_5926:
	s_wait_xcnt 0x0
	s_or_b32 exec_lo, exec_lo, s76
	s_delay_alu instid0(SALU_CYCLE_1)
	s_and_not1_b32 s72, s72, exec_lo
	s_and_b32 s75, s75, exec_lo
	s_and_not1_b32 s63, s63, exec_lo
	s_and_b32 s74, s74, exec_lo
	s_or_b32 s72, s72, s75
	s_or_b32 s63, s63, s74
.LBB14_5927:
	s_or_b32 exec_lo, exec_lo, s73
	s_delay_alu instid0(SALU_CYCLE_1)
	s_and_not1_b32 s73, s59, exec_lo
	s_and_b32 s72, s72, exec_lo
	s_and_not1_b32 s62, s62, exec_lo
	s_and_b32 s74, s63, exec_lo
	s_or_b32 s63, s73, s72
	s_or_b32 s62, s62, s74
.LBB14_5928:
	s_or_b32 exec_lo, exec_lo, s61
	s_delay_alu instid0(SALU_CYCLE_1)
	s_and_not1_b32 s59, s59, exec_lo
	s_and_b32 s61, s63, exec_lo
	s_and_not1_b32 s0, s0, exec_lo
	s_and_b32 s62, s62, exec_lo
	s_or_b32 s59, s59, s61
	s_or_b32 s0, s0, s62
.LBB14_5929:
	s_or_b32 exec_lo, exec_lo, s60
	s_delay_alu instid0(SALU_CYCLE_1)
	s_and_not1_b32 s60, s46, exec_lo
	s_and_b32 s59, s59, exec_lo
	s_and_b32 s0, s0, exec_lo
	s_or_b32 s59, s60, s59
                                        ; implicit-def: $vgpr7
                                        ; implicit-def: $vgpr38
                                        ; implicit-def: $vgpr8_vgpr9
.LBB14_5930:
	s_and_not1_saveexec_b32 s56, s56
	s_cbranch_execz .LBB14_5972
; %bb.5931:
	s_mov_b32 s60, exec_lo
	v_cmpx_lt_i16_e32 4, v7
	s_xor_b32 s60, exec_lo, s60
	s_cbranch_execz .LBB14_5953
; %bb.5932:
	s_mov_b32 s61, exec_lo
	v_cmpx_lt_i16_e32 7, v7
	s_xor_b32 s61, exec_lo, s61
	;; [unrolled: 5-line block ×4, first 2 shown]
	s_cbranch_execz .LBB14_5936
; %bb.5935:
	v_cvt_f64_f32_e32 v[48:49], v38
	v_mov_b32_e32 v50, 0
                                        ; implicit-def: $vgpr38
	s_delay_alu instid0(VALU_DEP_1)
	v_mov_b32_e32 v51, v50
	flat_store_b128 v[8:9], v[48:51]
                                        ; implicit-def: $vgpr8_vgpr9
.LBB14_5936:
	s_wait_xcnt 0x0
	s_and_not1_saveexec_b32 s63, s63
	s_cbranch_execz .LBB14_5938
; %bb.5937:
	v_mov_b32_e32 v39, 0
	flat_store_b64 v[8:9], v[38:39]
.LBB14_5938:
	s_wait_xcnt 0x0
	s_or_b32 exec_lo, exec_lo, s63
                                        ; implicit-def: $vgpr38
                                        ; implicit-def: $vgpr8_vgpr9
.LBB14_5939:
	s_and_not1_saveexec_b32 s62, s62
	s_cbranch_execz .LBB14_5941
; %bb.5940:
	v_cvt_f16_f32_e32 v7, v38
	s_delay_alu instid0(VALU_DEP_1)
	v_and_b32_e32 v7, 0xffff, v7
	flat_store_b32 v[8:9], v7
.LBB14_5941:
	s_wait_xcnt 0x0
	s_or_b32 exec_lo, exec_lo, s62
                                        ; implicit-def: $vgpr38
                                        ; implicit-def: $vgpr8_vgpr9
                                        ; implicit-def: $vgpr7
.LBB14_5942:
	s_and_not1_saveexec_b32 s61, s61
	s_cbranch_execz .LBB14_5952
; %bb.5943:
	s_mov_b32 s62, exec_lo
	v_cmpx_lt_i16_e32 5, v7
	s_xor_b32 s62, exec_lo, s62
	s_cbranch_execz .LBB14_5949
; %bb.5944:
	s_mov_b32 s63, exec_lo
	v_cmpx_lt_i16_e32 6, v7
	s_xor_b32 s63, exec_lo, s63
	s_cbranch_execz .LBB14_5946
; %bb.5945:
	v_cvt_f64_f32_e32 v[38:39], v38
	flat_store_b64 v[8:9], v[38:39]
                                        ; implicit-def: $vgpr8_vgpr9
                                        ; implicit-def: $vgpr38
.LBB14_5946:
	s_wait_xcnt 0x0
	s_and_not1_saveexec_b32 s63, s63
	s_cbranch_execz .LBB14_5948
; %bb.5947:
	flat_store_b32 v[8:9], v38
.LBB14_5948:
	s_wait_xcnt 0x0
	s_or_b32 exec_lo, exec_lo, s63
                                        ; implicit-def: $vgpr38
                                        ; implicit-def: $vgpr8_vgpr9
.LBB14_5949:
	s_and_not1_saveexec_b32 s62, s62
	s_cbranch_execz .LBB14_5951
; %bb.5950:
	v_cvt_f16_f32_e32 v7, v38
	flat_store_b16 v[8:9], v7
.LBB14_5951:
	s_wait_xcnt 0x0
	s_or_b32 exec_lo, exec_lo, s62
.LBB14_5952:
	s_delay_alu instid0(SALU_CYCLE_1)
	s_or_b32 exec_lo, exec_lo, s61
                                        ; implicit-def: $vgpr7
                                        ; implicit-def: $vgpr38
                                        ; implicit-def: $vgpr8_vgpr9
.LBB14_5953:
	s_and_not1_saveexec_b32 s60, s60
	s_cbranch_execz .LBB14_5971
; %bb.5954:
	s_mov_b32 s61, exec_lo
	v_cmpx_lt_i16_e32 1, v7
	s_xor_b32 s61, exec_lo, s61
	s_cbranch_execz .LBB14_5964
; %bb.5955:
	s_mov_b32 s62, exec_lo
	v_cmpx_lt_i16_e32 2, v7
	s_xor_b32 s62, exec_lo, s62
	;; [unrolled: 5-line block ×3, first 2 shown]
	s_cbranch_execz .LBB14_5958
; %bb.5957:
	v_trunc_f32_e32 v7, v38
	s_delay_alu instid0(VALU_DEP_1) | instskip(SKIP_1) | instid1(VALU_DEP_2)
	v_mul_f32_e64 v10, 0x2f800000, |v7|
	v_ashrrev_i32_e32 v38, 31, v7
	v_floor_f32_e32 v10, v10
	s_delay_alu instid0(VALU_DEP_1) | instskip(SKIP_1) | instid1(VALU_DEP_2)
	v_fma_f32 v39, 0xcf800000, v10, |v7|
	v_cvt_u32_f32_e32 v7, v10
	v_cvt_u32_f32_e32 v10, v39
	s_delay_alu instid0(VALU_DEP_2) | instskip(NEXT) | instid1(VALU_DEP_2)
	v_dual_mov_b32 v39, v38 :: v_dual_bitop2_b32 v49, v7, v38 bitop3:0x14
	v_xor_b32_e32 v48, v10, v38
	s_delay_alu instid0(VALU_DEP_1)
	v_sub_nc_u64_e32 v[38:39], v[48:49], v[38:39]
	flat_store_b64 v[8:9], v[38:39]
                                        ; implicit-def: $vgpr38
                                        ; implicit-def: $vgpr8_vgpr9
.LBB14_5958:
	s_wait_xcnt 0x0
	s_and_not1_saveexec_b32 s63, s63
	s_cbranch_execz .LBB14_5960
; %bb.5959:
	v_cvt_i32_f32_e32 v7, v38
	flat_store_b32 v[8:9], v7
.LBB14_5960:
	s_wait_xcnt 0x0
	s_or_b32 exec_lo, exec_lo, s63
                                        ; implicit-def: $vgpr38
                                        ; implicit-def: $vgpr8_vgpr9
.LBB14_5961:
	s_and_not1_saveexec_b32 s62, s62
	s_cbranch_execz .LBB14_5963
; %bb.5962:
	v_cvt_i32_f32_e32 v7, v38
	flat_store_b16 v[8:9], v7
.LBB14_5963:
	s_wait_xcnt 0x0
	s_or_b32 exec_lo, exec_lo, s62
                                        ; implicit-def: $vgpr38
                                        ; implicit-def: $vgpr8_vgpr9
                                        ; implicit-def: $vgpr7
.LBB14_5964:
	s_and_not1_saveexec_b32 s61, s61
	s_cbranch_execz .LBB14_5970
; %bb.5965:
	s_mov_b32 s62, exec_lo
	v_cmpx_lt_i16_e32 0, v7
	s_xor_b32 s62, exec_lo, s62
	s_cbranch_execz .LBB14_5967
; %bb.5966:
	v_cvt_i32_f32_e32 v7, v38
                                        ; implicit-def: $vgpr38
	flat_store_b8 v[8:9], v7
                                        ; implicit-def: $vgpr8_vgpr9
.LBB14_5967:
	s_wait_xcnt 0x0
	s_and_not1_saveexec_b32 s62, s62
	s_cbranch_execz .LBB14_5969
; %bb.5968:
	v_trunc_f32_e32 v7, v38
	s_delay_alu instid0(VALU_DEP_1) | instskip(NEXT) | instid1(VALU_DEP_1)
	v_mul_f32_e64 v10, 0x2f800000, |v7|
	v_floor_f32_e32 v10, v10
	s_delay_alu instid0(VALU_DEP_1) | instskip(SKIP_1) | instid1(VALU_DEP_2)
	v_fma_f32 v10, 0xcf800000, v10, |v7|
	v_ashrrev_i32_e32 v7, 31, v7
	v_cvt_u32_f32_e32 v10, v10
	s_delay_alu instid0(VALU_DEP_1) | instskip(NEXT) | instid1(VALU_DEP_1)
	v_xor_b32_e32 v10, v10, v7
	v_sub_nc_u32_e32 v7, v10, v7
	flat_store_b8 v[8:9], v7
.LBB14_5969:
	s_wait_xcnt 0x0
	s_or_b32 exec_lo, exec_lo, s62
.LBB14_5970:
	s_delay_alu instid0(SALU_CYCLE_1)
	s_or_b32 exec_lo, exec_lo, s61
.LBB14_5971:
	s_delay_alu instid0(SALU_CYCLE_1) | instskip(NEXT) | instid1(SALU_CYCLE_1)
	s_or_b32 exec_lo, exec_lo, s60
	s_or_b32 s0, s0, exec_lo
.LBB14_5972:
	s_or_b32 exec_lo, exec_lo, s56
	s_mov_b32 s60, 0
	s_mov_b32 s56, 0
	s_and_saveexec_b32 s61, s0
; %bb.5973:
	v_add_nc_u32_e32 v13, 0x200, v13
	s_mov_b32 s60, exec_lo
	s_delay_alu instid0(VALU_DEP_1)
	v_cmp_lt_i32_e32 vcc_lo, v13, v6
	s_and_b32 s56, vcc_lo, exec_lo
; %bb.5974:
	s_or_b32 exec_lo, exec_lo, s61
	s_delay_alu instid0(SALU_CYCLE_1)
	s_and_not1_b32 s61, s46, exec_lo
	s_and_b32 s59, s59, exec_lo
	s_and_b32 s0, s56, exec_lo
	s_or_b32 s56, s61, s59
	s_or_not1_b32 s60, s60, exec_lo
.LBB14_5975:
	s_or_b32 exec_lo, exec_lo, s57
	s_mov_b32 s59, 0
	s_mov_b32 s61, 0
                                        ; implicit-def: $vgpr8
                                        ; implicit-def: $vgpr7
                                        ; implicit-def: $vgpr38_vgpr39
	s_and_saveexec_b32 s57, s60
	s_cbranch_execz .LBB14_7747
; %bb.5976:
	s_mov_b32 s62, -1
	s_mov_b32 s60, 0
	s_mov_b32 s58, s56
	;; [unrolled: 1-line block ×3, first 2 shown]
	s_and_saveexec_b32 s59, s0
	s_cbranch_execz .LBB14_6104
; %bb.5977:
	v_dual_add_nc_u32 v7, s2, v13 :: v_dual_mov_b32 v9, 0
	s_wait_loadcnt 0x6
	v_mul_f32_e32 v10, v34, v35
	v_cmp_lt_f32_e32 vcc_lo, 0, v35
	s_mov_b32 s0, 0
	v_mul_lo_u32 v8, v7, v12
	v_and_b32_e32 v7, 0xff, v11
	s_mov_b32 s61, s56
	v_cndmask_b32_e32 v34, v10, v35, vcc_lo
	s_mov_b32 s58, exec_lo
	s_delay_alu instid0(VALU_DEP_3)
	v_add_nc_u64_e32 v[8:9], v[0:1], v[8:9]
	v_cmpx_lt_i16_e32 10, v7
	s_xor_b32 s58, exec_lo, s58
	s_cbranch_execz .LBB14_6059
; %bb.5978:
	s_mov_b32 s61, s56
	s_mov_b32 s62, exec_lo
	v_cmpx_lt_i16_e32 25, v7
	s_xor_b32 s62, exec_lo, s62
	s_cbranch_execz .LBB14_6014
; %bb.5979:
	s_mov_b32 s63, s56
	s_mov_b32 s61, exec_lo
	;; [unrolled: 6-line block ×3, first 2 shown]
	v_cmpx_lt_i16_e32 43, v7
	s_xor_b32 s63, exec_lo, s63
	s_cbranch_execz .LBB14_5992
; %bb.5981:
	s_mov_b32 s72, 0
	s_mov_b32 s73, s56
	s_mov_b32 s0, exec_lo
	v_cmpx_lt_i16_e32 45, v7
	s_xor_b32 s0, exec_lo, s0
	s_cbranch_execz .LBB14_5985
; %bb.5982:
	s_mov_b32 s74, -1
	s_mov_b32 s73, exec_lo
	v_cmpx_eq_u16_e32 46, v7
	s_cbranch_execz .LBB14_5984
; %bb.5983:
	v_bfe_u32 v7, v34, 16, 1
	v_cmp_o_f32_e32 vcc_lo, v34, v34
	s_mov_b32 s72, exec_lo
	s_xor_b32 s74, exec_lo, -1
	s_delay_alu instid0(VALU_DEP_2) | instskip(NEXT) | instid1(VALU_DEP_1)
	v_add3_u32 v7, v34, v7, 0x7fff
	v_lshrrev_b32_e32 v7, 16, v7
	s_delay_alu instid0(VALU_DEP_1)
	v_cndmask_b32_e32 v7, 0x7fc0, v7, vcc_lo
	flat_store_b32 v[8:9], v7
.LBB14_5984:
	s_wait_xcnt 0x0
	s_or_b32 exec_lo, exec_lo, s73
	s_delay_alu instid0(SALU_CYCLE_1)
	s_and_not1_b32 s73, s56, exec_lo
	s_and_b32 s74, s74, exec_lo
	s_and_b32 s72, s72, exec_lo
	s_or_b32 s73, s73, s74
                                        ; implicit-def: $vgpr7
                                        ; implicit-def: $vgpr8_vgpr9
                                        ; implicit-def: $vgpr34
.LBB14_5985:
	s_and_not1_saveexec_b32 s74, s0
	s_cbranch_execz .LBB14_5991
; %bb.5986:
	s_mov_b32 s76, -1
	s_mov_b32 s0, s72
	s_mov_b32 s75, exec_lo
	v_cmpx_eq_u16_e32 44, v7
	s_cbranch_execz .LBB14_5990
; %bb.5987:
	v_bfe_u32 v10, v34, 23, 8
	v_mov_b32_e32 v7, 0xff
	s_mov_b32 s76, exec_lo
	s_delay_alu instid0(VALU_DEP_2)
	v_cmpx_ne_u32_e32 0xff, v10
	s_cbranch_execz .LBB14_5989
; %bb.5988:
	v_and_b32_e32 v7, 0x400000, v34
	v_and_or_b32 v10, 0x3fffff, v34, v10
	s_delay_alu instid0(VALU_DEP_2) | instskip(NEXT) | instid1(VALU_DEP_2)
	v_cmp_ne_u32_e32 vcc_lo, 0, v7
	v_cmp_ne_u32_e64 s0, 0, v10
	v_lshrrev_b32_e32 v7, 23, v34
	s_and_b32 s0, vcc_lo, s0
	s_delay_alu instid0(SALU_CYCLE_1) | instskip(NEXT) | instid1(VALU_DEP_1)
	v_cndmask_b32_e64 v10, 0, 1, s0
	v_add_nc_u32_e32 v7, v7, v10
.LBB14_5989:
	s_or_b32 exec_lo, exec_lo, s76
	s_delay_alu instid0(SALU_CYCLE_1)
	s_xor_b32 s76, exec_lo, -1
	s_or_b32 s0, s72, exec_lo
	flat_store_b8 v[8:9], v7
.LBB14_5990:
	s_wait_xcnt 0x0
	s_or_b32 exec_lo, exec_lo, s75
	s_delay_alu instid0(SALU_CYCLE_1)
	s_and_not1_b32 s73, s73, exec_lo
	s_and_b32 s75, s76, exec_lo
	s_and_not1_b32 s72, s72, exec_lo
	s_and_b32 s0, s0, exec_lo
	s_or_b32 s73, s73, s75
	s_or_b32 s72, s72, s0
.LBB14_5991:
	s_or_b32 exec_lo, exec_lo, s74
	s_delay_alu instid0(SALU_CYCLE_1) | instskip(SKIP_1) | instid1(SALU_CYCLE_1)
	s_and_not1_b32 s0, s56, exec_lo
	s_and_b32 s73, s73, exec_lo
                                        ; implicit-def: $vgpr7
                                        ; implicit-def: $vgpr34
                                        ; implicit-def: $vgpr8_vgpr9
	s_or_b32 s73, s0, s73
	s_and_b32 s0, s72, exec_lo
.LBB14_5992:
	s_and_not1_saveexec_b32 s63, s63
	s_cbranch_execz .LBB14_5996
; %bb.5993:
	s_mov_b32 s75, -1
	s_mov_b32 s74, s0
	s_mov_b32 s72, exec_lo
	v_cmpx_eq_u16_e32 29, v7
	s_cbranch_execz .LBB14_5995
; %bb.5994:
	v_trunc_f32_e32 v7, v34
	s_xor_b32 s75, exec_lo, -1
	s_or_b32 s74, s0, exec_lo
	s_delay_alu instid0(VALU_DEP_1) | instskip(NEXT) | instid1(VALU_DEP_1)
	v_mul_f32_e32 v10, 0x2f800000, v7
	v_floor_f32_e32 v10, v10
	s_delay_alu instid0(VALU_DEP_1) | instskip(SKIP_1) | instid1(VALU_DEP_2)
	v_fmamk_f32 v7, v10, 0xcf800000, v7
	v_cvt_u32_f32_e32 v35, v10
	v_cvt_u32_f32_e32 v34, v7
	flat_store_b64 v[8:9], v[34:35]
.LBB14_5995:
	s_wait_xcnt 0x0
	s_or_b32 exec_lo, exec_lo, s72
	s_delay_alu instid0(SALU_CYCLE_1)
	s_and_not1_b32 s72, s73, exec_lo
	s_and_b32 s73, s75, exec_lo
	s_and_not1_b32 s0, s0, exec_lo
	s_and_b32 s74, s74, exec_lo
	s_or_b32 s73, s72, s73
	s_or_b32 s0, s0, s74
.LBB14_5996:
	s_or_b32 exec_lo, exec_lo, s63
	s_delay_alu instid0(SALU_CYCLE_1)
	s_and_not1_b32 s63, s56, exec_lo
	s_and_b32 s72, s73, exec_lo
	s_and_b32 s0, s0, exec_lo
	s_or_b32 s63, s63, s72
                                        ; implicit-def: $vgpr8_vgpr9
                                        ; implicit-def: $vgpr7
                                        ; implicit-def: $vgpr34
.LBB14_5997:
	s_and_not1_saveexec_b32 s61, s61
	s_cbranch_execz .LBB14_6013
; %bb.5998:
	s_mov_b32 s72, exec_lo
	v_cmpx_lt_i16_e32 26, v7
	s_xor_b32 s72, exec_lo, s72
	s_cbranch_execz .LBB14_6004
; %bb.5999:
	v_cmp_lt_i16_e32 vcc_lo, 27, v7
	v_cvt_u32_f32_e32 v7, v34
	s_and_saveexec_b32 s73, vcc_lo
	s_delay_alu instid0(SALU_CYCLE_1)
	s_xor_b32 s73, exec_lo, s73
	s_cbranch_execz .LBB14_6001
; %bb.6000:
	flat_store_b32 v[8:9], v7
                                        ; implicit-def: $vgpr8_vgpr9
                                        ; implicit-def: $vgpr7
.LBB14_6001:
	s_wait_xcnt 0x0
	s_and_not1_saveexec_b32 s73, s73
	s_cbranch_execz .LBB14_6003
; %bb.6002:
	flat_store_b16 v[8:9], v7
.LBB14_6003:
	s_wait_xcnt 0x0
	s_or_b32 exec_lo, exec_lo, s73
                                        ; implicit-def: $vgpr8_vgpr9
                                        ; implicit-def: $vgpr34
.LBB14_6004:
	s_and_not1_saveexec_b32 s72, s72
	s_cbranch_execz .LBB14_6012
; %bb.6005:
	v_and_b32_e32 v7, 0x7fffffff, v34
	v_mov_b32_e32 v10, 0x80
	s_mov_b32 s73, exec_lo
	s_delay_alu instid0(VALU_DEP_2)
	v_cmpx_gt_u32_e32 0x43800000, v7
	s_cbranch_execz .LBB14_6011
; %bb.6006:
	v_cmp_lt_u32_e32 vcc_lo, 0x3bffffff, v7
	s_mov_b32 s74, 0
                                        ; implicit-def: $vgpr7
	s_and_saveexec_b32 s75, vcc_lo
	s_delay_alu instid0(SALU_CYCLE_1)
	s_xor_b32 s75, exec_lo, s75
	s_cbranch_execnz .LBB14_7887
; %bb.6007:
	s_and_not1_saveexec_b32 s75, s75
	s_cbranch_execnz .LBB14_7888
.LBB14_6008:
	s_or_b32 exec_lo, exec_lo, s75
	v_mov_b32_e32 v10, 0
	s_and_saveexec_b32 s75, s74
.LBB14_6009:
	v_lshrrev_b32_e32 v10, 24, v34
	s_delay_alu instid0(VALU_DEP_1)
	v_and_or_b32 v10, 0x80, v10, v7
.LBB14_6010:
	s_or_b32 exec_lo, exec_lo, s75
.LBB14_6011:
	s_delay_alu instid0(SALU_CYCLE_1)
	s_or_b32 exec_lo, exec_lo, s73
	flat_store_b8 v[8:9], v10
.LBB14_6012:
	s_wait_xcnt 0x0
	s_or_b32 exec_lo, exec_lo, s72
	s_delay_alu instid0(SALU_CYCLE_1)
	s_or_b32 s0, s0, exec_lo
.LBB14_6013:
	s_or_b32 exec_lo, exec_lo, s61
	s_delay_alu instid0(SALU_CYCLE_1)
	s_and_not1_b32 s61, s56, exec_lo
	s_and_b32 s63, s63, exec_lo
	s_and_b32 s0, s0, exec_lo
	s_or_b32 s61, s61, s63
                                        ; implicit-def: $vgpr7
                                        ; implicit-def: $vgpr34
                                        ; implicit-def: $vgpr8_vgpr9
.LBB14_6014:
	s_and_not1_saveexec_b32 s62, s62
	s_cbranch_execz .LBB14_6058
; %bb.6015:
	s_mov_b32 s72, s0
	s_mov_b32 s63, exec_lo
	v_cmpx_lt_i16_e32 22, v7
	s_xor_b32 s63, exec_lo, s63
	s_cbranch_execz .LBB14_6047
; %bb.6016:
	s_mov_b32 s72, exec_lo
	v_cmpx_lt_i16_e32 23, v7
	s_xor_b32 s72, exec_lo, s72
	s_cbranch_execz .LBB14_6036
; %bb.6017:
	;; [unrolled: 5-line block ×3, first 2 shown]
	v_and_b32_e32 v7, 0x7fffffff, v34
	v_mov_b32_e32 v10, 0x80
	s_mov_b32 s74, exec_lo
	s_delay_alu instid0(VALU_DEP_2)
	v_cmpx_gt_u32_e32 0x47800000, v7
	s_cbranch_execz .LBB14_6024
; %bb.6019:
	v_cmp_lt_u32_e32 vcc_lo, 0x37ffffff, v7
	s_mov_b32 s75, 0
                                        ; implicit-def: $vgpr7
	s_and_saveexec_b32 s76, vcc_lo
	s_delay_alu instid0(SALU_CYCLE_1)
	s_xor_b32 s76, exec_lo, s76
	s_cbranch_execnz .LBB14_7889
; %bb.6020:
	s_and_not1_saveexec_b32 s76, s76
	s_cbranch_execnz .LBB14_7890
.LBB14_6021:
	s_or_b32 exec_lo, exec_lo, s76
	v_mov_b32_e32 v10, 0
	s_and_saveexec_b32 s76, s75
.LBB14_6022:
	v_lshrrev_b32_e32 v10, 24, v34
	s_delay_alu instid0(VALU_DEP_1)
	v_and_or_b32 v10, 0x80, v10, v7
.LBB14_6023:
	s_or_b32 exec_lo, exec_lo, s76
.LBB14_6024:
	s_delay_alu instid0(SALU_CYCLE_1)
	s_or_b32 exec_lo, exec_lo, s74
	flat_store_b8 v[8:9], v10
                                        ; implicit-def: $vgpr34
                                        ; implicit-def: $vgpr8_vgpr9
.LBB14_6025:
	s_wait_xcnt 0x0
	s_and_not1_saveexec_b32 s73, s73
	s_cbranch_execz .LBB14_6035
; %bb.6026:
	v_and_b32_e32 v10, 0x7fffffff, v34
	s_mov_b32 s74, exec_lo
                                        ; implicit-def: $vgpr7
	s_delay_alu instid0(VALU_DEP_1)
	v_cmpx_gt_u32_e32 0x43f00000, v10
	s_xor_b32 s74, exec_lo, s74
	s_cbranch_execz .LBB14_6032
; %bb.6027:
	s_mov_b32 s75, exec_lo
                                        ; implicit-def: $vgpr7
	v_cmpx_lt_u32_e32 0x3c7fffff, v10
	s_xor_b32 s75, exec_lo, s75
; %bb.6028:
	v_bfe_u32 v7, v34, 20, 1
	s_delay_alu instid0(VALU_DEP_1) | instskip(NEXT) | instid1(VALU_DEP_1)
	v_add3_u32 v7, v34, v7, 0x407ffff
	v_and_b32_e32 v10, 0xff00000, v7
	v_lshrrev_b32_e32 v7, 20, v7
	s_delay_alu instid0(VALU_DEP_2) | instskip(NEXT) | instid1(VALU_DEP_2)
	v_cmp_ne_u32_e32 vcc_lo, 0x7f00000, v10
	v_cndmask_b32_e32 v7, 0x7e, v7, vcc_lo
; %bb.6029:
	s_and_not1_saveexec_b32 s75, s75
; %bb.6030:
	v_add_f32_e64 v7, 0x46800000, |v34|
; %bb.6031:
	s_or_b32 exec_lo, exec_lo, s75
                                        ; implicit-def: $vgpr10
.LBB14_6032:
	s_and_not1_saveexec_b32 s74, s74
; %bb.6033:
	v_mov_b32_e32 v7, 0x7f
	v_cmp_lt_u32_e32 vcc_lo, 0x7f800000, v10
	s_delay_alu instid0(VALU_DEP_2)
	v_cndmask_b32_e32 v7, 0x7e, v7, vcc_lo
; %bb.6034:
	s_or_b32 exec_lo, exec_lo, s74
	v_lshrrev_b32_e32 v10, 24, v34
	s_delay_alu instid0(VALU_DEP_1)
	v_and_or_b32 v7, 0x80, v10, v7
	flat_store_b8 v[8:9], v7
.LBB14_6035:
	s_wait_xcnt 0x0
	s_or_b32 exec_lo, exec_lo, s73
                                        ; implicit-def: $vgpr34
                                        ; implicit-def: $vgpr8_vgpr9
.LBB14_6036:
	s_and_not1_saveexec_b32 s72, s72
	s_cbranch_execz .LBB14_6046
; %bb.6037:
	v_and_b32_e32 v10, 0x7fffffff, v34
	s_mov_b32 s73, exec_lo
                                        ; implicit-def: $vgpr7
	s_delay_alu instid0(VALU_DEP_1)
	v_cmpx_gt_u32_e32 0x47800000, v10
	s_xor_b32 s73, exec_lo, s73
	s_cbranch_execz .LBB14_6043
; %bb.6038:
	s_mov_b32 s74, exec_lo
                                        ; implicit-def: $vgpr7
	v_cmpx_lt_u32_e32 0x387fffff, v10
	s_xor_b32 s74, exec_lo, s74
; %bb.6039:
	v_bfe_u32 v7, v34, 21, 1
	s_delay_alu instid0(VALU_DEP_1) | instskip(NEXT) | instid1(VALU_DEP_1)
	v_add3_u32 v7, v34, v7, 0x80fffff
	v_lshrrev_b32_e32 v7, 21, v7
; %bb.6040:
	s_and_not1_saveexec_b32 s74, s74
; %bb.6041:
	v_add_f32_e64 v7, 0x43000000, |v34|
; %bb.6042:
	s_or_b32 exec_lo, exec_lo, s74
                                        ; implicit-def: $vgpr10
.LBB14_6043:
	s_and_not1_saveexec_b32 s73, s73
; %bb.6044:
	v_mov_b32_e32 v7, 0x7f
	v_cmp_lt_u32_e32 vcc_lo, 0x7f800000, v10
	s_delay_alu instid0(VALU_DEP_2)
	v_cndmask_b32_e32 v7, 0x7c, v7, vcc_lo
; %bb.6045:
	s_or_b32 exec_lo, exec_lo, s73
	v_lshrrev_b32_e32 v10, 24, v34
	s_delay_alu instid0(VALU_DEP_1)
	v_and_or_b32 v7, 0x80, v10, v7
	flat_store_b8 v[8:9], v7
.LBB14_6046:
	s_wait_xcnt 0x0
	s_or_b32 exec_lo, exec_lo, s72
	s_delay_alu instid0(SALU_CYCLE_1)
	s_or_b32 s72, s0, exec_lo
                                        ; implicit-def: $vgpr7
                                        ; implicit-def: $vgpr34
                                        ; implicit-def: $vgpr8_vgpr9
.LBB14_6047:
	s_or_saveexec_b32 s63, s63
	s_mov_b32 s73, s61
	s_xor_b32 exec_lo, exec_lo, s63
	s_cbranch_execz .LBB14_6057
; %bb.6048:
	s_mov_b32 s73, s72
	s_mov_b32 s74, s61
	s_mov_b32 s75, exec_lo
	v_cmpx_lt_i16_e32 14, v7
	s_xor_b32 s75, exec_lo, s75
	s_cbranch_execz .LBB14_6052
; %bb.6049:
	s_mov_b32 s76, -1
	s_mov_b32 s73, s72
	s_mov_b32 s74, exec_lo
	v_cmpx_eq_u16_e32 15, v7
	s_cbranch_execz .LBB14_6051
; %bb.6050:
	v_bfe_u32 v7, v34, 16, 1
	v_cmp_o_f32_e32 vcc_lo, v34, v34
	s_xor_b32 s76, exec_lo, -1
	s_or_b32 s73, s72, exec_lo
	s_delay_alu instid0(VALU_DEP_2) | instskip(NEXT) | instid1(VALU_DEP_1)
	v_add3_u32 v7, v34, v7, 0x7fff
	v_lshrrev_b32_e32 v7, 16, v7
	s_delay_alu instid0(VALU_DEP_1)
	v_cndmask_b32_e32 v7, 0x7fc0, v7, vcc_lo
	flat_store_b16 v[8:9], v7
.LBB14_6051:
	s_wait_xcnt 0x0
	s_or_b32 exec_lo, exec_lo, s74
	s_delay_alu instid0(SALU_CYCLE_1)
	s_and_not1_b32 s74, s61, exec_lo
	s_and_b32 s76, s76, exec_lo
	s_and_not1_b32 s77, s72, exec_lo
	s_and_b32 s73, s73, exec_lo
	s_or_b32 s74, s74, s76
	s_or_b32 s73, s77, s73
                                        ; implicit-def: $vgpr7
                                        ; implicit-def: $vgpr34
                                        ; implicit-def: $vgpr8_vgpr9
.LBB14_6052:
	s_and_not1_saveexec_b32 s75, s75
	s_cbranch_execz .LBB14_6056
; %bb.6053:
	s_mov_b32 s77, -1
	s_mov_b32 s76, s73
	s_mov_b32 s78, exec_lo
	v_cmpx_eq_u16_e32 11, v7
	s_cbranch_execz .LBB14_6055
; %bb.6054:
	v_cmp_neq_f32_e32 vcc_lo, 0, v34
	s_xor_b32 s77, exec_lo, -1
	s_or_b32 s76, s73, exec_lo
	v_cndmask_b32_e64 v7, 0, 1, vcc_lo
	flat_store_b8 v[8:9], v7
.LBB14_6055:
	s_wait_xcnt 0x0
	s_or_b32 exec_lo, exec_lo, s78
	s_delay_alu instid0(SALU_CYCLE_1)
	s_and_not1_b32 s74, s74, exec_lo
	s_and_b32 s77, s77, exec_lo
	s_and_not1_b32 s73, s73, exec_lo
	s_and_b32 s76, s76, exec_lo
	s_or_b32 s74, s74, s77
	s_or_b32 s73, s73, s76
.LBB14_6056:
	s_or_b32 exec_lo, exec_lo, s75
	s_delay_alu instid0(SALU_CYCLE_1)
	s_and_not1_b32 s75, s61, exec_lo
	s_and_b32 s74, s74, exec_lo
	s_and_not1_b32 s72, s72, exec_lo
	s_and_b32 s76, s73, exec_lo
	s_or_b32 s73, s75, s74
	s_or_b32 s72, s72, s76
.LBB14_6057:
	s_or_b32 exec_lo, exec_lo, s63
	s_delay_alu instid0(SALU_CYCLE_1)
	s_and_not1_b32 s61, s61, exec_lo
	s_and_b32 s63, s73, exec_lo
	s_and_not1_b32 s0, s0, exec_lo
	s_and_b32 s72, s72, exec_lo
	s_or_b32 s61, s61, s63
	s_or_b32 s0, s0, s72
.LBB14_6058:
	s_or_b32 exec_lo, exec_lo, s62
	s_delay_alu instid0(SALU_CYCLE_1)
	s_and_not1_b32 s62, s56, exec_lo
	s_and_b32 s61, s61, exec_lo
	s_and_b32 s0, s0, exec_lo
	s_or_b32 s61, s62, s61
                                        ; implicit-def: $vgpr7
                                        ; implicit-def: $vgpr34
                                        ; implicit-def: $vgpr8_vgpr9
.LBB14_6059:
	s_and_not1_saveexec_b32 s58, s58
	s_cbranch_execz .LBB14_6101
; %bb.6060:
	s_mov_b32 s62, exec_lo
	v_cmpx_lt_i16_e32 4, v7
	s_xor_b32 s62, exec_lo, s62
	s_cbranch_execz .LBB14_6082
; %bb.6061:
	s_mov_b32 s63, exec_lo
	v_cmpx_lt_i16_e32 7, v7
	s_xor_b32 s63, exec_lo, s63
	s_cbranch_execz .LBB14_6071
; %bb.6062:
	s_mov_b32 s72, exec_lo
	v_cmpx_lt_i16_e32 8, v7
	s_xor_b32 s72, exec_lo, s72
	s_cbranch_execz .LBB14_6068
; %bb.6063:
	s_mov_b32 s73, exec_lo
	v_cmpx_lt_i16_e32 9, v7
	s_xor_b32 s73, exec_lo, s73
	s_cbranch_execz .LBB14_6065
; %bb.6064:
	v_cvt_f64_f32_e32 v[48:49], v34
	v_mov_b32_e32 v50, 0
                                        ; implicit-def: $vgpr34
	s_delay_alu instid0(VALU_DEP_1)
	v_mov_b32_e32 v51, v50
	flat_store_b128 v[8:9], v[48:51]
                                        ; implicit-def: $vgpr8_vgpr9
.LBB14_6065:
	s_wait_xcnt 0x0
	s_and_not1_saveexec_b32 s73, s73
	s_cbranch_execz .LBB14_6067
; %bb.6066:
	v_mov_b32_e32 v35, 0
	flat_store_b64 v[8:9], v[34:35]
.LBB14_6067:
	s_wait_xcnt 0x0
	s_or_b32 exec_lo, exec_lo, s73
                                        ; implicit-def: $vgpr34
                                        ; implicit-def: $vgpr8_vgpr9
.LBB14_6068:
	s_and_not1_saveexec_b32 s72, s72
	s_cbranch_execz .LBB14_6070
; %bb.6069:
	v_cvt_f16_f32_e32 v7, v34
	s_delay_alu instid0(VALU_DEP_1)
	v_and_b32_e32 v7, 0xffff, v7
	flat_store_b32 v[8:9], v7
.LBB14_6070:
	s_wait_xcnt 0x0
	s_or_b32 exec_lo, exec_lo, s72
                                        ; implicit-def: $vgpr34
                                        ; implicit-def: $vgpr8_vgpr9
                                        ; implicit-def: $vgpr7
.LBB14_6071:
	s_and_not1_saveexec_b32 s63, s63
	s_cbranch_execz .LBB14_6081
; %bb.6072:
	s_mov_b32 s72, exec_lo
	v_cmpx_lt_i16_e32 5, v7
	s_xor_b32 s72, exec_lo, s72
	s_cbranch_execz .LBB14_6078
; %bb.6073:
	s_mov_b32 s73, exec_lo
	v_cmpx_lt_i16_e32 6, v7
	s_xor_b32 s73, exec_lo, s73
	s_cbranch_execz .LBB14_6075
; %bb.6074:
	v_cvt_f64_f32_e32 v[34:35], v34
	flat_store_b64 v[8:9], v[34:35]
                                        ; implicit-def: $vgpr8_vgpr9
                                        ; implicit-def: $vgpr34
.LBB14_6075:
	s_wait_xcnt 0x0
	s_and_not1_saveexec_b32 s73, s73
	s_cbranch_execz .LBB14_6077
; %bb.6076:
	flat_store_b32 v[8:9], v34
.LBB14_6077:
	s_wait_xcnt 0x0
	s_or_b32 exec_lo, exec_lo, s73
                                        ; implicit-def: $vgpr34
                                        ; implicit-def: $vgpr8_vgpr9
.LBB14_6078:
	s_and_not1_saveexec_b32 s72, s72
	s_cbranch_execz .LBB14_6080
; %bb.6079:
	v_cvt_f16_f32_e32 v7, v34
	flat_store_b16 v[8:9], v7
.LBB14_6080:
	s_wait_xcnt 0x0
	s_or_b32 exec_lo, exec_lo, s72
.LBB14_6081:
	s_delay_alu instid0(SALU_CYCLE_1)
	s_or_b32 exec_lo, exec_lo, s63
                                        ; implicit-def: $vgpr7
                                        ; implicit-def: $vgpr34
                                        ; implicit-def: $vgpr8_vgpr9
.LBB14_6082:
	s_and_not1_saveexec_b32 s62, s62
	s_cbranch_execz .LBB14_6100
; %bb.6083:
	s_mov_b32 s63, exec_lo
	v_cmpx_lt_i16_e32 1, v7
	s_xor_b32 s63, exec_lo, s63
	s_cbranch_execz .LBB14_6093
; %bb.6084:
	s_mov_b32 s72, exec_lo
	v_cmpx_lt_i16_e32 2, v7
	s_xor_b32 s72, exec_lo, s72
	;; [unrolled: 5-line block ×3, first 2 shown]
	s_cbranch_execz .LBB14_6087
; %bb.6086:
	v_trunc_f32_e32 v7, v34
	s_delay_alu instid0(VALU_DEP_1) | instskip(SKIP_1) | instid1(VALU_DEP_2)
	v_mul_f32_e64 v10, 0x2f800000, |v7|
	v_ashrrev_i32_e32 v34, 31, v7
	v_floor_f32_e32 v10, v10
	s_delay_alu instid0(VALU_DEP_1) | instskip(SKIP_1) | instid1(VALU_DEP_2)
	v_fma_f32 v35, 0xcf800000, v10, |v7|
	v_cvt_u32_f32_e32 v7, v10
	v_cvt_u32_f32_e32 v10, v35
	s_delay_alu instid0(VALU_DEP_2) | instskip(NEXT) | instid1(VALU_DEP_2)
	v_dual_mov_b32 v35, v34 :: v_dual_bitop2_b32 v39, v7, v34 bitop3:0x14
	v_xor_b32_e32 v38, v10, v34
	s_delay_alu instid0(VALU_DEP_1)
	v_sub_nc_u64_e32 v[34:35], v[38:39], v[34:35]
	flat_store_b64 v[8:9], v[34:35]
                                        ; implicit-def: $vgpr34
                                        ; implicit-def: $vgpr8_vgpr9
.LBB14_6087:
	s_wait_xcnt 0x0
	s_and_not1_saveexec_b32 s73, s73
	s_cbranch_execz .LBB14_6089
; %bb.6088:
	v_cvt_i32_f32_e32 v7, v34
	flat_store_b32 v[8:9], v7
.LBB14_6089:
	s_wait_xcnt 0x0
	s_or_b32 exec_lo, exec_lo, s73
                                        ; implicit-def: $vgpr34
                                        ; implicit-def: $vgpr8_vgpr9
.LBB14_6090:
	s_and_not1_saveexec_b32 s72, s72
	s_cbranch_execz .LBB14_6092
; %bb.6091:
	v_cvt_i32_f32_e32 v7, v34
	flat_store_b16 v[8:9], v7
.LBB14_6092:
	s_wait_xcnt 0x0
	s_or_b32 exec_lo, exec_lo, s72
                                        ; implicit-def: $vgpr34
                                        ; implicit-def: $vgpr8_vgpr9
                                        ; implicit-def: $vgpr7
.LBB14_6093:
	s_and_not1_saveexec_b32 s63, s63
	s_cbranch_execz .LBB14_6099
; %bb.6094:
	s_mov_b32 s72, exec_lo
	v_cmpx_lt_i16_e32 0, v7
	s_xor_b32 s72, exec_lo, s72
	s_cbranch_execz .LBB14_6096
; %bb.6095:
	v_cvt_i32_f32_e32 v7, v34
                                        ; implicit-def: $vgpr34
	flat_store_b8 v[8:9], v7
                                        ; implicit-def: $vgpr8_vgpr9
.LBB14_6096:
	s_wait_xcnt 0x0
	s_and_not1_saveexec_b32 s72, s72
	s_cbranch_execz .LBB14_6098
; %bb.6097:
	v_trunc_f32_e32 v7, v34
	s_delay_alu instid0(VALU_DEP_1) | instskip(NEXT) | instid1(VALU_DEP_1)
	v_mul_f32_e64 v10, 0x2f800000, |v7|
	v_floor_f32_e32 v10, v10
	s_delay_alu instid0(VALU_DEP_1) | instskip(SKIP_1) | instid1(VALU_DEP_2)
	v_fma_f32 v10, 0xcf800000, v10, |v7|
	v_ashrrev_i32_e32 v7, 31, v7
	v_cvt_u32_f32_e32 v10, v10
	s_delay_alu instid0(VALU_DEP_1) | instskip(NEXT) | instid1(VALU_DEP_1)
	v_xor_b32_e32 v10, v10, v7
	v_sub_nc_u32_e32 v7, v10, v7
	flat_store_b8 v[8:9], v7
.LBB14_6098:
	s_wait_xcnt 0x0
	s_or_b32 exec_lo, exec_lo, s72
.LBB14_6099:
	s_delay_alu instid0(SALU_CYCLE_1)
	s_or_b32 exec_lo, exec_lo, s63
.LBB14_6100:
	s_delay_alu instid0(SALU_CYCLE_1) | instskip(NEXT) | instid1(SALU_CYCLE_1)
	s_or_b32 exec_lo, exec_lo, s62
	s_or_b32 s0, s0, exec_lo
.LBB14_6101:
	s_or_b32 exec_lo, exec_lo, s58
	s_mov_b32 s62, 0
	s_mov_b32 s58, 0
	s_and_saveexec_b32 s63, s0
; %bb.6102:
	v_add_nc_u32_e32 v13, 0x200, v13
	s_mov_b32 s62, exec_lo
	s_delay_alu instid0(VALU_DEP_1)
	v_cmp_lt_i32_e32 vcc_lo, v13, v6
	s_and_b32 s58, vcc_lo, exec_lo
; %bb.6103:
	s_or_b32 exec_lo, exec_lo, s63
	s_delay_alu instid0(SALU_CYCLE_1)
	s_and_not1_b32 s0, s56, exec_lo
	s_and_b32 s61, s61, exec_lo
	s_and_b32 s63, s58, exec_lo
	s_or_b32 s58, s0, s61
	s_or_not1_b32 s62, s62, exec_lo
.LBB14_6104:
	s_or_b32 exec_lo, exec_lo, s59
	s_mov_b32 s0, 0
	s_mov_b32 s61, 0
                                        ; implicit-def: $vgpr8
                                        ; implicit-def: $vgpr7
                                        ; implicit-def: $vgpr38_vgpr39
	s_and_saveexec_b32 s59, s62
	s_cbranch_execz .LBB14_7746
; %bb.6105:
	s_mov_b32 s72, -1
	s_mov_b32 s62, 0
	s_mov_b32 s60, s58
	s_and_saveexec_b32 s61, s63
	s_cbranch_execz .LBB14_6233
; %bb.6106:
	v_dual_add_nc_u32 v7, s2, v13 :: v_dual_mov_b32 v9, 0
	s_wait_loadcnt 0x6
	v_mul_f32_e32 v10, v36, v37
	v_cmp_lt_f32_e32 vcc_lo, 0, v37
	s_mov_b32 s63, s58
	v_mul_lo_u32 v8, v7, v12
	v_and_b32_e32 v7, 0xff, v11
	s_mov_b32 s60, exec_lo
	v_cndmask_b32_e32 v34, v10, v37, vcc_lo
	s_delay_alu instid0(VALU_DEP_3) | instskip(NEXT) | instid1(VALU_DEP_3)
	v_add_nc_u64_e32 v[8:9], v[0:1], v[8:9]
	v_cmpx_lt_i16_e32 10, v7
	s_xor_b32 s60, exec_lo, s60
	s_cbranch_execz .LBB14_6188
; %bb.6107:
	s_mov_b32 s63, s58
	s_mov_b32 s72, exec_lo
	v_cmpx_lt_i16_e32 25, v7
	s_xor_b32 s72, exec_lo, s72
	s_cbranch_execz .LBB14_6143
; %bb.6108:
	s_mov_b32 s73, s58
	s_mov_b32 s63, exec_lo
	;; [unrolled: 6-line block ×3, first 2 shown]
	v_cmpx_lt_i16_e32 43, v7
	s_xor_b32 s73, exec_lo, s73
	s_cbranch_execz .LBB14_6121
; %bb.6110:
	s_mov_b32 s74, 0
	s_mov_b32 s75, s58
	s_mov_b32 s0, exec_lo
	v_cmpx_lt_i16_e32 45, v7
	s_xor_b32 s0, exec_lo, s0
	s_cbranch_execz .LBB14_6114
; %bb.6111:
	s_mov_b32 s76, -1
	s_mov_b32 s75, exec_lo
	v_cmpx_eq_u16_e32 46, v7
	s_cbranch_execz .LBB14_6113
; %bb.6112:
	v_bfe_u32 v7, v34, 16, 1
	v_cmp_o_f32_e32 vcc_lo, v34, v34
	s_mov_b32 s74, exec_lo
	s_xor_b32 s76, exec_lo, -1
	s_delay_alu instid0(VALU_DEP_2) | instskip(NEXT) | instid1(VALU_DEP_1)
	v_add3_u32 v7, v34, v7, 0x7fff
	v_lshrrev_b32_e32 v7, 16, v7
	s_delay_alu instid0(VALU_DEP_1)
	v_cndmask_b32_e32 v7, 0x7fc0, v7, vcc_lo
	flat_store_b32 v[8:9], v7
.LBB14_6113:
	s_wait_xcnt 0x0
	s_or_b32 exec_lo, exec_lo, s75
	s_delay_alu instid0(SALU_CYCLE_1)
	s_and_not1_b32 s75, s58, exec_lo
	s_and_b32 s76, s76, exec_lo
	s_and_b32 s74, s74, exec_lo
	s_or_b32 s75, s75, s76
                                        ; implicit-def: $vgpr7
                                        ; implicit-def: $vgpr8_vgpr9
                                        ; implicit-def: $vgpr34
.LBB14_6114:
	s_and_not1_saveexec_b32 s76, s0
	s_cbranch_execz .LBB14_6120
; %bb.6115:
	s_mov_b32 s78, -1
	s_mov_b32 s0, s74
	s_mov_b32 s77, exec_lo
	v_cmpx_eq_u16_e32 44, v7
	s_cbranch_execz .LBB14_6119
; %bb.6116:
	v_bfe_u32 v10, v34, 23, 8
	v_mov_b32_e32 v7, 0xff
	s_mov_b32 s78, exec_lo
	s_delay_alu instid0(VALU_DEP_2)
	v_cmpx_ne_u32_e32 0xff, v10
	s_cbranch_execz .LBB14_6118
; %bb.6117:
	v_and_b32_e32 v7, 0x400000, v34
	v_and_or_b32 v10, 0x3fffff, v34, v10
	s_delay_alu instid0(VALU_DEP_2) | instskip(NEXT) | instid1(VALU_DEP_2)
	v_cmp_ne_u32_e32 vcc_lo, 0, v7
	v_cmp_ne_u32_e64 s0, 0, v10
	v_lshrrev_b32_e32 v7, 23, v34
	s_and_b32 s0, vcc_lo, s0
	s_delay_alu instid0(SALU_CYCLE_1) | instskip(NEXT) | instid1(VALU_DEP_1)
	v_cndmask_b32_e64 v10, 0, 1, s0
	v_add_nc_u32_e32 v7, v7, v10
.LBB14_6118:
	s_or_b32 exec_lo, exec_lo, s78
	s_delay_alu instid0(SALU_CYCLE_1)
	s_xor_b32 s78, exec_lo, -1
	s_or_b32 s0, s74, exec_lo
	flat_store_b8 v[8:9], v7
.LBB14_6119:
	s_wait_xcnt 0x0
	s_or_b32 exec_lo, exec_lo, s77
	s_delay_alu instid0(SALU_CYCLE_1)
	s_and_not1_b32 s75, s75, exec_lo
	s_and_b32 s77, s78, exec_lo
	s_and_not1_b32 s74, s74, exec_lo
	s_and_b32 s0, s0, exec_lo
	s_or_b32 s75, s75, s77
	s_or_b32 s74, s74, s0
.LBB14_6120:
	s_or_b32 exec_lo, exec_lo, s76
	s_delay_alu instid0(SALU_CYCLE_1) | instskip(SKIP_1) | instid1(SALU_CYCLE_1)
	s_and_not1_b32 s0, s58, exec_lo
	s_and_b32 s75, s75, exec_lo
                                        ; implicit-def: $vgpr7
                                        ; implicit-def: $vgpr34
                                        ; implicit-def: $vgpr8_vgpr9
	s_or_b32 s75, s0, s75
	s_and_b32 s0, s74, exec_lo
.LBB14_6121:
	s_and_not1_saveexec_b32 s73, s73
	s_cbranch_execz .LBB14_6125
; %bb.6122:
	s_mov_b32 s77, -1
	s_mov_b32 s76, s0
	s_mov_b32 s74, exec_lo
	v_cmpx_eq_u16_e32 29, v7
	s_cbranch_execz .LBB14_6124
; %bb.6123:
	v_trunc_f32_e32 v7, v34
	s_xor_b32 s77, exec_lo, -1
	s_or_b32 s76, s0, exec_lo
	s_delay_alu instid0(VALU_DEP_1) | instskip(NEXT) | instid1(VALU_DEP_1)
	v_mul_f32_e32 v10, 0x2f800000, v7
	v_floor_f32_e32 v10, v10
	s_delay_alu instid0(VALU_DEP_1) | instskip(SKIP_1) | instid1(VALU_DEP_2)
	v_fmamk_f32 v7, v10, 0xcf800000, v7
	v_cvt_u32_f32_e32 v35, v10
	v_cvt_u32_f32_e32 v34, v7
	flat_store_b64 v[8:9], v[34:35]
.LBB14_6124:
	s_wait_xcnt 0x0
	s_or_b32 exec_lo, exec_lo, s74
	s_delay_alu instid0(SALU_CYCLE_1)
	s_and_not1_b32 s74, s75, exec_lo
	s_and_b32 s75, s77, exec_lo
	s_and_not1_b32 s0, s0, exec_lo
	s_and_b32 s76, s76, exec_lo
	s_or_b32 s75, s74, s75
	s_or_b32 s0, s0, s76
.LBB14_6125:
	s_or_b32 exec_lo, exec_lo, s73
	s_delay_alu instid0(SALU_CYCLE_1)
	s_and_not1_b32 s73, s58, exec_lo
	s_and_b32 s74, s75, exec_lo
	s_and_b32 s0, s0, exec_lo
	s_or_b32 s73, s73, s74
                                        ; implicit-def: $vgpr8_vgpr9
                                        ; implicit-def: $vgpr7
                                        ; implicit-def: $vgpr34
.LBB14_6126:
	s_and_not1_saveexec_b32 s63, s63
	s_cbranch_execz .LBB14_6142
; %bb.6127:
	s_mov_b32 s74, exec_lo
	v_cmpx_lt_i16_e32 26, v7
	s_xor_b32 s74, exec_lo, s74
	s_cbranch_execz .LBB14_6133
; %bb.6128:
	v_cmp_lt_i16_e32 vcc_lo, 27, v7
	v_cvt_u32_f32_e32 v7, v34
	s_and_saveexec_b32 s75, vcc_lo
	s_delay_alu instid0(SALU_CYCLE_1)
	s_xor_b32 s75, exec_lo, s75
	s_cbranch_execz .LBB14_6130
; %bb.6129:
	flat_store_b32 v[8:9], v7
                                        ; implicit-def: $vgpr8_vgpr9
                                        ; implicit-def: $vgpr7
.LBB14_6130:
	s_wait_xcnt 0x0
	s_and_not1_saveexec_b32 s75, s75
	s_cbranch_execz .LBB14_6132
; %bb.6131:
	flat_store_b16 v[8:9], v7
.LBB14_6132:
	s_wait_xcnt 0x0
	s_or_b32 exec_lo, exec_lo, s75
                                        ; implicit-def: $vgpr8_vgpr9
                                        ; implicit-def: $vgpr34
.LBB14_6133:
	s_and_not1_saveexec_b32 s74, s74
	s_cbranch_execz .LBB14_6141
; %bb.6134:
	v_and_b32_e32 v7, 0x7fffffff, v34
	v_mov_b32_e32 v10, 0x80
	s_mov_b32 s75, exec_lo
	s_delay_alu instid0(VALU_DEP_2)
	v_cmpx_gt_u32_e32 0x43800000, v7
	s_cbranch_execz .LBB14_6140
; %bb.6135:
	v_cmp_lt_u32_e32 vcc_lo, 0x3bffffff, v7
	s_mov_b32 s76, 0
                                        ; implicit-def: $vgpr7
	s_and_saveexec_b32 s77, vcc_lo
	s_delay_alu instid0(SALU_CYCLE_1)
	s_xor_b32 s77, exec_lo, s77
	s_cbranch_execnz .LBB14_7891
; %bb.6136:
	s_and_not1_saveexec_b32 s77, s77
	s_cbranch_execnz .LBB14_7892
.LBB14_6137:
	s_or_b32 exec_lo, exec_lo, s77
	v_mov_b32_e32 v10, 0
	s_and_saveexec_b32 s77, s76
.LBB14_6138:
	v_lshrrev_b32_e32 v10, 24, v34
	s_delay_alu instid0(VALU_DEP_1)
	v_and_or_b32 v10, 0x80, v10, v7
.LBB14_6139:
	s_or_b32 exec_lo, exec_lo, s77
.LBB14_6140:
	s_delay_alu instid0(SALU_CYCLE_1)
	s_or_b32 exec_lo, exec_lo, s75
	flat_store_b8 v[8:9], v10
.LBB14_6141:
	s_wait_xcnt 0x0
	s_or_b32 exec_lo, exec_lo, s74
	s_delay_alu instid0(SALU_CYCLE_1)
	s_or_b32 s0, s0, exec_lo
.LBB14_6142:
	s_or_b32 exec_lo, exec_lo, s63
	s_delay_alu instid0(SALU_CYCLE_1)
	s_and_not1_b32 s63, s58, exec_lo
	s_and_b32 s73, s73, exec_lo
	s_and_b32 s0, s0, exec_lo
	s_or_b32 s63, s63, s73
                                        ; implicit-def: $vgpr7
                                        ; implicit-def: $vgpr34
                                        ; implicit-def: $vgpr8_vgpr9
.LBB14_6143:
	s_and_not1_saveexec_b32 s72, s72
	s_cbranch_execz .LBB14_6187
; %bb.6144:
	s_mov_b32 s74, s0
	s_mov_b32 s73, exec_lo
	v_cmpx_lt_i16_e32 22, v7
	s_xor_b32 s73, exec_lo, s73
	s_cbranch_execz .LBB14_6176
; %bb.6145:
	s_mov_b32 s74, exec_lo
	v_cmpx_lt_i16_e32 23, v7
	s_xor_b32 s74, exec_lo, s74
	s_cbranch_execz .LBB14_6165
; %bb.6146:
	;; [unrolled: 5-line block ×3, first 2 shown]
	v_and_b32_e32 v7, 0x7fffffff, v34
	v_mov_b32_e32 v10, 0x80
	s_mov_b32 s76, exec_lo
	s_delay_alu instid0(VALU_DEP_2)
	v_cmpx_gt_u32_e32 0x47800000, v7
	s_cbranch_execz .LBB14_6153
; %bb.6148:
	v_cmp_lt_u32_e32 vcc_lo, 0x37ffffff, v7
	s_mov_b32 s77, 0
                                        ; implicit-def: $vgpr7
	s_and_saveexec_b32 s78, vcc_lo
	s_delay_alu instid0(SALU_CYCLE_1)
	s_xor_b32 s78, exec_lo, s78
	s_cbranch_execnz .LBB14_7893
; %bb.6149:
	s_and_not1_saveexec_b32 s78, s78
	s_cbranch_execnz .LBB14_7894
.LBB14_6150:
	s_or_b32 exec_lo, exec_lo, s78
	v_mov_b32_e32 v10, 0
	s_and_saveexec_b32 s78, s77
.LBB14_6151:
	v_lshrrev_b32_e32 v10, 24, v34
	s_delay_alu instid0(VALU_DEP_1)
	v_and_or_b32 v10, 0x80, v10, v7
.LBB14_6152:
	s_or_b32 exec_lo, exec_lo, s78
.LBB14_6153:
	s_delay_alu instid0(SALU_CYCLE_1)
	s_or_b32 exec_lo, exec_lo, s76
	flat_store_b8 v[8:9], v10
                                        ; implicit-def: $vgpr34
                                        ; implicit-def: $vgpr8_vgpr9
.LBB14_6154:
	s_wait_xcnt 0x0
	s_and_not1_saveexec_b32 s75, s75
	s_cbranch_execz .LBB14_6164
; %bb.6155:
	v_and_b32_e32 v10, 0x7fffffff, v34
	s_mov_b32 s76, exec_lo
                                        ; implicit-def: $vgpr7
	s_delay_alu instid0(VALU_DEP_1)
	v_cmpx_gt_u32_e32 0x43f00000, v10
	s_xor_b32 s76, exec_lo, s76
	s_cbranch_execz .LBB14_6161
; %bb.6156:
	s_mov_b32 s77, exec_lo
                                        ; implicit-def: $vgpr7
	v_cmpx_lt_u32_e32 0x3c7fffff, v10
	s_xor_b32 s77, exec_lo, s77
; %bb.6157:
	v_bfe_u32 v7, v34, 20, 1
	s_delay_alu instid0(VALU_DEP_1) | instskip(NEXT) | instid1(VALU_DEP_1)
	v_add3_u32 v7, v34, v7, 0x407ffff
	v_and_b32_e32 v10, 0xff00000, v7
	v_lshrrev_b32_e32 v7, 20, v7
	s_delay_alu instid0(VALU_DEP_2) | instskip(NEXT) | instid1(VALU_DEP_2)
	v_cmp_ne_u32_e32 vcc_lo, 0x7f00000, v10
	v_cndmask_b32_e32 v7, 0x7e, v7, vcc_lo
; %bb.6158:
	s_and_not1_saveexec_b32 s77, s77
; %bb.6159:
	v_add_f32_e64 v7, 0x46800000, |v34|
; %bb.6160:
	s_or_b32 exec_lo, exec_lo, s77
                                        ; implicit-def: $vgpr10
.LBB14_6161:
	s_and_not1_saveexec_b32 s76, s76
; %bb.6162:
	v_mov_b32_e32 v7, 0x7f
	v_cmp_lt_u32_e32 vcc_lo, 0x7f800000, v10
	s_delay_alu instid0(VALU_DEP_2)
	v_cndmask_b32_e32 v7, 0x7e, v7, vcc_lo
; %bb.6163:
	s_or_b32 exec_lo, exec_lo, s76
	v_lshrrev_b32_e32 v10, 24, v34
	s_delay_alu instid0(VALU_DEP_1)
	v_and_or_b32 v7, 0x80, v10, v7
	flat_store_b8 v[8:9], v7
.LBB14_6164:
	s_wait_xcnt 0x0
	s_or_b32 exec_lo, exec_lo, s75
                                        ; implicit-def: $vgpr34
                                        ; implicit-def: $vgpr8_vgpr9
.LBB14_6165:
	s_and_not1_saveexec_b32 s74, s74
	s_cbranch_execz .LBB14_6175
; %bb.6166:
	v_and_b32_e32 v10, 0x7fffffff, v34
	s_mov_b32 s75, exec_lo
                                        ; implicit-def: $vgpr7
	s_delay_alu instid0(VALU_DEP_1)
	v_cmpx_gt_u32_e32 0x47800000, v10
	s_xor_b32 s75, exec_lo, s75
	s_cbranch_execz .LBB14_6172
; %bb.6167:
	s_mov_b32 s76, exec_lo
                                        ; implicit-def: $vgpr7
	v_cmpx_lt_u32_e32 0x387fffff, v10
	s_xor_b32 s76, exec_lo, s76
; %bb.6168:
	v_bfe_u32 v7, v34, 21, 1
	s_delay_alu instid0(VALU_DEP_1) | instskip(NEXT) | instid1(VALU_DEP_1)
	v_add3_u32 v7, v34, v7, 0x80fffff
	v_lshrrev_b32_e32 v7, 21, v7
; %bb.6169:
	s_and_not1_saveexec_b32 s76, s76
; %bb.6170:
	v_add_f32_e64 v7, 0x43000000, |v34|
; %bb.6171:
	s_or_b32 exec_lo, exec_lo, s76
                                        ; implicit-def: $vgpr10
.LBB14_6172:
	s_and_not1_saveexec_b32 s75, s75
; %bb.6173:
	v_mov_b32_e32 v7, 0x7f
	v_cmp_lt_u32_e32 vcc_lo, 0x7f800000, v10
	s_delay_alu instid0(VALU_DEP_2)
	v_cndmask_b32_e32 v7, 0x7c, v7, vcc_lo
; %bb.6174:
	s_or_b32 exec_lo, exec_lo, s75
	v_lshrrev_b32_e32 v10, 24, v34
	s_delay_alu instid0(VALU_DEP_1)
	v_and_or_b32 v7, 0x80, v10, v7
	flat_store_b8 v[8:9], v7
.LBB14_6175:
	s_wait_xcnt 0x0
	s_or_b32 exec_lo, exec_lo, s74
	s_delay_alu instid0(SALU_CYCLE_1)
	s_or_b32 s74, s0, exec_lo
                                        ; implicit-def: $vgpr7
                                        ; implicit-def: $vgpr34
                                        ; implicit-def: $vgpr8_vgpr9
.LBB14_6176:
	s_or_saveexec_b32 s73, s73
	s_mov_b32 s75, s63
	s_xor_b32 exec_lo, exec_lo, s73
	s_cbranch_execz .LBB14_6186
; %bb.6177:
	s_mov_b32 s75, s74
	s_mov_b32 s76, s63
	s_mov_b32 s77, exec_lo
	v_cmpx_lt_i16_e32 14, v7
	s_xor_b32 s77, exec_lo, s77
	s_cbranch_execz .LBB14_6181
; %bb.6178:
	s_mov_b32 s78, -1
	s_mov_b32 s75, s74
	s_mov_b32 s76, exec_lo
	v_cmpx_eq_u16_e32 15, v7
	s_cbranch_execz .LBB14_6180
; %bb.6179:
	v_bfe_u32 v7, v34, 16, 1
	v_cmp_o_f32_e32 vcc_lo, v34, v34
	s_xor_b32 s78, exec_lo, -1
	s_or_b32 s75, s74, exec_lo
	s_delay_alu instid0(VALU_DEP_2) | instskip(NEXT) | instid1(VALU_DEP_1)
	v_add3_u32 v7, v34, v7, 0x7fff
	v_lshrrev_b32_e32 v7, 16, v7
	s_delay_alu instid0(VALU_DEP_1)
	v_cndmask_b32_e32 v7, 0x7fc0, v7, vcc_lo
	flat_store_b16 v[8:9], v7
.LBB14_6180:
	s_wait_xcnt 0x0
	s_or_b32 exec_lo, exec_lo, s76
	s_delay_alu instid0(SALU_CYCLE_1)
	s_and_not1_b32 s76, s63, exec_lo
	s_and_b32 s78, s78, exec_lo
	s_and_not1_b32 s79, s74, exec_lo
	s_and_b32 s75, s75, exec_lo
	s_or_b32 s76, s76, s78
	s_or_b32 s75, s79, s75
                                        ; implicit-def: $vgpr7
                                        ; implicit-def: $vgpr34
                                        ; implicit-def: $vgpr8_vgpr9
.LBB14_6181:
	s_and_not1_saveexec_b32 s77, s77
	s_cbranch_execz .LBB14_6185
; %bb.6182:
	s_mov_b32 s79, -1
	s_mov_b32 s78, s75
	s_mov_b32 s88, exec_lo
	v_cmpx_eq_u16_e32 11, v7
	s_cbranch_execz .LBB14_6184
; %bb.6183:
	v_cmp_neq_f32_e32 vcc_lo, 0, v34
	s_xor_b32 s79, exec_lo, -1
	s_or_b32 s78, s75, exec_lo
	v_cndmask_b32_e64 v7, 0, 1, vcc_lo
	flat_store_b8 v[8:9], v7
.LBB14_6184:
	s_wait_xcnt 0x0
	s_or_b32 exec_lo, exec_lo, s88
	s_delay_alu instid0(SALU_CYCLE_1)
	s_and_not1_b32 s76, s76, exec_lo
	s_and_b32 s79, s79, exec_lo
	s_and_not1_b32 s75, s75, exec_lo
	s_and_b32 s78, s78, exec_lo
	s_or_b32 s76, s76, s79
	s_or_b32 s75, s75, s78
.LBB14_6185:
	s_or_b32 exec_lo, exec_lo, s77
	s_delay_alu instid0(SALU_CYCLE_1)
	s_and_not1_b32 s77, s63, exec_lo
	s_and_b32 s76, s76, exec_lo
	s_and_not1_b32 s74, s74, exec_lo
	s_and_b32 s78, s75, exec_lo
	s_or_b32 s75, s77, s76
	s_or_b32 s74, s74, s78
.LBB14_6186:
	s_or_b32 exec_lo, exec_lo, s73
	s_delay_alu instid0(SALU_CYCLE_1)
	s_and_not1_b32 s63, s63, exec_lo
	s_and_b32 s73, s75, exec_lo
	s_and_not1_b32 s0, s0, exec_lo
	s_and_b32 s74, s74, exec_lo
	s_or_b32 s63, s63, s73
	s_or_b32 s0, s0, s74
.LBB14_6187:
	s_or_b32 exec_lo, exec_lo, s72
	s_delay_alu instid0(SALU_CYCLE_1)
	s_and_not1_b32 s72, s58, exec_lo
	s_and_b32 s63, s63, exec_lo
	s_and_b32 s0, s0, exec_lo
	s_or_b32 s63, s72, s63
                                        ; implicit-def: $vgpr7
                                        ; implicit-def: $vgpr34
                                        ; implicit-def: $vgpr8_vgpr9
.LBB14_6188:
	s_and_not1_saveexec_b32 s60, s60
	s_cbranch_execz .LBB14_6230
; %bb.6189:
	s_mov_b32 s72, exec_lo
	v_cmpx_lt_i16_e32 4, v7
	s_xor_b32 s72, exec_lo, s72
	s_cbranch_execz .LBB14_6211
; %bb.6190:
	s_mov_b32 s73, exec_lo
	v_cmpx_lt_i16_e32 7, v7
	s_xor_b32 s73, exec_lo, s73
	;; [unrolled: 5-line block ×4, first 2 shown]
	s_cbranch_execz .LBB14_6194
; %bb.6193:
	v_cvt_f64_f32_e32 v[34:35], v34
	v_mov_b32_e32 v36, 0
	s_delay_alu instid0(VALU_DEP_1)
	v_mov_b32_e32 v37, v36
	flat_store_b128 v[8:9], v[34:37]
                                        ; implicit-def: $vgpr34
                                        ; implicit-def: $vgpr8_vgpr9
.LBB14_6194:
	s_wait_xcnt 0x0
	s_and_not1_saveexec_b32 s75, s75
	s_cbranch_execz .LBB14_6196
; %bb.6195:
	v_mov_b32_e32 v35, 0
	flat_store_b64 v[8:9], v[34:35]
.LBB14_6196:
	s_wait_xcnt 0x0
	s_or_b32 exec_lo, exec_lo, s75
                                        ; implicit-def: $vgpr34
                                        ; implicit-def: $vgpr8_vgpr9
.LBB14_6197:
	s_and_not1_saveexec_b32 s74, s74
	s_cbranch_execz .LBB14_6199
; %bb.6198:
	v_cvt_f16_f32_e32 v7, v34
	s_delay_alu instid0(VALU_DEP_1)
	v_and_b32_e32 v7, 0xffff, v7
	flat_store_b32 v[8:9], v7
.LBB14_6199:
	s_wait_xcnt 0x0
	s_or_b32 exec_lo, exec_lo, s74
                                        ; implicit-def: $vgpr34
                                        ; implicit-def: $vgpr8_vgpr9
                                        ; implicit-def: $vgpr7
.LBB14_6200:
	s_and_not1_saveexec_b32 s73, s73
	s_cbranch_execz .LBB14_6210
; %bb.6201:
	s_mov_b32 s74, exec_lo
	v_cmpx_lt_i16_e32 5, v7
	s_xor_b32 s74, exec_lo, s74
	s_cbranch_execz .LBB14_6207
; %bb.6202:
	s_mov_b32 s75, exec_lo
	v_cmpx_lt_i16_e32 6, v7
	s_xor_b32 s75, exec_lo, s75
	s_cbranch_execz .LBB14_6204
; %bb.6203:
	v_cvt_f64_f32_e32 v[34:35], v34
	flat_store_b64 v[8:9], v[34:35]
                                        ; implicit-def: $vgpr8_vgpr9
                                        ; implicit-def: $vgpr34
.LBB14_6204:
	s_wait_xcnt 0x0
	s_and_not1_saveexec_b32 s75, s75
	s_cbranch_execz .LBB14_6206
; %bb.6205:
	flat_store_b32 v[8:9], v34
.LBB14_6206:
	s_wait_xcnt 0x0
	s_or_b32 exec_lo, exec_lo, s75
                                        ; implicit-def: $vgpr34
                                        ; implicit-def: $vgpr8_vgpr9
.LBB14_6207:
	s_and_not1_saveexec_b32 s74, s74
	s_cbranch_execz .LBB14_6209
; %bb.6208:
	v_cvt_f16_f32_e32 v7, v34
	flat_store_b16 v[8:9], v7
.LBB14_6209:
	s_wait_xcnt 0x0
	s_or_b32 exec_lo, exec_lo, s74
.LBB14_6210:
	s_delay_alu instid0(SALU_CYCLE_1)
	s_or_b32 exec_lo, exec_lo, s73
                                        ; implicit-def: $vgpr7
                                        ; implicit-def: $vgpr34
                                        ; implicit-def: $vgpr8_vgpr9
.LBB14_6211:
	s_and_not1_saveexec_b32 s72, s72
	s_cbranch_execz .LBB14_6229
; %bb.6212:
	s_mov_b32 s73, exec_lo
	v_cmpx_lt_i16_e32 1, v7
	s_xor_b32 s73, exec_lo, s73
	s_cbranch_execz .LBB14_6222
; %bb.6213:
	s_mov_b32 s74, exec_lo
	v_cmpx_lt_i16_e32 2, v7
	s_xor_b32 s74, exec_lo, s74
	;; [unrolled: 5-line block ×3, first 2 shown]
	s_cbranch_execz .LBB14_6216
; %bb.6215:
	v_trunc_f32_e32 v7, v34
	s_delay_alu instid0(VALU_DEP_1) | instskip(SKIP_1) | instid1(VALU_DEP_2)
	v_mul_f32_e64 v10, 0x2f800000, |v7|
	v_ashrrev_i32_e32 v34, 31, v7
	v_floor_f32_e32 v10, v10
	s_delay_alu instid0(VALU_DEP_1) | instskip(SKIP_1) | instid1(VALU_DEP_2)
	v_fma_f32 v35, 0xcf800000, v10, |v7|
	v_cvt_u32_f32_e32 v7, v10
	v_cvt_u32_f32_e32 v10, v35
	s_delay_alu instid0(VALU_DEP_2) | instskip(NEXT) | instid1(VALU_DEP_2)
	v_dual_mov_b32 v35, v34 :: v_dual_bitop2_b32 v37, v7, v34 bitop3:0x14
	v_xor_b32_e32 v36, v10, v34
	s_delay_alu instid0(VALU_DEP_1)
	v_sub_nc_u64_e32 v[34:35], v[36:37], v[34:35]
	flat_store_b64 v[8:9], v[34:35]
                                        ; implicit-def: $vgpr34
                                        ; implicit-def: $vgpr8_vgpr9
.LBB14_6216:
	s_wait_xcnt 0x0
	s_and_not1_saveexec_b32 s75, s75
	s_cbranch_execz .LBB14_6218
; %bb.6217:
	v_cvt_i32_f32_e32 v7, v34
	flat_store_b32 v[8:9], v7
.LBB14_6218:
	s_wait_xcnt 0x0
	s_or_b32 exec_lo, exec_lo, s75
                                        ; implicit-def: $vgpr34
                                        ; implicit-def: $vgpr8_vgpr9
.LBB14_6219:
	s_and_not1_saveexec_b32 s74, s74
	s_cbranch_execz .LBB14_6221
; %bb.6220:
	v_cvt_i32_f32_e32 v7, v34
	flat_store_b16 v[8:9], v7
.LBB14_6221:
	s_wait_xcnt 0x0
	s_or_b32 exec_lo, exec_lo, s74
                                        ; implicit-def: $vgpr34
                                        ; implicit-def: $vgpr8_vgpr9
                                        ; implicit-def: $vgpr7
.LBB14_6222:
	s_and_not1_saveexec_b32 s73, s73
	s_cbranch_execz .LBB14_6228
; %bb.6223:
	s_mov_b32 s74, exec_lo
	v_cmpx_lt_i16_e32 0, v7
	s_xor_b32 s74, exec_lo, s74
	s_cbranch_execz .LBB14_6225
; %bb.6224:
	v_cvt_i32_f32_e32 v7, v34
                                        ; implicit-def: $vgpr34
	flat_store_b8 v[8:9], v7
                                        ; implicit-def: $vgpr8_vgpr9
.LBB14_6225:
	s_wait_xcnt 0x0
	s_and_not1_saveexec_b32 s74, s74
	s_cbranch_execz .LBB14_6227
; %bb.6226:
	v_trunc_f32_e32 v7, v34
	s_delay_alu instid0(VALU_DEP_1) | instskip(NEXT) | instid1(VALU_DEP_1)
	v_mul_f32_e64 v10, 0x2f800000, |v7|
	v_floor_f32_e32 v10, v10
	s_delay_alu instid0(VALU_DEP_1) | instskip(SKIP_1) | instid1(VALU_DEP_2)
	v_fma_f32 v10, 0xcf800000, v10, |v7|
	v_ashrrev_i32_e32 v7, 31, v7
	v_cvt_u32_f32_e32 v10, v10
	s_delay_alu instid0(VALU_DEP_1) | instskip(NEXT) | instid1(VALU_DEP_1)
	v_xor_b32_e32 v10, v10, v7
	v_sub_nc_u32_e32 v7, v10, v7
	flat_store_b8 v[8:9], v7
.LBB14_6227:
	s_wait_xcnt 0x0
	s_or_b32 exec_lo, exec_lo, s74
.LBB14_6228:
	s_delay_alu instid0(SALU_CYCLE_1)
	s_or_b32 exec_lo, exec_lo, s73
.LBB14_6229:
	s_delay_alu instid0(SALU_CYCLE_1) | instskip(NEXT) | instid1(SALU_CYCLE_1)
	s_or_b32 exec_lo, exec_lo, s72
	s_or_b32 s0, s0, exec_lo
.LBB14_6230:
	s_or_b32 exec_lo, exec_lo, s60
	s_mov_b32 s72, 0
	s_mov_b32 s60, 0
	s_and_saveexec_b32 s73, s0
; %bb.6231:
	v_add_nc_u32_e32 v13, 0x200, v13
	s_mov_b32 s72, exec_lo
	s_delay_alu instid0(VALU_DEP_1)
	v_cmp_lt_i32_e32 vcc_lo, v13, v6
	s_and_b32 s60, vcc_lo, exec_lo
; %bb.6232:
	s_or_b32 exec_lo, exec_lo, s73
	s_delay_alu instid0(SALU_CYCLE_1)
	s_and_not1_b32 s73, s58, exec_lo
	s_and_b32 s63, s63, exec_lo
	s_and_b32 s0, s60, exec_lo
	s_or_b32 s60, s73, s63
	s_or_not1_b32 s72, s72, exec_lo
.LBB14_6233:
	s_or_b32 exec_lo, exec_lo, s61
	s_mov_b32 s63, 0
	s_mov_b32 s73, 0
                                        ; implicit-def: $vgpr8
                                        ; implicit-def: $vgpr7
                                        ; implicit-def: $vgpr38_vgpr39
	s_and_saveexec_b32 s61, s72
	s_cbranch_execz .LBB14_7745
; %bb.6234:
	s_mov_b32 s74, -1
	s_mov_b32 s72, 0
	s_mov_b32 s62, s60
	;; [unrolled: 1-line block ×3, first 2 shown]
	s_and_saveexec_b32 s63, s0
	s_cbranch_execz .LBB14_6362
; %bb.6235:
	v_dual_add_nc_u32 v7, s2, v13 :: v_dual_mov_b32 v9, 0
	s_wait_loadcnt 0x5
	v_mul_f32_e32 v10, v30, v31
	v_cmp_lt_f32_e32 vcc_lo, 0, v31
	s_mov_b32 s0, 0
	v_mul_lo_u32 v8, v7, v12
	v_and_b32_e32 v7, 0xff, v11
	s_mov_b32 s73, s60
	v_cndmask_b32_e32 v30, v10, v31, vcc_lo
	s_mov_b32 s62, exec_lo
	s_delay_alu instid0(VALU_DEP_3)
	v_add_nc_u64_e32 v[8:9], v[0:1], v[8:9]
	v_cmpx_lt_i16_e32 10, v7
	s_xor_b32 s62, exec_lo, s62
	s_cbranch_execz .LBB14_6317
; %bb.6236:
	s_mov_b32 s73, s60
	s_mov_b32 s74, exec_lo
	v_cmpx_lt_i16_e32 25, v7
	s_xor_b32 s74, exec_lo, s74
	s_cbranch_execz .LBB14_6272
; %bb.6237:
	s_mov_b32 s75, s60
	s_mov_b32 s73, exec_lo
	;; [unrolled: 6-line block ×3, first 2 shown]
	v_cmpx_lt_i16_e32 43, v7
	s_xor_b32 s75, exec_lo, s75
	s_cbranch_execz .LBB14_6250
; %bb.6239:
	s_mov_b32 s76, 0
	s_mov_b32 s77, s60
	s_mov_b32 s0, exec_lo
	v_cmpx_lt_i16_e32 45, v7
	s_xor_b32 s0, exec_lo, s0
	s_cbranch_execz .LBB14_6243
; %bb.6240:
	s_mov_b32 s78, -1
	s_mov_b32 s77, exec_lo
	v_cmpx_eq_u16_e32 46, v7
	s_cbranch_execz .LBB14_6242
; %bb.6241:
	v_bfe_u32 v7, v30, 16, 1
	v_cmp_o_f32_e32 vcc_lo, v30, v30
	s_mov_b32 s76, exec_lo
	s_xor_b32 s78, exec_lo, -1
	s_delay_alu instid0(VALU_DEP_2) | instskip(NEXT) | instid1(VALU_DEP_1)
	v_add3_u32 v7, v30, v7, 0x7fff
	v_lshrrev_b32_e32 v7, 16, v7
	s_delay_alu instid0(VALU_DEP_1)
	v_cndmask_b32_e32 v7, 0x7fc0, v7, vcc_lo
	flat_store_b32 v[8:9], v7
.LBB14_6242:
	s_wait_xcnt 0x0
	s_or_b32 exec_lo, exec_lo, s77
	s_delay_alu instid0(SALU_CYCLE_1)
	s_and_not1_b32 s77, s60, exec_lo
	s_and_b32 s78, s78, exec_lo
	s_and_b32 s76, s76, exec_lo
	s_or_b32 s77, s77, s78
                                        ; implicit-def: $vgpr7
                                        ; implicit-def: $vgpr8_vgpr9
                                        ; implicit-def: $vgpr30
.LBB14_6243:
	s_and_not1_saveexec_b32 s78, s0
	s_cbranch_execz .LBB14_6249
; %bb.6244:
	s_mov_b32 s88, -1
	s_mov_b32 s0, s76
	s_mov_b32 s79, exec_lo
	v_cmpx_eq_u16_e32 44, v7
	s_cbranch_execz .LBB14_6248
; %bb.6245:
	v_bfe_u32 v10, v30, 23, 8
	v_mov_b32_e32 v7, 0xff
	s_mov_b32 s88, exec_lo
	s_delay_alu instid0(VALU_DEP_2)
	v_cmpx_ne_u32_e32 0xff, v10
	s_cbranch_execz .LBB14_6247
; %bb.6246:
	v_and_b32_e32 v7, 0x400000, v30
	v_and_or_b32 v10, 0x3fffff, v30, v10
	s_delay_alu instid0(VALU_DEP_2) | instskip(NEXT) | instid1(VALU_DEP_2)
	v_cmp_ne_u32_e32 vcc_lo, 0, v7
	v_cmp_ne_u32_e64 s0, 0, v10
	v_lshrrev_b32_e32 v7, 23, v30
	s_and_b32 s0, vcc_lo, s0
	s_delay_alu instid0(SALU_CYCLE_1) | instskip(NEXT) | instid1(VALU_DEP_1)
	v_cndmask_b32_e64 v10, 0, 1, s0
	v_add_nc_u32_e32 v7, v7, v10
.LBB14_6247:
	s_or_b32 exec_lo, exec_lo, s88
	s_delay_alu instid0(SALU_CYCLE_1)
	s_xor_b32 s88, exec_lo, -1
	s_or_b32 s0, s76, exec_lo
	flat_store_b8 v[8:9], v7
.LBB14_6248:
	s_wait_xcnt 0x0
	s_or_b32 exec_lo, exec_lo, s79
	s_delay_alu instid0(SALU_CYCLE_1)
	s_and_not1_b32 s77, s77, exec_lo
	s_and_b32 s79, s88, exec_lo
	s_and_not1_b32 s76, s76, exec_lo
	s_and_b32 s0, s0, exec_lo
	s_or_b32 s77, s77, s79
	s_or_b32 s76, s76, s0
.LBB14_6249:
	s_or_b32 exec_lo, exec_lo, s78
	s_delay_alu instid0(SALU_CYCLE_1) | instskip(SKIP_1) | instid1(SALU_CYCLE_1)
	s_and_not1_b32 s0, s60, exec_lo
	s_and_b32 s77, s77, exec_lo
                                        ; implicit-def: $vgpr7
                                        ; implicit-def: $vgpr30
                                        ; implicit-def: $vgpr8_vgpr9
	s_or_b32 s77, s0, s77
	s_and_b32 s0, s76, exec_lo
.LBB14_6250:
	s_and_not1_saveexec_b32 s75, s75
	s_cbranch_execz .LBB14_6254
; %bb.6251:
	s_mov_b32 s79, -1
	s_mov_b32 s78, s0
	s_mov_b32 s76, exec_lo
	v_cmpx_eq_u16_e32 29, v7
	s_cbranch_execz .LBB14_6253
; %bb.6252:
	v_trunc_f32_e32 v7, v30
	s_xor_b32 s79, exec_lo, -1
	s_or_b32 s78, s0, exec_lo
	s_delay_alu instid0(VALU_DEP_1) | instskip(NEXT) | instid1(VALU_DEP_1)
	v_mul_f32_e32 v10, 0x2f800000, v7
	v_floor_f32_e32 v10, v10
	s_delay_alu instid0(VALU_DEP_1) | instskip(SKIP_1) | instid1(VALU_DEP_2)
	v_fmamk_f32 v7, v10, 0xcf800000, v7
	v_cvt_u32_f32_e32 v31, v10
	v_cvt_u32_f32_e32 v30, v7
	flat_store_b64 v[8:9], v[30:31]
.LBB14_6253:
	s_wait_xcnt 0x0
	s_or_b32 exec_lo, exec_lo, s76
	s_delay_alu instid0(SALU_CYCLE_1)
	s_and_not1_b32 s76, s77, exec_lo
	s_and_b32 s77, s79, exec_lo
	s_and_not1_b32 s0, s0, exec_lo
	s_and_b32 s78, s78, exec_lo
	s_or_b32 s77, s76, s77
	s_or_b32 s0, s0, s78
.LBB14_6254:
	s_or_b32 exec_lo, exec_lo, s75
	s_delay_alu instid0(SALU_CYCLE_1)
	s_and_not1_b32 s75, s60, exec_lo
	s_and_b32 s76, s77, exec_lo
	s_and_b32 s0, s0, exec_lo
	s_or_b32 s75, s75, s76
                                        ; implicit-def: $vgpr8_vgpr9
                                        ; implicit-def: $vgpr7
                                        ; implicit-def: $vgpr30
.LBB14_6255:
	s_and_not1_saveexec_b32 s73, s73
	s_cbranch_execz .LBB14_6271
; %bb.6256:
	s_mov_b32 s76, exec_lo
	v_cmpx_lt_i16_e32 26, v7
	s_xor_b32 s76, exec_lo, s76
	s_cbranch_execz .LBB14_6262
; %bb.6257:
	v_cmp_lt_i16_e32 vcc_lo, 27, v7
	v_cvt_u32_f32_e32 v7, v30
	s_and_saveexec_b32 s77, vcc_lo
	s_delay_alu instid0(SALU_CYCLE_1)
	s_xor_b32 s77, exec_lo, s77
	s_cbranch_execz .LBB14_6259
; %bb.6258:
	flat_store_b32 v[8:9], v7
                                        ; implicit-def: $vgpr8_vgpr9
                                        ; implicit-def: $vgpr7
.LBB14_6259:
	s_wait_xcnt 0x0
	s_and_not1_saveexec_b32 s77, s77
	s_cbranch_execz .LBB14_6261
; %bb.6260:
	flat_store_b16 v[8:9], v7
.LBB14_6261:
	s_wait_xcnt 0x0
	s_or_b32 exec_lo, exec_lo, s77
                                        ; implicit-def: $vgpr8_vgpr9
                                        ; implicit-def: $vgpr30
.LBB14_6262:
	s_and_not1_saveexec_b32 s76, s76
	s_cbranch_execz .LBB14_6270
; %bb.6263:
	v_and_b32_e32 v7, 0x7fffffff, v30
	v_mov_b32_e32 v10, 0x80
	s_mov_b32 s77, exec_lo
	s_delay_alu instid0(VALU_DEP_2)
	v_cmpx_gt_u32_e32 0x43800000, v7
	s_cbranch_execz .LBB14_6269
; %bb.6264:
	v_cmp_lt_u32_e32 vcc_lo, 0x3bffffff, v7
	s_mov_b32 s78, 0
                                        ; implicit-def: $vgpr7
	s_and_saveexec_b32 s79, vcc_lo
	s_delay_alu instid0(SALU_CYCLE_1)
	s_xor_b32 s79, exec_lo, s79
	s_cbranch_execnz .LBB14_7895
; %bb.6265:
	s_and_not1_saveexec_b32 s79, s79
	s_cbranch_execnz .LBB14_7896
.LBB14_6266:
	s_or_b32 exec_lo, exec_lo, s79
	v_mov_b32_e32 v10, 0
	s_and_saveexec_b32 s79, s78
.LBB14_6267:
	v_lshrrev_b32_e32 v10, 24, v30
	s_delay_alu instid0(VALU_DEP_1)
	v_and_or_b32 v10, 0x80, v10, v7
.LBB14_6268:
	s_or_b32 exec_lo, exec_lo, s79
.LBB14_6269:
	s_delay_alu instid0(SALU_CYCLE_1)
	s_or_b32 exec_lo, exec_lo, s77
	flat_store_b8 v[8:9], v10
.LBB14_6270:
	s_wait_xcnt 0x0
	s_or_b32 exec_lo, exec_lo, s76
	s_delay_alu instid0(SALU_CYCLE_1)
	s_or_b32 s0, s0, exec_lo
.LBB14_6271:
	s_or_b32 exec_lo, exec_lo, s73
	s_delay_alu instid0(SALU_CYCLE_1)
	s_and_not1_b32 s73, s60, exec_lo
	s_and_b32 s75, s75, exec_lo
	s_and_b32 s0, s0, exec_lo
	s_or_b32 s73, s73, s75
                                        ; implicit-def: $vgpr7
                                        ; implicit-def: $vgpr30
                                        ; implicit-def: $vgpr8_vgpr9
.LBB14_6272:
	s_and_not1_saveexec_b32 s74, s74
	s_cbranch_execz .LBB14_6316
; %bb.6273:
	s_mov_b32 s76, s0
	s_mov_b32 s75, exec_lo
	v_cmpx_lt_i16_e32 22, v7
	s_xor_b32 s75, exec_lo, s75
	s_cbranch_execz .LBB14_6305
; %bb.6274:
	s_mov_b32 s76, exec_lo
	v_cmpx_lt_i16_e32 23, v7
	s_xor_b32 s76, exec_lo, s76
	s_cbranch_execz .LBB14_6294
; %bb.6275:
	s_mov_b32 s77, exec_lo
	v_cmpx_lt_i16_e32 24, v7
	s_xor_b32 s77, exec_lo, s77
	s_cbranch_execz .LBB14_6283
; %bb.6276:
	v_and_b32_e32 v7, 0x7fffffff, v30
	v_mov_b32_e32 v10, 0x80
	s_mov_b32 s78, exec_lo
	s_delay_alu instid0(VALU_DEP_2)
	v_cmpx_gt_u32_e32 0x47800000, v7
	s_cbranch_execz .LBB14_6282
; %bb.6277:
	v_cmp_lt_u32_e32 vcc_lo, 0x37ffffff, v7
	s_mov_b32 s79, 0
                                        ; implicit-def: $vgpr7
	s_and_saveexec_b32 s88, vcc_lo
	s_delay_alu instid0(SALU_CYCLE_1)
	s_xor_b32 s88, exec_lo, s88
	s_cbranch_execnz .LBB14_7897
; %bb.6278:
	s_and_not1_saveexec_b32 s88, s88
	s_cbranch_execnz .LBB14_7898
.LBB14_6279:
	s_or_b32 exec_lo, exec_lo, s88
	v_mov_b32_e32 v10, 0
	s_and_saveexec_b32 s88, s79
.LBB14_6280:
	v_lshrrev_b32_e32 v10, 24, v30
	s_delay_alu instid0(VALU_DEP_1)
	v_and_or_b32 v10, 0x80, v10, v7
.LBB14_6281:
	s_or_b32 exec_lo, exec_lo, s88
.LBB14_6282:
	s_delay_alu instid0(SALU_CYCLE_1)
	s_or_b32 exec_lo, exec_lo, s78
	flat_store_b8 v[8:9], v10
                                        ; implicit-def: $vgpr30
                                        ; implicit-def: $vgpr8_vgpr9
.LBB14_6283:
	s_wait_xcnt 0x0
	s_and_not1_saveexec_b32 s77, s77
	s_cbranch_execz .LBB14_6293
; %bb.6284:
	v_and_b32_e32 v10, 0x7fffffff, v30
	s_mov_b32 s78, exec_lo
                                        ; implicit-def: $vgpr7
	s_delay_alu instid0(VALU_DEP_1)
	v_cmpx_gt_u32_e32 0x43f00000, v10
	s_xor_b32 s78, exec_lo, s78
	s_cbranch_execz .LBB14_6290
; %bb.6285:
	s_mov_b32 s79, exec_lo
                                        ; implicit-def: $vgpr7
	v_cmpx_lt_u32_e32 0x3c7fffff, v10
	s_xor_b32 s79, exec_lo, s79
; %bb.6286:
	v_bfe_u32 v7, v30, 20, 1
	s_delay_alu instid0(VALU_DEP_1) | instskip(NEXT) | instid1(VALU_DEP_1)
	v_add3_u32 v7, v30, v7, 0x407ffff
	v_and_b32_e32 v10, 0xff00000, v7
	v_lshrrev_b32_e32 v7, 20, v7
	s_delay_alu instid0(VALU_DEP_2) | instskip(NEXT) | instid1(VALU_DEP_2)
	v_cmp_ne_u32_e32 vcc_lo, 0x7f00000, v10
	v_cndmask_b32_e32 v7, 0x7e, v7, vcc_lo
; %bb.6287:
	s_and_not1_saveexec_b32 s79, s79
; %bb.6288:
	v_add_f32_e64 v7, 0x46800000, |v30|
; %bb.6289:
	s_or_b32 exec_lo, exec_lo, s79
                                        ; implicit-def: $vgpr10
.LBB14_6290:
	s_and_not1_saveexec_b32 s78, s78
; %bb.6291:
	v_mov_b32_e32 v7, 0x7f
	v_cmp_lt_u32_e32 vcc_lo, 0x7f800000, v10
	s_delay_alu instid0(VALU_DEP_2)
	v_cndmask_b32_e32 v7, 0x7e, v7, vcc_lo
; %bb.6292:
	s_or_b32 exec_lo, exec_lo, s78
	v_lshrrev_b32_e32 v10, 24, v30
	s_delay_alu instid0(VALU_DEP_1)
	v_and_or_b32 v7, 0x80, v10, v7
	flat_store_b8 v[8:9], v7
.LBB14_6293:
	s_wait_xcnt 0x0
	s_or_b32 exec_lo, exec_lo, s77
                                        ; implicit-def: $vgpr30
                                        ; implicit-def: $vgpr8_vgpr9
.LBB14_6294:
	s_and_not1_saveexec_b32 s76, s76
	s_cbranch_execz .LBB14_6304
; %bb.6295:
	v_and_b32_e32 v10, 0x7fffffff, v30
	s_mov_b32 s77, exec_lo
                                        ; implicit-def: $vgpr7
	s_delay_alu instid0(VALU_DEP_1)
	v_cmpx_gt_u32_e32 0x47800000, v10
	s_xor_b32 s77, exec_lo, s77
	s_cbranch_execz .LBB14_6301
; %bb.6296:
	s_mov_b32 s78, exec_lo
                                        ; implicit-def: $vgpr7
	v_cmpx_lt_u32_e32 0x387fffff, v10
	s_xor_b32 s78, exec_lo, s78
; %bb.6297:
	v_bfe_u32 v7, v30, 21, 1
	s_delay_alu instid0(VALU_DEP_1) | instskip(NEXT) | instid1(VALU_DEP_1)
	v_add3_u32 v7, v30, v7, 0x80fffff
	v_lshrrev_b32_e32 v7, 21, v7
; %bb.6298:
	s_and_not1_saveexec_b32 s78, s78
; %bb.6299:
	v_add_f32_e64 v7, 0x43000000, |v30|
; %bb.6300:
	s_or_b32 exec_lo, exec_lo, s78
                                        ; implicit-def: $vgpr10
.LBB14_6301:
	s_and_not1_saveexec_b32 s77, s77
; %bb.6302:
	v_mov_b32_e32 v7, 0x7f
	v_cmp_lt_u32_e32 vcc_lo, 0x7f800000, v10
	s_delay_alu instid0(VALU_DEP_2)
	v_cndmask_b32_e32 v7, 0x7c, v7, vcc_lo
; %bb.6303:
	s_or_b32 exec_lo, exec_lo, s77
	v_lshrrev_b32_e32 v10, 24, v30
	s_delay_alu instid0(VALU_DEP_1)
	v_and_or_b32 v7, 0x80, v10, v7
	flat_store_b8 v[8:9], v7
.LBB14_6304:
	s_wait_xcnt 0x0
	s_or_b32 exec_lo, exec_lo, s76
	s_delay_alu instid0(SALU_CYCLE_1)
	s_or_b32 s76, s0, exec_lo
                                        ; implicit-def: $vgpr7
                                        ; implicit-def: $vgpr30
                                        ; implicit-def: $vgpr8_vgpr9
.LBB14_6305:
	s_or_saveexec_b32 s75, s75
	s_mov_b32 s77, s73
	s_xor_b32 exec_lo, exec_lo, s75
	s_cbranch_execz .LBB14_6315
; %bb.6306:
	s_mov_b32 s77, s76
	s_mov_b32 s78, s73
	s_mov_b32 s79, exec_lo
	v_cmpx_lt_i16_e32 14, v7
	s_xor_b32 s79, exec_lo, s79
	s_cbranch_execz .LBB14_6310
; %bb.6307:
	s_mov_b32 s88, -1
	s_mov_b32 s77, s76
	s_mov_b32 s78, exec_lo
	v_cmpx_eq_u16_e32 15, v7
	s_cbranch_execz .LBB14_6309
; %bb.6308:
	v_bfe_u32 v7, v30, 16, 1
	v_cmp_o_f32_e32 vcc_lo, v30, v30
	s_xor_b32 s88, exec_lo, -1
	s_or_b32 s77, s76, exec_lo
	s_delay_alu instid0(VALU_DEP_2) | instskip(NEXT) | instid1(VALU_DEP_1)
	v_add3_u32 v7, v30, v7, 0x7fff
	v_lshrrev_b32_e32 v7, 16, v7
	s_delay_alu instid0(VALU_DEP_1)
	v_cndmask_b32_e32 v7, 0x7fc0, v7, vcc_lo
	flat_store_b16 v[8:9], v7
.LBB14_6309:
	s_wait_xcnt 0x0
	s_or_b32 exec_lo, exec_lo, s78
	s_delay_alu instid0(SALU_CYCLE_1)
	s_and_not1_b32 s78, s73, exec_lo
	s_and_b32 s88, s88, exec_lo
	s_and_not1_b32 s89, s76, exec_lo
	s_and_b32 s77, s77, exec_lo
	s_or_b32 s78, s78, s88
	s_or_b32 s77, s89, s77
                                        ; implicit-def: $vgpr7
                                        ; implicit-def: $vgpr30
                                        ; implicit-def: $vgpr8_vgpr9
.LBB14_6310:
	s_and_not1_saveexec_b32 s79, s79
	s_cbranch_execz .LBB14_6314
; %bb.6311:
	s_mov_b32 s89, -1
	s_mov_b32 s88, s77
	s_mov_b32 s90, exec_lo
	v_cmpx_eq_u16_e32 11, v7
	s_cbranch_execz .LBB14_6313
; %bb.6312:
	v_cmp_neq_f32_e32 vcc_lo, 0, v30
	s_xor_b32 s89, exec_lo, -1
	s_or_b32 s88, s77, exec_lo
	v_cndmask_b32_e64 v7, 0, 1, vcc_lo
	flat_store_b8 v[8:9], v7
.LBB14_6313:
	s_wait_xcnt 0x0
	s_or_b32 exec_lo, exec_lo, s90
	s_delay_alu instid0(SALU_CYCLE_1)
	s_and_not1_b32 s78, s78, exec_lo
	s_and_b32 s89, s89, exec_lo
	s_and_not1_b32 s77, s77, exec_lo
	s_and_b32 s88, s88, exec_lo
	s_or_b32 s78, s78, s89
	s_or_b32 s77, s77, s88
.LBB14_6314:
	s_or_b32 exec_lo, exec_lo, s79
	s_delay_alu instid0(SALU_CYCLE_1)
	s_and_not1_b32 s79, s73, exec_lo
	s_and_b32 s78, s78, exec_lo
	s_and_not1_b32 s76, s76, exec_lo
	s_and_b32 s88, s77, exec_lo
	s_or_b32 s77, s79, s78
	s_or_b32 s76, s76, s88
.LBB14_6315:
	s_or_b32 exec_lo, exec_lo, s75
	s_delay_alu instid0(SALU_CYCLE_1)
	s_and_not1_b32 s73, s73, exec_lo
	s_and_b32 s75, s77, exec_lo
	s_and_not1_b32 s0, s0, exec_lo
	s_and_b32 s76, s76, exec_lo
	s_or_b32 s73, s73, s75
	s_or_b32 s0, s0, s76
.LBB14_6316:
	s_or_b32 exec_lo, exec_lo, s74
	s_delay_alu instid0(SALU_CYCLE_1)
	s_and_not1_b32 s74, s60, exec_lo
	s_and_b32 s73, s73, exec_lo
	s_and_b32 s0, s0, exec_lo
	s_or_b32 s73, s74, s73
                                        ; implicit-def: $vgpr7
                                        ; implicit-def: $vgpr30
                                        ; implicit-def: $vgpr8_vgpr9
.LBB14_6317:
	s_and_not1_saveexec_b32 s62, s62
	s_cbranch_execz .LBB14_6359
; %bb.6318:
	s_mov_b32 s74, exec_lo
	v_cmpx_lt_i16_e32 4, v7
	s_xor_b32 s74, exec_lo, s74
	s_cbranch_execz .LBB14_6340
; %bb.6319:
	s_mov_b32 s75, exec_lo
	v_cmpx_lt_i16_e32 7, v7
	s_xor_b32 s75, exec_lo, s75
	;; [unrolled: 5-line block ×4, first 2 shown]
	s_cbranch_execz .LBB14_6323
; %bb.6322:
	v_cvt_f64_f32_e32 v[34:35], v30
	v_mov_b32_e32 v36, 0
                                        ; implicit-def: $vgpr30
	s_delay_alu instid0(VALU_DEP_1)
	v_mov_b32_e32 v37, v36
	flat_store_b128 v[8:9], v[34:37]
                                        ; implicit-def: $vgpr8_vgpr9
.LBB14_6323:
	s_wait_xcnt 0x0
	s_and_not1_saveexec_b32 s77, s77
	s_cbranch_execz .LBB14_6325
; %bb.6324:
	v_mov_b32_e32 v31, 0
	flat_store_b64 v[8:9], v[30:31]
.LBB14_6325:
	s_wait_xcnt 0x0
	s_or_b32 exec_lo, exec_lo, s77
                                        ; implicit-def: $vgpr30
                                        ; implicit-def: $vgpr8_vgpr9
.LBB14_6326:
	s_and_not1_saveexec_b32 s76, s76
	s_cbranch_execz .LBB14_6328
; %bb.6327:
	v_cvt_f16_f32_e32 v7, v30
	s_delay_alu instid0(VALU_DEP_1)
	v_and_b32_e32 v7, 0xffff, v7
	flat_store_b32 v[8:9], v7
.LBB14_6328:
	s_wait_xcnt 0x0
	s_or_b32 exec_lo, exec_lo, s76
                                        ; implicit-def: $vgpr30
                                        ; implicit-def: $vgpr8_vgpr9
                                        ; implicit-def: $vgpr7
.LBB14_6329:
	s_and_not1_saveexec_b32 s75, s75
	s_cbranch_execz .LBB14_6339
; %bb.6330:
	s_mov_b32 s76, exec_lo
	v_cmpx_lt_i16_e32 5, v7
	s_xor_b32 s76, exec_lo, s76
	s_cbranch_execz .LBB14_6336
; %bb.6331:
	s_mov_b32 s77, exec_lo
	v_cmpx_lt_i16_e32 6, v7
	s_xor_b32 s77, exec_lo, s77
	s_cbranch_execz .LBB14_6333
; %bb.6332:
	v_cvt_f64_f32_e32 v[30:31], v30
	flat_store_b64 v[8:9], v[30:31]
                                        ; implicit-def: $vgpr8_vgpr9
                                        ; implicit-def: $vgpr30
.LBB14_6333:
	s_wait_xcnt 0x0
	s_and_not1_saveexec_b32 s77, s77
	s_cbranch_execz .LBB14_6335
; %bb.6334:
	flat_store_b32 v[8:9], v30
.LBB14_6335:
	s_wait_xcnt 0x0
	s_or_b32 exec_lo, exec_lo, s77
                                        ; implicit-def: $vgpr30
                                        ; implicit-def: $vgpr8_vgpr9
.LBB14_6336:
	s_and_not1_saveexec_b32 s76, s76
	s_cbranch_execz .LBB14_6338
; %bb.6337:
	v_cvt_f16_f32_e32 v7, v30
	flat_store_b16 v[8:9], v7
.LBB14_6338:
	s_wait_xcnt 0x0
	s_or_b32 exec_lo, exec_lo, s76
.LBB14_6339:
	s_delay_alu instid0(SALU_CYCLE_1)
	s_or_b32 exec_lo, exec_lo, s75
                                        ; implicit-def: $vgpr7
                                        ; implicit-def: $vgpr30
                                        ; implicit-def: $vgpr8_vgpr9
.LBB14_6340:
	s_and_not1_saveexec_b32 s74, s74
	s_cbranch_execz .LBB14_6358
; %bb.6341:
	s_mov_b32 s75, exec_lo
	v_cmpx_lt_i16_e32 1, v7
	s_xor_b32 s75, exec_lo, s75
	s_cbranch_execz .LBB14_6351
; %bb.6342:
	s_mov_b32 s76, exec_lo
	v_cmpx_lt_i16_e32 2, v7
	s_xor_b32 s76, exec_lo, s76
	;; [unrolled: 5-line block ×3, first 2 shown]
	s_cbranch_execz .LBB14_6345
; %bb.6344:
	v_trunc_f32_e32 v7, v30
	s_delay_alu instid0(VALU_DEP_1) | instskip(SKIP_1) | instid1(VALU_DEP_2)
	v_mul_f32_e64 v10, 0x2f800000, |v7|
	v_ashrrev_i32_e32 v30, 31, v7
	v_floor_f32_e32 v10, v10
	s_delay_alu instid0(VALU_DEP_1) | instskip(SKIP_1) | instid1(VALU_DEP_2)
	v_fma_f32 v31, 0xcf800000, v10, |v7|
	v_cvt_u32_f32_e32 v7, v10
	v_cvt_u32_f32_e32 v10, v31
	s_delay_alu instid0(VALU_DEP_2) | instskip(NEXT) | instid1(VALU_DEP_2)
	v_dual_mov_b32 v31, v30 :: v_dual_bitop2_b32 v35, v7, v30 bitop3:0x14
	v_xor_b32_e32 v34, v10, v30
	s_delay_alu instid0(VALU_DEP_1)
	v_sub_nc_u64_e32 v[30:31], v[34:35], v[30:31]
	flat_store_b64 v[8:9], v[30:31]
                                        ; implicit-def: $vgpr30
                                        ; implicit-def: $vgpr8_vgpr9
.LBB14_6345:
	s_wait_xcnt 0x0
	s_and_not1_saveexec_b32 s77, s77
	s_cbranch_execz .LBB14_6347
; %bb.6346:
	v_cvt_i32_f32_e32 v7, v30
	flat_store_b32 v[8:9], v7
.LBB14_6347:
	s_wait_xcnt 0x0
	s_or_b32 exec_lo, exec_lo, s77
                                        ; implicit-def: $vgpr30
                                        ; implicit-def: $vgpr8_vgpr9
.LBB14_6348:
	s_and_not1_saveexec_b32 s76, s76
	s_cbranch_execz .LBB14_6350
; %bb.6349:
	v_cvt_i32_f32_e32 v7, v30
	flat_store_b16 v[8:9], v7
.LBB14_6350:
	s_wait_xcnt 0x0
	s_or_b32 exec_lo, exec_lo, s76
                                        ; implicit-def: $vgpr30
                                        ; implicit-def: $vgpr8_vgpr9
                                        ; implicit-def: $vgpr7
.LBB14_6351:
	s_and_not1_saveexec_b32 s75, s75
	s_cbranch_execz .LBB14_6357
; %bb.6352:
	s_mov_b32 s76, exec_lo
	v_cmpx_lt_i16_e32 0, v7
	s_xor_b32 s76, exec_lo, s76
	s_cbranch_execz .LBB14_6354
; %bb.6353:
	v_cvt_i32_f32_e32 v7, v30
                                        ; implicit-def: $vgpr30
	flat_store_b8 v[8:9], v7
                                        ; implicit-def: $vgpr8_vgpr9
.LBB14_6354:
	s_wait_xcnt 0x0
	s_and_not1_saveexec_b32 s76, s76
	s_cbranch_execz .LBB14_6356
; %bb.6355:
	v_trunc_f32_e32 v7, v30
	s_delay_alu instid0(VALU_DEP_1) | instskip(NEXT) | instid1(VALU_DEP_1)
	v_mul_f32_e64 v10, 0x2f800000, |v7|
	v_floor_f32_e32 v10, v10
	s_delay_alu instid0(VALU_DEP_1) | instskip(SKIP_1) | instid1(VALU_DEP_2)
	v_fma_f32 v10, 0xcf800000, v10, |v7|
	v_ashrrev_i32_e32 v7, 31, v7
	v_cvt_u32_f32_e32 v10, v10
	s_delay_alu instid0(VALU_DEP_1) | instskip(NEXT) | instid1(VALU_DEP_1)
	v_xor_b32_e32 v10, v10, v7
	v_sub_nc_u32_e32 v7, v10, v7
	flat_store_b8 v[8:9], v7
.LBB14_6356:
	s_wait_xcnt 0x0
	s_or_b32 exec_lo, exec_lo, s76
.LBB14_6357:
	s_delay_alu instid0(SALU_CYCLE_1)
	s_or_b32 exec_lo, exec_lo, s75
.LBB14_6358:
	s_delay_alu instid0(SALU_CYCLE_1) | instskip(NEXT) | instid1(SALU_CYCLE_1)
	s_or_b32 exec_lo, exec_lo, s74
	s_or_b32 s0, s0, exec_lo
.LBB14_6359:
	s_or_b32 exec_lo, exec_lo, s62
	s_mov_b32 s74, 0
	s_mov_b32 s62, 0
	s_and_saveexec_b32 s75, s0
; %bb.6360:
	v_add_nc_u32_e32 v13, 0x200, v13
	s_mov_b32 s74, exec_lo
	s_delay_alu instid0(VALU_DEP_1)
	v_cmp_lt_i32_e32 vcc_lo, v13, v6
	s_and_b32 s62, vcc_lo, exec_lo
; %bb.6361:
	s_or_b32 exec_lo, exec_lo, s75
	s_delay_alu instid0(SALU_CYCLE_1)
	s_and_not1_b32 s0, s60, exec_lo
	s_and_b32 s73, s73, exec_lo
	s_and_b32 s75, s62, exec_lo
	s_or_b32 s62, s0, s73
	s_or_not1_b32 s74, s74, exec_lo
.LBB14_6362:
	s_or_b32 exec_lo, exec_lo, s63
	s_mov_b32 s0, 0
	s_mov_b32 s73, 0
                                        ; implicit-def: $vgpr8
                                        ; implicit-def: $vgpr7
                                        ; implicit-def: $vgpr38_vgpr39
	s_and_saveexec_b32 s63, s74
	s_cbranch_execz .LBB14_7744
; %bb.6363:
	s_mov_b32 s76, -1
	s_mov_b32 s74, 0
	s_mov_b32 s72, s62
	s_and_saveexec_b32 s73, s75
	s_cbranch_execz .LBB14_6491
; %bb.6364:
	v_dual_add_nc_u32 v7, s2, v13 :: v_dual_mov_b32 v9, 0
	s_wait_loadcnt 0x5
	v_mul_f32_e32 v10, v32, v33
	v_cmp_lt_f32_e32 vcc_lo, 0, v33
	s_mov_b32 s75, s62
	v_mul_lo_u32 v8, v7, v12
	v_and_b32_e32 v7, 0xff, v11
	s_mov_b32 s72, exec_lo
	v_cndmask_b32_e32 v30, v10, v33, vcc_lo
	s_delay_alu instid0(VALU_DEP_3) | instskip(NEXT) | instid1(VALU_DEP_3)
	v_add_nc_u64_e32 v[8:9], v[0:1], v[8:9]
	v_cmpx_lt_i16_e32 10, v7
	s_xor_b32 s72, exec_lo, s72
	s_cbranch_execz .LBB14_6446
; %bb.6365:
	s_mov_b32 s75, s62
	s_mov_b32 s76, exec_lo
	v_cmpx_lt_i16_e32 25, v7
	s_xor_b32 s76, exec_lo, s76
	s_cbranch_execz .LBB14_6401
; %bb.6366:
	s_mov_b32 s77, s62
	s_mov_b32 s75, exec_lo
	v_cmpx_lt_i16_e32 28, v7
	s_xor_b32 s75, exec_lo, s75
	s_cbranch_execz .LBB14_6384
; %bb.6367:
	s_mov_b32 s79, s62
	s_mov_b32 s77, exec_lo
	v_cmpx_lt_i16_e32 43, v7
	s_xor_b32 s77, exec_lo, s77
	s_cbranch_execz .LBB14_6379
; %bb.6368:
	s_mov_b32 s78, 0
	s_mov_b32 s79, s62
	s_mov_b32 s0, exec_lo
	v_cmpx_lt_i16_e32 45, v7
	s_xor_b32 s0, exec_lo, s0
	s_cbranch_execz .LBB14_6372
; %bb.6369:
	s_mov_b32 s88, -1
	s_mov_b32 s79, exec_lo
	v_cmpx_eq_u16_e32 46, v7
	s_cbranch_execz .LBB14_6371
; %bb.6370:
	v_bfe_u32 v7, v30, 16, 1
	v_cmp_o_f32_e32 vcc_lo, v30, v30
	s_mov_b32 s78, exec_lo
	s_xor_b32 s88, exec_lo, -1
	s_delay_alu instid0(VALU_DEP_2) | instskip(NEXT) | instid1(VALU_DEP_1)
	v_add3_u32 v7, v30, v7, 0x7fff
	v_lshrrev_b32_e32 v7, 16, v7
	s_delay_alu instid0(VALU_DEP_1)
	v_cndmask_b32_e32 v7, 0x7fc0, v7, vcc_lo
	flat_store_b32 v[8:9], v7
.LBB14_6371:
	s_wait_xcnt 0x0
	s_or_b32 exec_lo, exec_lo, s79
	s_delay_alu instid0(SALU_CYCLE_1)
	s_and_not1_b32 s79, s62, exec_lo
	s_and_b32 s88, s88, exec_lo
	s_and_b32 s78, s78, exec_lo
	s_or_b32 s79, s79, s88
                                        ; implicit-def: $vgpr7
                                        ; implicit-def: $vgpr8_vgpr9
                                        ; implicit-def: $vgpr30
.LBB14_6372:
	s_and_not1_saveexec_b32 s88, s0
	s_cbranch_execz .LBB14_6378
; %bb.6373:
	s_mov_b32 s90, -1
	s_mov_b32 s0, s78
	s_mov_b32 s89, exec_lo
	v_cmpx_eq_u16_e32 44, v7
	s_cbranch_execz .LBB14_6377
; %bb.6374:
	v_bfe_u32 v10, v30, 23, 8
	v_mov_b32_e32 v7, 0xff
	s_mov_b32 s90, exec_lo
	s_delay_alu instid0(VALU_DEP_2)
	v_cmpx_ne_u32_e32 0xff, v10
	s_cbranch_execz .LBB14_6376
; %bb.6375:
	v_and_b32_e32 v7, 0x400000, v30
	v_and_or_b32 v10, 0x3fffff, v30, v10
	s_delay_alu instid0(VALU_DEP_2) | instskip(NEXT) | instid1(VALU_DEP_2)
	v_cmp_ne_u32_e32 vcc_lo, 0, v7
	v_cmp_ne_u32_e64 s0, 0, v10
	v_lshrrev_b32_e32 v7, 23, v30
	s_and_b32 s0, vcc_lo, s0
	s_delay_alu instid0(SALU_CYCLE_1) | instskip(NEXT) | instid1(VALU_DEP_1)
	v_cndmask_b32_e64 v10, 0, 1, s0
	v_add_nc_u32_e32 v7, v7, v10
.LBB14_6376:
	s_or_b32 exec_lo, exec_lo, s90
	s_delay_alu instid0(SALU_CYCLE_1)
	s_xor_b32 s90, exec_lo, -1
	s_or_b32 s0, s78, exec_lo
	flat_store_b8 v[8:9], v7
.LBB14_6377:
	s_wait_xcnt 0x0
	s_or_b32 exec_lo, exec_lo, s89
	s_delay_alu instid0(SALU_CYCLE_1)
	s_and_not1_b32 s79, s79, exec_lo
	s_and_b32 s89, s90, exec_lo
	s_and_not1_b32 s78, s78, exec_lo
	s_and_b32 s0, s0, exec_lo
	s_or_b32 s79, s79, s89
	s_or_b32 s78, s78, s0
.LBB14_6378:
	s_or_b32 exec_lo, exec_lo, s88
	s_delay_alu instid0(SALU_CYCLE_1) | instskip(SKIP_1) | instid1(SALU_CYCLE_1)
	s_and_not1_b32 s0, s62, exec_lo
	s_and_b32 s79, s79, exec_lo
                                        ; implicit-def: $vgpr7
                                        ; implicit-def: $vgpr30
                                        ; implicit-def: $vgpr8_vgpr9
	s_or_b32 s79, s0, s79
	s_and_b32 s0, s78, exec_lo
.LBB14_6379:
	s_and_not1_saveexec_b32 s77, s77
	s_cbranch_execz .LBB14_6383
; %bb.6380:
	s_mov_b32 s89, -1
	s_mov_b32 s88, s0
	s_mov_b32 s78, exec_lo
	v_cmpx_eq_u16_e32 29, v7
	s_cbranch_execz .LBB14_6382
; %bb.6381:
	v_trunc_f32_e32 v7, v30
	s_xor_b32 s89, exec_lo, -1
	s_or_b32 s88, s0, exec_lo
	s_delay_alu instid0(VALU_DEP_1) | instskip(NEXT) | instid1(VALU_DEP_1)
	v_mul_f32_e32 v10, 0x2f800000, v7
	v_floor_f32_e32 v10, v10
	s_delay_alu instid0(VALU_DEP_1) | instskip(SKIP_1) | instid1(VALU_DEP_2)
	v_fmamk_f32 v7, v10, 0xcf800000, v7
	v_cvt_u32_f32_e32 v31, v10
	v_cvt_u32_f32_e32 v30, v7
	flat_store_b64 v[8:9], v[30:31]
.LBB14_6382:
	s_wait_xcnt 0x0
	s_or_b32 exec_lo, exec_lo, s78
	s_delay_alu instid0(SALU_CYCLE_1)
	s_and_not1_b32 s78, s79, exec_lo
	s_and_b32 s79, s89, exec_lo
	s_and_not1_b32 s0, s0, exec_lo
	s_and_b32 s88, s88, exec_lo
	s_or_b32 s79, s78, s79
	s_or_b32 s0, s0, s88
.LBB14_6383:
	s_or_b32 exec_lo, exec_lo, s77
	s_delay_alu instid0(SALU_CYCLE_1)
	s_and_not1_b32 s77, s62, exec_lo
	s_and_b32 s78, s79, exec_lo
	s_and_b32 s0, s0, exec_lo
	s_or_b32 s77, s77, s78
                                        ; implicit-def: $vgpr8_vgpr9
                                        ; implicit-def: $vgpr7
                                        ; implicit-def: $vgpr30
.LBB14_6384:
	s_and_not1_saveexec_b32 s75, s75
	s_cbranch_execz .LBB14_6400
; %bb.6385:
	s_mov_b32 s78, exec_lo
	v_cmpx_lt_i16_e32 26, v7
	s_xor_b32 s78, exec_lo, s78
	s_cbranch_execz .LBB14_6391
; %bb.6386:
	v_cmp_lt_i16_e32 vcc_lo, 27, v7
	v_cvt_u32_f32_e32 v7, v30
	s_and_saveexec_b32 s79, vcc_lo
	s_delay_alu instid0(SALU_CYCLE_1)
	s_xor_b32 s79, exec_lo, s79
	s_cbranch_execz .LBB14_6388
; %bb.6387:
	flat_store_b32 v[8:9], v7
                                        ; implicit-def: $vgpr8_vgpr9
                                        ; implicit-def: $vgpr7
.LBB14_6388:
	s_wait_xcnt 0x0
	s_and_not1_saveexec_b32 s79, s79
	s_cbranch_execz .LBB14_6390
; %bb.6389:
	flat_store_b16 v[8:9], v7
.LBB14_6390:
	s_wait_xcnt 0x0
	s_or_b32 exec_lo, exec_lo, s79
                                        ; implicit-def: $vgpr8_vgpr9
                                        ; implicit-def: $vgpr30
.LBB14_6391:
	s_and_not1_saveexec_b32 s78, s78
	s_cbranch_execz .LBB14_6399
; %bb.6392:
	v_and_b32_e32 v7, 0x7fffffff, v30
	v_mov_b32_e32 v10, 0x80
	s_mov_b32 s79, exec_lo
	s_delay_alu instid0(VALU_DEP_2)
	v_cmpx_gt_u32_e32 0x43800000, v7
	s_cbranch_execz .LBB14_6398
; %bb.6393:
	v_cmp_lt_u32_e32 vcc_lo, 0x3bffffff, v7
	s_mov_b32 s88, 0
                                        ; implicit-def: $vgpr7
	s_and_saveexec_b32 s89, vcc_lo
	s_delay_alu instid0(SALU_CYCLE_1)
	s_xor_b32 s89, exec_lo, s89
	s_cbranch_execnz .LBB14_7899
; %bb.6394:
	s_and_not1_saveexec_b32 s89, s89
	s_cbranch_execnz .LBB14_7900
.LBB14_6395:
	s_or_b32 exec_lo, exec_lo, s89
	v_mov_b32_e32 v10, 0
	s_and_saveexec_b32 s89, s88
.LBB14_6396:
	v_lshrrev_b32_e32 v10, 24, v30
	s_delay_alu instid0(VALU_DEP_1)
	v_and_or_b32 v10, 0x80, v10, v7
.LBB14_6397:
	s_or_b32 exec_lo, exec_lo, s89
.LBB14_6398:
	s_delay_alu instid0(SALU_CYCLE_1)
	s_or_b32 exec_lo, exec_lo, s79
	flat_store_b8 v[8:9], v10
.LBB14_6399:
	s_wait_xcnt 0x0
	s_or_b32 exec_lo, exec_lo, s78
	s_delay_alu instid0(SALU_CYCLE_1)
	s_or_b32 s0, s0, exec_lo
.LBB14_6400:
	s_or_b32 exec_lo, exec_lo, s75
	s_delay_alu instid0(SALU_CYCLE_1)
	s_and_not1_b32 s75, s62, exec_lo
	s_and_b32 s77, s77, exec_lo
	s_and_b32 s0, s0, exec_lo
	s_or_b32 s75, s75, s77
                                        ; implicit-def: $vgpr7
                                        ; implicit-def: $vgpr30
                                        ; implicit-def: $vgpr8_vgpr9
.LBB14_6401:
	s_and_not1_saveexec_b32 s76, s76
	s_cbranch_execz .LBB14_6445
; %bb.6402:
	s_mov_b32 s78, s0
	s_mov_b32 s77, exec_lo
	v_cmpx_lt_i16_e32 22, v7
	s_xor_b32 s77, exec_lo, s77
	s_cbranch_execz .LBB14_6434
; %bb.6403:
	s_mov_b32 s78, exec_lo
	v_cmpx_lt_i16_e32 23, v7
	s_xor_b32 s78, exec_lo, s78
	s_cbranch_execz .LBB14_6423
; %bb.6404:
	;; [unrolled: 5-line block ×3, first 2 shown]
	v_and_b32_e32 v7, 0x7fffffff, v30
	v_mov_b32_e32 v10, 0x80
	s_mov_b32 s88, exec_lo
	s_delay_alu instid0(VALU_DEP_2)
	v_cmpx_gt_u32_e32 0x47800000, v7
	s_cbranch_execz .LBB14_6411
; %bb.6406:
	v_cmp_lt_u32_e32 vcc_lo, 0x37ffffff, v7
	s_mov_b32 s89, 0
                                        ; implicit-def: $vgpr7
	s_and_saveexec_b32 s90, vcc_lo
	s_delay_alu instid0(SALU_CYCLE_1)
	s_xor_b32 s90, exec_lo, s90
	s_cbranch_execnz .LBB14_7901
; %bb.6407:
	s_and_not1_saveexec_b32 s90, s90
	s_cbranch_execnz .LBB14_7902
.LBB14_6408:
	s_or_b32 exec_lo, exec_lo, s90
	v_mov_b32_e32 v10, 0
	s_and_saveexec_b32 s90, s89
.LBB14_6409:
	v_lshrrev_b32_e32 v10, 24, v30
	s_delay_alu instid0(VALU_DEP_1)
	v_and_or_b32 v10, 0x80, v10, v7
.LBB14_6410:
	s_or_b32 exec_lo, exec_lo, s90
.LBB14_6411:
	s_delay_alu instid0(SALU_CYCLE_1)
	s_or_b32 exec_lo, exec_lo, s88
	flat_store_b8 v[8:9], v10
                                        ; implicit-def: $vgpr30
                                        ; implicit-def: $vgpr8_vgpr9
.LBB14_6412:
	s_wait_xcnt 0x0
	s_and_not1_saveexec_b32 s79, s79
	s_cbranch_execz .LBB14_6422
; %bb.6413:
	v_and_b32_e32 v10, 0x7fffffff, v30
	s_mov_b32 s88, exec_lo
                                        ; implicit-def: $vgpr7
	s_delay_alu instid0(VALU_DEP_1)
	v_cmpx_gt_u32_e32 0x43f00000, v10
	s_xor_b32 s88, exec_lo, s88
	s_cbranch_execz .LBB14_6419
; %bb.6414:
	s_mov_b32 s89, exec_lo
                                        ; implicit-def: $vgpr7
	v_cmpx_lt_u32_e32 0x3c7fffff, v10
	s_xor_b32 s89, exec_lo, s89
; %bb.6415:
	v_bfe_u32 v7, v30, 20, 1
	s_delay_alu instid0(VALU_DEP_1) | instskip(NEXT) | instid1(VALU_DEP_1)
	v_add3_u32 v7, v30, v7, 0x407ffff
	v_and_b32_e32 v10, 0xff00000, v7
	v_lshrrev_b32_e32 v7, 20, v7
	s_delay_alu instid0(VALU_DEP_2) | instskip(NEXT) | instid1(VALU_DEP_2)
	v_cmp_ne_u32_e32 vcc_lo, 0x7f00000, v10
	v_cndmask_b32_e32 v7, 0x7e, v7, vcc_lo
; %bb.6416:
	s_and_not1_saveexec_b32 s89, s89
; %bb.6417:
	v_add_f32_e64 v7, 0x46800000, |v30|
; %bb.6418:
	s_or_b32 exec_lo, exec_lo, s89
                                        ; implicit-def: $vgpr10
.LBB14_6419:
	s_and_not1_saveexec_b32 s88, s88
; %bb.6420:
	v_mov_b32_e32 v7, 0x7f
	v_cmp_lt_u32_e32 vcc_lo, 0x7f800000, v10
	s_delay_alu instid0(VALU_DEP_2)
	v_cndmask_b32_e32 v7, 0x7e, v7, vcc_lo
; %bb.6421:
	s_or_b32 exec_lo, exec_lo, s88
	v_lshrrev_b32_e32 v10, 24, v30
	s_delay_alu instid0(VALU_DEP_1)
	v_and_or_b32 v7, 0x80, v10, v7
	flat_store_b8 v[8:9], v7
.LBB14_6422:
	s_wait_xcnt 0x0
	s_or_b32 exec_lo, exec_lo, s79
                                        ; implicit-def: $vgpr30
                                        ; implicit-def: $vgpr8_vgpr9
.LBB14_6423:
	s_and_not1_saveexec_b32 s78, s78
	s_cbranch_execz .LBB14_6433
; %bb.6424:
	v_and_b32_e32 v10, 0x7fffffff, v30
	s_mov_b32 s79, exec_lo
                                        ; implicit-def: $vgpr7
	s_delay_alu instid0(VALU_DEP_1)
	v_cmpx_gt_u32_e32 0x47800000, v10
	s_xor_b32 s79, exec_lo, s79
	s_cbranch_execz .LBB14_6430
; %bb.6425:
	s_mov_b32 s88, exec_lo
                                        ; implicit-def: $vgpr7
	v_cmpx_lt_u32_e32 0x387fffff, v10
	s_xor_b32 s88, exec_lo, s88
; %bb.6426:
	v_bfe_u32 v7, v30, 21, 1
	s_delay_alu instid0(VALU_DEP_1) | instskip(NEXT) | instid1(VALU_DEP_1)
	v_add3_u32 v7, v30, v7, 0x80fffff
	v_lshrrev_b32_e32 v7, 21, v7
; %bb.6427:
	s_and_not1_saveexec_b32 s88, s88
; %bb.6428:
	v_add_f32_e64 v7, 0x43000000, |v30|
; %bb.6429:
	s_or_b32 exec_lo, exec_lo, s88
                                        ; implicit-def: $vgpr10
.LBB14_6430:
	s_and_not1_saveexec_b32 s79, s79
; %bb.6431:
	v_mov_b32_e32 v7, 0x7f
	v_cmp_lt_u32_e32 vcc_lo, 0x7f800000, v10
	s_delay_alu instid0(VALU_DEP_2)
	v_cndmask_b32_e32 v7, 0x7c, v7, vcc_lo
; %bb.6432:
	s_or_b32 exec_lo, exec_lo, s79
	v_lshrrev_b32_e32 v10, 24, v30
	s_delay_alu instid0(VALU_DEP_1)
	v_and_or_b32 v7, 0x80, v10, v7
	flat_store_b8 v[8:9], v7
.LBB14_6433:
	s_wait_xcnt 0x0
	s_or_b32 exec_lo, exec_lo, s78
	s_delay_alu instid0(SALU_CYCLE_1)
	s_or_b32 s78, s0, exec_lo
                                        ; implicit-def: $vgpr7
                                        ; implicit-def: $vgpr30
                                        ; implicit-def: $vgpr8_vgpr9
.LBB14_6434:
	s_or_saveexec_b32 s77, s77
	s_mov_b32 s79, s75
	s_xor_b32 exec_lo, exec_lo, s77
	s_cbranch_execz .LBB14_6444
; %bb.6435:
	s_mov_b32 s79, s78
	s_mov_b32 s88, s75
	s_mov_b32 s89, exec_lo
	v_cmpx_lt_i16_e32 14, v7
	s_xor_b32 s89, exec_lo, s89
	s_cbranch_execz .LBB14_6439
; %bb.6436:
	s_mov_b32 s90, -1
	s_mov_b32 s79, s78
	s_mov_b32 s88, exec_lo
	v_cmpx_eq_u16_e32 15, v7
	s_cbranch_execz .LBB14_6438
; %bb.6437:
	v_bfe_u32 v7, v30, 16, 1
	v_cmp_o_f32_e32 vcc_lo, v30, v30
	s_xor_b32 s90, exec_lo, -1
	s_or_b32 s79, s78, exec_lo
	s_delay_alu instid0(VALU_DEP_2) | instskip(NEXT) | instid1(VALU_DEP_1)
	v_add3_u32 v7, v30, v7, 0x7fff
	v_lshrrev_b32_e32 v7, 16, v7
	s_delay_alu instid0(VALU_DEP_1)
	v_cndmask_b32_e32 v7, 0x7fc0, v7, vcc_lo
	flat_store_b16 v[8:9], v7
.LBB14_6438:
	s_wait_xcnt 0x0
	s_or_b32 exec_lo, exec_lo, s88
	s_delay_alu instid0(SALU_CYCLE_1)
	s_and_not1_b32 s88, s75, exec_lo
	s_and_b32 s90, s90, exec_lo
	s_and_not1_b32 s91, s78, exec_lo
	s_and_b32 s79, s79, exec_lo
	s_or_b32 s88, s88, s90
	s_or_b32 s79, s91, s79
                                        ; implicit-def: $vgpr7
                                        ; implicit-def: $vgpr30
                                        ; implicit-def: $vgpr8_vgpr9
.LBB14_6439:
	s_and_not1_saveexec_b32 s89, s89
	s_cbranch_execz .LBB14_6443
; %bb.6440:
	s_mov_b32 s91, -1
	s_mov_b32 s90, s79
	s_mov_b32 s92, exec_lo
	v_cmpx_eq_u16_e32 11, v7
	s_cbranch_execz .LBB14_6442
; %bb.6441:
	v_cmp_neq_f32_e32 vcc_lo, 0, v30
	s_xor_b32 s91, exec_lo, -1
	s_or_b32 s90, s79, exec_lo
	v_cndmask_b32_e64 v7, 0, 1, vcc_lo
	flat_store_b8 v[8:9], v7
.LBB14_6442:
	s_wait_xcnt 0x0
	s_or_b32 exec_lo, exec_lo, s92
	s_delay_alu instid0(SALU_CYCLE_1)
	s_and_not1_b32 s88, s88, exec_lo
	s_and_b32 s91, s91, exec_lo
	s_and_not1_b32 s79, s79, exec_lo
	s_and_b32 s90, s90, exec_lo
	s_or_b32 s88, s88, s91
	s_or_b32 s79, s79, s90
.LBB14_6443:
	s_or_b32 exec_lo, exec_lo, s89
	s_delay_alu instid0(SALU_CYCLE_1)
	s_and_not1_b32 s89, s75, exec_lo
	s_and_b32 s88, s88, exec_lo
	s_and_not1_b32 s78, s78, exec_lo
	s_and_b32 s90, s79, exec_lo
	s_or_b32 s79, s89, s88
	s_or_b32 s78, s78, s90
.LBB14_6444:
	s_or_b32 exec_lo, exec_lo, s77
	s_delay_alu instid0(SALU_CYCLE_1)
	s_and_not1_b32 s75, s75, exec_lo
	s_and_b32 s77, s79, exec_lo
	s_and_not1_b32 s0, s0, exec_lo
	s_and_b32 s78, s78, exec_lo
	s_or_b32 s75, s75, s77
	s_or_b32 s0, s0, s78
.LBB14_6445:
	s_or_b32 exec_lo, exec_lo, s76
	s_delay_alu instid0(SALU_CYCLE_1)
	s_and_not1_b32 s76, s62, exec_lo
	s_and_b32 s75, s75, exec_lo
	s_and_b32 s0, s0, exec_lo
	s_or_b32 s75, s76, s75
                                        ; implicit-def: $vgpr7
                                        ; implicit-def: $vgpr30
                                        ; implicit-def: $vgpr8_vgpr9
.LBB14_6446:
	s_and_not1_saveexec_b32 s72, s72
	s_cbranch_execz .LBB14_6488
; %bb.6447:
	s_mov_b32 s76, exec_lo
	v_cmpx_lt_i16_e32 4, v7
	s_xor_b32 s76, exec_lo, s76
	s_cbranch_execz .LBB14_6469
; %bb.6448:
	s_mov_b32 s77, exec_lo
	v_cmpx_lt_i16_e32 7, v7
	s_xor_b32 s77, exec_lo, s77
	;; [unrolled: 5-line block ×4, first 2 shown]
	s_cbranch_execz .LBB14_6452
; %bb.6451:
	v_cvt_f64_f32_e32 v[30:31], v30
	v_mov_b32_e32 v32, 0
	s_delay_alu instid0(VALU_DEP_1)
	v_mov_b32_e32 v33, v32
	flat_store_b128 v[8:9], v[30:33]
                                        ; implicit-def: $vgpr30
                                        ; implicit-def: $vgpr8_vgpr9
.LBB14_6452:
	s_wait_xcnt 0x0
	s_and_not1_saveexec_b32 s79, s79
	s_cbranch_execz .LBB14_6454
; %bb.6453:
	v_mov_b32_e32 v31, 0
	flat_store_b64 v[8:9], v[30:31]
.LBB14_6454:
	s_wait_xcnt 0x0
	s_or_b32 exec_lo, exec_lo, s79
                                        ; implicit-def: $vgpr30
                                        ; implicit-def: $vgpr8_vgpr9
.LBB14_6455:
	s_and_not1_saveexec_b32 s78, s78
	s_cbranch_execz .LBB14_6457
; %bb.6456:
	v_cvt_f16_f32_e32 v7, v30
	s_delay_alu instid0(VALU_DEP_1)
	v_and_b32_e32 v7, 0xffff, v7
	flat_store_b32 v[8:9], v7
.LBB14_6457:
	s_wait_xcnt 0x0
	s_or_b32 exec_lo, exec_lo, s78
                                        ; implicit-def: $vgpr30
                                        ; implicit-def: $vgpr8_vgpr9
                                        ; implicit-def: $vgpr7
.LBB14_6458:
	s_and_not1_saveexec_b32 s77, s77
	s_cbranch_execz .LBB14_6468
; %bb.6459:
	s_mov_b32 s78, exec_lo
	v_cmpx_lt_i16_e32 5, v7
	s_xor_b32 s78, exec_lo, s78
	s_cbranch_execz .LBB14_6465
; %bb.6460:
	s_mov_b32 s79, exec_lo
	v_cmpx_lt_i16_e32 6, v7
	s_xor_b32 s79, exec_lo, s79
	s_cbranch_execz .LBB14_6462
; %bb.6461:
	v_cvt_f64_f32_e32 v[30:31], v30
	flat_store_b64 v[8:9], v[30:31]
                                        ; implicit-def: $vgpr8_vgpr9
                                        ; implicit-def: $vgpr30
.LBB14_6462:
	s_wait_xcnt 0x0
	s_and_not1_saveexec_b32 s79, s79
	s_cbranch_execz .LBB14_6464
; %bb.6463:
	flat_store_b32 v[8:9], v30
.LBB14_6464:
	s_wait_xcnt 0x0
	s_or_b32 exec_lo, exec_lo, s79
                                        ; implicit-def: $vgpr30
                                        ; implicit-def: $vgpr8_vgpr9
.LBB14_6465:
	s_and_not1_saveexec_b32 s78, s78
	s_cbranch_execz .LBB14_6467
; %bb.6466:
	v_cvt_f16_f32_e32 v7, v30
	flat_store_b16 v[8:9], v7
.LBB14_6467:
	s_wait_xcnt 0x0
	s_or_b32 exec_lo, exec_lo, s78
.LBB14_6468:
	s_delay_alu instid0(SALU_CYCLE_1)
	s_or_b32 exec_lo, exec_lo, s77
                                        ; implicit-def: $vgpr7
                                        ; implicit-def: $vgpr30
                                        ; implicit-def: $vgpr8_vgpr9
.LBB14_6469:
	s_and_not1_saveexec_b32 s76, s76
	s_cbranch_execz .LBB14_6487
; %bb.6470:
	s_mov_b32 s77, exec_lo
	v_cmpx_lt_i16_e32 1, v7
	s_xor_b32 s77, exec_lo, s77
	s_cbranch_execz .LBB14_6480
; %bb.6471:
	s_mov_b32 s78, exec_lo
	v_cmpx_lt_i16_e32 2, v7
	s_xor_b32 s78, exec_lo, s78
	;; [unrolled: 5-line block ×3, first 2 shown]
	s_cbranch_execz .LBB14_6474
; %bb.6473:
	v_trunc_f32_e32 v7, v30
	s_delay_alu instid0(VALU_DEP_1) | instskip(SKIP_1) | instid1(VALU_DEP_2)
	v_mul_f32_e64 v10, 0x2f800000, |v7|
	v_ashrrev_i32_e32 v30, 31, v7
	v_floor_f32_e32 v10, v10
	s_delay_alu instid0(VALU_DEP_1) | instskip(SKIP_1) | instid1(VALU_DEP_2)
	v_fma_f32 v31, 0xcf800000, v10, |v7|
	v_cvt_u32_f32_e32 v7, v10
	v_cvt_u32_f32_e32 v10, v31
	s_delay_alu instid0(VALU_DEP_2) | instskip(NEXT) | instid1(VALU_DEP_2)
	v_dual_mov_b32 v31, v30 :: v_dual_bitop2_b32 v33, v7, v30 bitop3:0x14
	v_xor_b32_e32 v32, v10, v30
	s_delay_alu instid0(VALU_DEP_1)
	v_sub_nc_u64_e32 v[30:31], v[32:33], v[30:31]
	flat_store_b64 v[8:9], v[30:31]
                                        ; implicit-def: $vgpr30
                                        ; implicit-def: $vgpr8_vgpr9
.LBB14_6474:
	s_wait_xcnt 0x0
	s_and_not1_saveexec_b32 s79, s79
	s_cbranch_execz .LBB14_6476
; %bb.6475:
	v_cvt_i32_f32_e32 v7, v30
	flat_store_b32 v[8:9], v7
.LBB14_6476:
	s_wait_xcnt 0x0
	s_or_b32 exec_lo, exec_lo, s79
                                        ; implicit-def: $vgpr30
                                        ; implicit-def: $vgpr8_vgpr9
.LBB14_6477:
	s_and_not1_saveexec_b32 s78, s78
	s_cbranch_execz .LBB14_6479
; %bb.6478:
	v_cvt_i32_f32_e32 v7, v30
	flat_store_b16 v[8:9], v7
.LBB14_6479:
	s_wait_xcnt 0x0
	s_or_b32 exec_lo, exec_lo, s78
                                        ; implicit-def: $vgpr30
                                        ; implicit-def: $vgpr8_vgpr9
                                        ; implicit-def: $vgpr7
.LBB14_6480:
	s_and_not1_saveexec_b32 s77, s77
	s_cbranch_execz .LBB14_6486
; %bb.6481:
	s_mov_b32 s78, exec_lo
	v_cmpx_lt_i16_e32 0, v7
	s_xor_b32 s78, exec_lo, s78
	s_cbranch_execz .LBB14_6483
; %bb.6482:
	v_cvt_i32_f32_e32 v7, v30
                                        ; implicit-def: $vgpr30
	flat_store_b8 v[8:9], v7
                                        ; implicit-def: $vgpr8_vgpr9
.LBB14_6483:
	s_wait_xcnt 0x0
	s_and_not1_saveexec_b32 s78, s78
	s_cbranch_execz .LBB14_6485
; %bb.6484:
	v_trunc_f32_e32 v7, v30
	s_delay_alu instid0(VALU_DEP_1) | instskip(NEXT) | instid1(VALU_DEP_1)
	v_mul_f32_e64 v10, 0x2f800000, |v7|
	v_floor_f32_e32 v10, v10
	s_delay_alu instid0(VALU_DEP_1) | instskip(SKIP_1) | instid1(VALU_DEP_2)
	v_fma_f32 v10, 0xcf800000, v10, |v7|
	v_ashrrev_i32_e32 v7, 31, v7
	v_cvt_u32_f32_e32 v10, v10
	s_delay_alu instid0(VALU_DEP_1) | instskip(NEXT) | instid1(VALU_DEP_1)
	v_xor_b32_e32 v10, v10, v7
	v_sub_nc_u32_e32 v7, v10, v7
	flat_store_b8 v[8:9], v7
.LBB14_6485:
	s_wait_xcnt 0x0
	s_or_b32 exec_lo, exec_lo, s78
.LBB14_6486:
	s_delay_alu instid0(SALU_CYCLE_1)
	s_or_b32 exec_lo, exec_lo, s77
.LBB14_6487:
	s_delay_alu instid0(SALU_CYCLE_1) | instskip(NEXT) | instid1(SALU_CYCLE_1)
	s_or_b32 exec_lo, exec_lo, s76
	s_or_b32 s0, s0, exec_lo
.LBB14_6488:
	s_or_b32 exec_lo, exec_lo, s72
	s_mov_b32 s76, 0
	s_mov_b32 s72, 0
	s_and_saveexec_b32 s77, s0
; %bb.6489:
	v_add_nc_u32_e32 v13, 0x200, v13
	s_mov_b32 s76, exec_lo
	s_delay_alu instid0(VALU_DEP_1)
	v_cmp_lt_i32_e32 vcc_lo, v13, v6
	s_and_b32 s72, vcc_lo, exec_lo
; %bb.6490:
	s_or_b32 exec_lo, exec_lo, s77
	s_delay_alu instid0(SALU_CYCLE_1)
	s_and_not1_b32 s77, s62, exec_lo
	s_and_b32 s75, s75, exec_lo
	s_and_b32 s0, s72, exec_lo
	s_or_b32 s72, s77, s75
	s_or_not1_b32 s76, s76, exec_lo
.LBB14_6491:
	s_or_b32 exec_lo, exec_lo, s73
	s_mov_b32 s75, 0
	s_mov_b32 s77, 0
                                        ; implicit-def: $vgpr8
                                        ; implicit-def: $vgpr7
                                        ; implicit-def: $vgpr38_vgpr39
	s_and_saveexec_b32 s73, s76
	s_cbranch_execz .LBB14_7743
; %bb.6492:
	s_mov_b32 s78, -1
	s_mov_b32 s76, 0
	s_mov_b32 s74, s72
	;; [unrolled: 1-line block ×3, first 2 shown]
	s_and_saveexec_b32 s75, s0
	s_cbranch_execz .LBB14_6620
; %bb.6493:
	v_dual_add_nc_u32 v7, s2, v13 :: v_dual_mov_b32 v9, 0
	s_wait_loadcnt 0x4
	v_mul_f32_e32 v10, v26, v27
	v_cmp_lt_f32_e32 vcc_lo, 0, v27
	s_mov_b32 s0, 0
	v_mul_lo_u32 v8, v7, v12
	v_and_b32_e32 v7, 0xff, v11
	s_mov_b32 s77, s72
	v_cndmask_b32_e32 v26, v10, v27, vcc_lo
	s_mov_b32 s74, exec_lo
	s_delay_alu instid0(VALU_DEP_3)
	v_add_nc_u64_e32 v[8:9], v[0:1], v[8:9]
	v_cmpx_lt_i16_e32 10, v7
	s_xor_b32 s74, exec_lo, s74
	s_cbranch_execz .LBB14_6575
; %bb.6494:
	s_mov_b32 s77, s72
	s_mov_b32 s78, exec_lo
	v_cmpx_lt_i16_e32 25, v7
	s_xor_b32 s78, exec_lo, s78
	s_cbranch_execz .LBB14_6530
; %bb.6495:
	s_mov_b32 s79, s72
	s_mov_b32 s77, exec_lo
	;; [unrolled: 6-line block ×3, first 2 shown]
	v_cmpx_lt_i16_e32 43, v7
	s_xor_b32 s79, exec_lo, s79
	s_cbranch_execz .LBB14_6508
; %bb.6497:
	s_mov_b32 s88, 0
	s_mov_b32 s89, s72
	s_mov_b32 s0, exec_lo
	v_cmpx_lt_i16_e32 45, v7
	s_xor_b32 s0, exec_lo, s0
	s_cbranch_execz .LBB14_6501
; %bb.6498:
	s_mov_b32 s90, -1
	s_mov_b32 s89, exec_lo
	v_cmpx_eq_u16_e32 46, v7
	s_cbranch_execz .LBB14_6500
; %bb.6499:
	v_bfe_u32 v7, v26, 16, 1
	v_cmp_o_f32_e32 vcc_lo, v26, v26
	s_mov_b32 s88, exec_lo
	s_xor_b32 s90, exec_lo, -1
	s_delay_alu instid0(VALU_DEP_2) | instskip(NEXT) | instid1(VALU_DEP_1)
	v_add3_u32 v7, v26, v7, 0x7fff
	v_lshrrev_b32_e32 v7, 16, v7
	s_delay_alu instid0(VALU_DEP_1)
	v_cndmask_b32_e32 v7, 0x7fc0, v7, vcc_lo
	flat_store_b32 v[8:9], v7
.LBB14_6500:
	s_wait_xcnt 0x0
	s_or_b32 exec_lo, exec_lo, s89
	s_delay_alu instid0(SALU_CYCLE_1)
	s_and_not1_b32 s89, s72, exec_lo
	s_and_b32 s90, s90, exec_lo
	s_and_b32 s88, s88, exec_lo
	s_or_b32 s89, s89, s90
                                        ; implicit-def: $vgpr7
                                        ; implicit-def: $vgpr8_vgpr9
                                        ; implicit-def: $vgpr26
.LBB14_6501:
	s_and_not1_saveexec_b32 s90, s0
	s_cbranch_execz .LBB14_6507
; %bb.6502:
	s_mov_b32 s92, -1
	s_mov_b32 s0, s88
	s_mov_b32 s91, exec_lo
	v_cmpx_eq_u16_e32 44, v7
	s_cbranch_execz .LBB14_6506
; %bb.6503:
	v_bfe_u32 v10, v26, 23, 8
	v_mov_b32_e32 v7, 0xff
	s_mov_b32 s92, exec_lo
	s_delay_alu instid0(VALU_DEP_2)
	v_cmpx_ne_u32_e32 0xff, v10
	s_cbranch_execz .LBB14_6505
; %bb.6504:
	v_and_b32_e32 v7, 0x400000, v26
	v_and_or_b32 v10, 0x3fffff, v26, v10
	s_delay_alu instid0(VALU_DEP_2) | instskip(NEXT) | instid1(VALU_DEP_2)
	v_cmp_ne_u32_e32 vcc_lo, 0, v7
	v_cmp_ne_u32_e64 s0, 0, v10
	v_lshrrev_b32_e32 v7, 23, v26
	s_and_b32 s0, vcc_lo, s0
	s_delay_alu instid0(SALU_CYCLE_1) | instskip(NEXT) | instid1(VALU_DEP_1)
	v_cndmask_b32_e64 v10, 0, 1, s0
	v_add_nc_u32_e32 v7, v7, v10
.LBB14_6505:
	s_or_b32 exec_lo, exec_lo, s92
	s_delay_alu instid0(SALU_CYCLE_1)
	s_xor_b32 s92, exec_lo, -1
	s_or_b32 s0, s88, exec_lo
	flat_store_b8 v[8:9], v7
.LBB14_6506:
	s_wait_xcnt 0x0
	s_or_b32 exec_lo, exec_lo, s91
	s_delay_alu instid0(SALU_CYCLE_1)
	s_and_not1_b32 s89, s89, exec_lo
	s_and_b32 s91, s92, exec_lo
	s_and_not1_b32 s88, s88, exec_lo
	s_and_b32 s0, s0, exec_lo
	s_or_b32 s89, s89, s91
	s_or_b32 s88, s88, s0
.LBB14_6507:
	s_or_b32 exec_lo, exec_lo, s90
	s_delay_alu instid0(SALU_CYCLE_1) | instskip(SKIP_1) | instid1(SALU_CYCLE_1)
	s_and_not1_b32 s0, s72, exec_lo
	s_and_b32 s89, s89, exec_lo
                                        ; implicit-def: $vgpr7
                                        ; implicit-def: $vgpr26
                                        ; implicit-def: $vgpr8_vgpr9
	s_or_b32 s89, s0, s89
	s_and_b32 s0, s88, exec_lo
.LBB14_6508:
	s_and_not1_saveexec_b32 s79, s79
	s_cbranch_execz .LBB14_6512
; %bb.6509:
	s_mov_b32 s91, -1
	s_mov_b32 s90, s0
	s_mov_b32 s88, exec_lo
	v_cmpx_eq_u16_e32 29, v7
	s_cbranch_execz .LBB14_6511
; %bb.6510:
	v_trunc_f32_e32 v7, v26
	s_xor_b32 s91, exec_lo, -1
	s_or_b32 s90, s0, exec_lo
	s_delay_alu instid0(VALU_DEP_1) | instskip(NEXT) | instid1(VALU_DEP_1)
	v_mul_f32_e32 v10, 0x2f800000, v7
	v_floor_f32_e32 v10, v10
	s_delay_alu instid0(VALU_DEP_1) | instskip(SKIP_1) | instid1(VALU_DEP_2)
	v_fmamk_f32 v7, v10, 0xcf800000, v7
	v_cvt_u32_f32_e32 v27, v10
	v_cvt_u32_f32_e32 v26, v7
	flat_store_b64 v[8:9], v[26:27]
.LBB14_6511:
	s_wait_xcnt 0x0
	s_or_b32 exec_lo, exec_lo, s88
	s_delay_alu instid0(SALU_CYCLE_1)
	s_and_not1_b32 s88, s89, exec_lo
	s_and_b32 s89, s91, exec_lo
	s_and_not1_b32 s0, s0, exec_lo
	s_and_b32 s90, s90, exec_lo
	s_or_b32 s89, s88, s89
	s_or_b32 s0, s0, s90
.LBB14_6512:
	s_or_b32 exec_lo, exec_lo, s79
	s_delay_alu instid0(SALU_CYCLE_1)
	s_and_not1_b32 s79, s72, exec_lo
	s_and_b32 s88, s89, exec_lo
	s_and_b32 s0, s0, exec_lo
	s_or_b32 s79, s79, s88
                                        ; implicit-def: $vgpr8_vgpr9
                                        ; implicit-def: $vgpr7
                                        ; implicit-def: $vgpr26
.LBB14_6513:
	s_and_not1_saveexec_b32 s77, s77
	s_cbranch_execz .LBB14_6529
; %bb.6514:
	s_mov_b32 s88, exec_lo
	v_cmpx_lt_i16_e32 26, v7
	s_xor_b32 s88, exec_lo, s88
	s_cbranch_execz .LBB14_6520
; %bb.6515:
	v_cmp_lt_i16_e32 vcc_lo, 27, v7
	v_cvt_u32_f32_e32 v7, v26
	s_and_saveexec_b32 s89, vcc_lo
	s_delay_alu instid0(SALU_CYCLE_1)
	s_xor_b32 s89, exec_lo, s89
	s_cbranch_execz .LBB14_6517
; %bb.6516:
	flat_store_b32 v[8:9], v7
                                        ; implicit-def: $vgpr8_vgpr9
                                        ; implicit-def: $vgpr7
.LBB14_6517:
	s_wait_xcnt 0x0
	s_and_not1_saveexec_b32 s89, s89
	s_cbranch_execz .LBB14_6519
; %bb.6518:
	flat_store_b16 v[8:9], v7
.LBB14_6519:
	s_wait_xcnt 0x0
	s_or_b32 exec_lo, exec_lo, s89
                                        ; implicit-def: $vgpr8_vgpr9
                                        ; implicit-def: $vgpr26
.LBB14_6520:
	s_and_not1_saveexec_b32 s88, s88
	s_cbranch_execz .LBB14_6528
; %bb.6521:
	v_and_b32_e32 v7, 0x7fffffff, v26
	v_mov_b32_e32 v10, 0x80
	s_mov_b32 s89, exec_lo
	s_delay_alu instid0(VALU_DEP_2)
	v_cmpx_gt_u32_e32 0x43800000, v7
	s_cbranch_execz .LBB14_6527
; %bb.6522:
	v_cmp_lt_u32_e32 vcc_lo, 0x3bffffff, v7
	s_mov_b32 s90, 0
                                        ; implicit-def: $vgpr7
	s_and_saveexec_b32 s91, vcc_lo
	s_delay_alu instid0(SALU_CYCLE_1)
	s_xor_b32 s91, exec_lo, s91
	s_cbranch_execnz .LBB14_7903
; %bb.6523:
	s_and_not1_saveexec_b32 s91, s91
	s_cbranch_execnz .LBB14_7904
.LBB14_6524:
	s_or_b32 exec_lo, exec_lo, s91
	v_mov_b32_e32 v10, 0
	s_and_saveexec_b32 s91, s90
.LBB14_6525:
	v_lshrrev_b32_e32 v10, 24, v26
	s_delay_alu instid0(VALU_DEP_1)
	v_and_or_b32 v10, 0x80, v10, v7
.LBB14_6526:
	s_or_b32 exec_lo, exec_lo, s91
.LBB14_6527:
	s_delay_alu instid0(SALU_CYCLE_1)
	s_or_b32 exec_lo, exec_lo, s89
	flat_store_b8 v[8:9], v10
.LBB14_6528:
	s_wait_xcnt 0x0
	s_or_b32 exec_lo, exec_lo, s88
	s_delay_alu instid0(SALU_CYCLE_1)
	s_or_b32 s0, s0, exec_lo
.LBB14_6529:
	s_or_b32 exec_lo, exec_lo, s77
	s_delay_alu instid0(SALU_CYCLE_1)
	s_and_not1_b32 s77, s72, exec_lo
	s_and_b32 s79, s79, exec_lo
	s_and_b32 s0, s0, exec_lo
	s_or_b32 s77, s77, s79
                                        ; implicit-def: $vgpr7
                                        ; implicit-def: $vgpr26
                                        ; implicit-def: $vgpr8_vgpr9
.LBB14_6530:
	s_and_not1_saveexec_b32 s78, s78
	s_cbranch_execz .LBB14_6574
; %bb.6531:
	s_mov_b32 s88, s0
	s_mov_b32 s79, exec_lo
	v_cmpx_lt_i16_e32 22, v7
	s_xor_b32 s79, exec_lo, s79
	s_cbranch_execz .LBB14_6563
; %bb.6532:
	s_mov_b32 s88, exec_lo
	v_cmpx_lt_i16_e32 23, v7
	s_xor_b32 s88, exec_lo, s88
	s_cbranch_execz .LBB14_6552
; %bb.6533:
	;; [unrolled: 5-line block ×3, first 2 shown]
	v_and_b32_e32 v7, 0x7fffffff, v26
	v_mov_b32_e32 v10, 0x80
	s_mov_b32 s90, exec_lo
	s_delay_alu instid0(VALU_DEP_2)
	v_cmpx_gt_u32_e32 0x47800000, v7
	s_cbranch_execz .LBB14_6540
; %bb.6535:
	v_cmp_lt_u32_e32 vcc_lo, 0x37ffffff, v7
	s_mov_b32 s91, 0
                                        ; implicit-def: $vgpr7
	s_and_saveexec_b32 s92, vcc_lo
	s_delay_alu instid0(SALU_CYCLE_1)
	s_xor_b32 s92, exec_lo, s92
	s_cbranch_execnz .LBB14_7905
; %bb.6536:
	s_and_not1_saveexec_b32 s92, s92
	s_cbranch_execnz .LBB14_7906
.LBB14_6537:
	s_or_b32 exec_lo, exec_lo, s92
	v_mov_b32_e32 v10, 0
	s_and_saveexec_b32 s92, s91
.LBB14_6538:
	v_lshrrev_b32_e32 v10, 24, v26
	s_delay_alu instid0(VALU_DEP_1)
	v_and_or_b32 v10, 0x80, v10, v7
.LBB14_6539:
	s_or_b32 exec_lo, exec_lo, s92
.LBB14_6540:
	s_delay_alu instid0(SALU_CYCLE_1)
	s_or_b32 exec_lo, exec_lo, s90
	flat_store_b8 v[8:9], v10
                                        ; implicit-def: $vgpr26
                                        ; implicit-def: $vgpr8_vgpr9
.LBB14_6541:
	s_wait_xcnt 0x0
	s_and_not1_saveexec_b32 s89, s89
	s_cbranch_execz .LBB14_6551
; %bb.6542:
	v_and_b32_e32 v10, 0x7fffffff, v26
	s_mov_b32 s90, exec_lo
                                        ; implicit-def: $vgpr7
	s_delay_alu instid0(VALU_DEP_1)
	v_cmpx_gt_u32_e32 0x43f00000, v10
	s_xor_b32 s90, exec_lo, s90
	s_cbranch_execz .LBB14_6548
; %bb.6543:
	s_mov_b32 s91, exec_lo
                                        ; implicit-def: $vgpr7
	v_cmpx_lt_u32_e32 0x3c7fffff, v10
	s_xor_b32 s91, exec_lo, s91
; %bb.6544:
	v_bfe_u32 v7, v26, 20, 1
	s_delay_alu instid0(VALU_DEP_1) | instskip(NEXT) | instid1(VALU_DEP_1)
	v_add3_u32 v7, v26, v7, 0x407ffff
	v_and_b32_e32 v10, 0xff00000, v7
	v_lshrrev_b32_e32 v7, 20, v7
	s_delay_alu instid0(VALU_DEP_2) | instskip(NEXT) | instid1(VALU_DEP_2)
	v_cmp_ne_u32_e32 vcc_lo, 0x7f00000, v10
	v_cndmask_b32_e32 v7, 0x7e, v7, vcc_lo
; %bb.6545:
	s_and_not1_saveexec_b32 s91, s91
; %bb.6546:
	v_add_f32_e64 v7, 0x46800000, |v26|
; %bb.6547:
	s_or_b32 exec_lo, exec_lo, s91
                                        ; implicit-def: $vgpr10
.LBB14_6548:
	s_and_not1_saveexec_b32 s90, s90
; %bb.6549:
	v_mov_b32_e32 v7, 0x7f
	v_cmp_lt_u32_e32 vcc_lo, 0x7f800000, v10
	s_delay_alu instid0(VALU_DEP_2)
	v_cndmask_b32_e32 v7, 0x7e, v7, vcc_lo
; %bb.6550:
	s_or_b32 exec_lo, exec_lo, s90
	v_lshrrev_b32_e32 v10, 24, v26
	s_delay_alu instid0(VALU_DEP_1)
	v_and_or_b32 v7, 0x80, v10, v7
	flat_store_b8 v[8:9], v7
.LBB14_6551:
	s_wait_xcnt 0x0
	s_or_b32 exec_lo, exec_lo, s89
                                        ; implicit-def: $vgpr26
                                        ; implicit-def: $vgpr8_vgpr9
.LBB14_6552:
	s_and_not1_saveexec_b32 s88, s88
	s_cbranch_execz .LBB14_6562
; %bb.6553:
	v_and_b32_e32 v10, 0x7fffffff, v26
	s_mov_b32 s89, exec_lo
                                        ; implicit-def: $vgpr7
	s_delay_alu instid0(VALU_DEP_1)
	v_cmpx_gt_u32_e32 0x47800000, v10
	s_xor_b32 s89, exec_lo, s89
	s_cbranch_execz .LBB14_6559
; %bb.6554:
	s_mov_b32 s90, exec_lo
                                        ; implicit-def: $vgpr7
	v_cmpx_lt_u32_e32 0x387fffff, v10
	s_xor_b32 s90, exec_lo, s90
; %bb.6555:
	v_bfe_u32 v7, v26, 21, 1
	s_delay_alu instid0(VALU_DEP_1) | instskip(NEXT) | instid1(VALU_DEP_1)
	v_add3_u32 v7, v26, v7, 0x80fffff
	v_lshrrev_b32_e32 v7, 21, v7
; %bb.6556:
	s_and_not1_saveexec_b32 s90, s90
; %bb.6557:
	v_add_f32_e64 v7, 0x43000000, |v26|
; %bb.6558:
	s_or_b32 exec_lo, exec_lo, s90
                                        ; implicit-def: $vgpr10
.LBB14_6559:
	s_and_not1_saveexec_b32 s89, s89
; %bb.6560:
	v_mov_b32_e32 v7, 0x7f
	v_cmp_lt_u32_e32 vcc_lo, 0x7f800000, v10
	s_delay_alu instid0(VALU_DEP_2)
	v_cndmask_b32_e32 v7, 0x7c, v7, vcc_lo
; %bb.6561:
	s_or_b32 exec_lo, exec_lo, s89
	v_lshrrev_b32_e32 v10, 24, v26
	s_delay_alu instid0(VALU_DEP_1)
	v_and_or_b32 v7, 0x80, v10, v7
	flat_store_b8 v[8:9], v7
.LBB14_6562:
	s_wait_xcnt 0x0
	s_or_b32 exec_lo, exec_lo, s88
	s_delay_alu instid0(SALU_CYCLE_1)
	s_or_b32 s88, s0, exec_lo
                                        ; implicit-def: $vgpr7
                                        ; implicit-def: $vgpr26
                                        ; implicit-def: $vgpr8_vgpr9
.LBB14_6563:
	s_or_saveexec_b32 s79, s79
	s_mov_b32 s89, s77
	s_xor_b32 exec_lo, exec_lo, s79
	s_cbranch_execz .LBB14_6573
; %bb.6564:
	s_mov_b32 s89, s88
	s_mov_b32 s90, s77
	s_mov_b32 s91, exec_lo
	v_cmpx_lt_i16_e32 14, v7
	s_xor_b32 s91, exec_lo, s91
	s_cbranch_execz .LBB14_6568
; %bb.6565:
	s_mov_b32 s92, -1
	s_mov_b32 s89, s88
	s_mov_b32 s90, exec_lo
	v_cmpx_eq_u16_e32 15, v7
	s_cbranch_execz .LBB14_6567
; %bb.6566:
	v_bfe_u32 v7, v26, 16, 1
	v_cmp_o_f32_e32 vcc_lo, v26, v26
	s_xor_b32 s92, exec_lo, -1
	s_or_b32 s89, s88, exec_lo
	s_delay_alu instid0(VALU_DEP_2) | instskip(NEXT) | instid1(VALU_DEP_1)
	v_add3_u32 v7, v26, v7, 0x7fff
	v_lshrrev_b32_e32 v7, 16, v7
	s_delay_alu instid0(VALU_DEP_1)
	v_cndmask_b32_e32 v7, 0x7fc0, v7, vcc_lo
	flat_store_b16 v[8:9], v7
.LBB14_6567:
	s_wait_xcnt 0x0
	s_or_b32 exec_lo, exec_lo, s90
	s_delay_alu instid0(SALU_CYCLE_1)
	s_and_not1_b32 s90, s77, exec_lo
	s_and_b32 s92, s92, exec_lo
	s_and_not1_b32 s93, s88, exec_lo
	s_and_b32 s89, s89, exec_lo
	s_or_b32 s90, s90, s92
	s_or_b32 s89, s93, s89
                                        ; implicit-def: $vgpr7
                                        ; implicit-def: $vgpr26
                                        ; implicit-def: $vgpr8_vgpr9
.LBB14_6568:
	s_and_not1_saveexec_b32 s91, s91
	s_cbranch_execz .LBB14_6572
; %bb.6569:
	s_mov_b32 s93, -1
	s_mov_b32 s92, s89
	s_mov_b32 s94, exec_lo
	v_cmpx_eq_u16_e32 11, v7
	s_cbranch_execz .LBB14_6571
; %bb.6570:
	v_cmp_neq_f32_e32 vcc_lo, 0, v26
	s_xor_b32 s93, exec_lo, -1
	s_or_b32 s92, s89, exec_lo
	v_cndmask_b32_e64 v7, 0, 1, vcc_lo
	flat_store_b8 v[8:9], v7
.LBB14_6571:
	s_wait_xcnt 0x0
	s_or_b32 exec_lo, exec_lo, s94
	s_delay_alu instid0(SALU_CYCLE_1)
	s_and_not1_b32 s90, s90, exec_lo
	s_and_b32 s93, s93, exec_lo
	s_and_not1_b32 s89, s89, exec_lo
	s_and_b32 s92, s92, exec_lo
	s_or_b32 s90, s90, s93
	s_or_b32 s89, s89, s92
.LBB14_6572:
	s_or_b32 exec_lo, exec_lo, s91
	s_delay_alu instid0(SALU_CYCLE_1)
	s_and_not1_b32 s91, s77, exec_lo
	s_and_b32 s90, s90, exec_lo
	s_and_not1_b32 s88, s88, exec_lo
	s_and_b32 s92, s89, exec_lo
	s_or_b32 s89, s91, s90
	s_or_b32 s88, s88, s92
.LBB14_6573:
	s_or_b32 exec_lo, exec_lo, s79
	s_delay_alu instid0(SALU_CYCLE_1)
	s_and_not1_b32 s77, s77, exec_lo
	s_and_b32 s79, s89, exec_lo
	s_and_not1_b32 s0, s0, exec_lo
	s_and_b32 s88, s88, exec_lo
	s_or_b32 s77, s77, s79
	s_or_b32 s0, s0, s88
.LBB14_6574:
	s_or_b32 exec_lo, exec_lo, s78
	s_delay_alu instid0(SALU_CYCLE_1)
	s_and_not1_b32 s78, s72, exec_lo
	s_and_b32 s77, s77, exec_lo
	s_and_b32 s0, s0, exec_lo
	s_or_b32 s77, s78, s77
                                        ; implicit-def: $vgpr7
                                        ; implicit-def: $vgpr26
                                        ; implicit-def: $vgpr8_vgpr9
.LBB14_6575:
	s_and_not1_saveexec_b32 s74, s74
	s_cbranch_execz .LBB14_6617
; %bb.6576:
	s_mov_b32 s78, exec_lo
	v_cmpx_lt_i16_e32 4, v7
	s_xor_b32 s78, exec_lo, s78
	s_cbranch_execz .LBB14_6598
; %bb.6577:
	s_mov_b32 s79, exec_lo
	v_cmpx_lt_i16_e32 7, v7
	s_xor_b32 s79, exec_lo, s79
	;; [unrolled: 5-line block ×4, first 2 shown]
	s_cbranch_execz .LBB14_6581
; %bb.6580:
	v_cvt_f64_f32_e32 v[30:31], v26
	v_mov_b32_e32 v32, 0
                                        ; implicit-def: $vgpr26
	s_delay_alu instid0(VALU_DEP_1)
	v_mov_b32_e32 v33, v32
	flat_store_b128 v[8:9], v[30:33]
                                        ; implicit-def: $vgpr8_vgpr9
.LBB14_6581:
	s_wait_xcnt 0x0
	s_and_not1_saveexec_b32 s89, s89
	s_cbranch_execz .LBB14_6583
; %bb.6582:
	v_mov_b32_e32 v27, 0
	flat_store_b64 v[8:9], v[26:27]
.LBB14_6583:
	s_wait_xcnt 0x0
	s_or_b32 exec_lo, exec_lo, s89
                                        ; implicit-def: $vgpr26
                                        ; implicit-def: $vgpr8_vgpr9
.LBB14_6584:
	s_and_not1_saveexec_b32 s88, s88
	s_cbranch_execz .LBB14_6586
; %bb.6585:
	v_cvt_f16_f32_e32 v7, v26
	s_delay_alu instid0(VALU_DEP_1)
	v_and_b32_e32 v7, 0xffff, v7
	flat_store_b32 v[8:9], v7
.LBB14_6586:
	s_wait_xcnt 0x0
	s_or_b32 exec_lo, exec_lo, s88
                                        ; implicit-def: $vgpr26
                                        ; implicit-def: $vgpr8_vgpr9
                                        ; implicit-def: $vgpr7
.LBB14_6587:
	s_and_not1_saveexec_b32 s79, s79
	s_cbranch_execz .LBB14_6597
; %bb.6588:
	s_mov_b32 s88, exec_lo
	v_cmpx_lt_i16_e32 5, v7
	s_xor_b32 s88, exec_lo, s88
	s_cbranch_execz .LBB14_6594
; %bb.6589:
	s_mov_b32 s89, exec_lo
	v_cmpx_lt_i16_e32 6, v7
	s_xor_b32 s89, exec_lo, s89
	s_cbranch_execz .LBB14_6591
; %bb.6590:
	v_cvt_f64_f32_e32 v[26:27], v26
	flat_store_b64 v[8:9], v[26:27]
                                        ; implicit-def: $vgpr8_vgpr9
                                        ; implicit-def: $vgpr26
.LBB14_6591:
	s_wait_xcnt 0x0
	s_and_not1_saveexec_b32 s89, s89
	s_cbranch_execz .LBB14_6593
; %bb.6592:
	flat_store_b32 v[8:9], v26
.LBB14_6593:
	s_wait_xcnt 0x0
	s_or_b32 exec_lo, exec_lo, s89
                                        ; implicit-def: $vgpr26
                                        ; implicit-def: $vgpr8_vgpr9
.LBB14_6594:
	s_and_not1_saveexec_b32 s88, s88
	s_cbranch_execz .LBB14_6596
; %bb.6595:
	v_cvt_f16_f32_e32 v7, v26
	flat_store_b16 v[8:9], v7
.LBB14_6596:
	s_wait_xcnt 0x0
	s_or_b32 exec_lo, exec_lo, s88
.LBB14_6597:
	s_delay_alu instid0(SALU_CYCLE_1)
	s_or_b32 exec_lo, exec_lo, s79
                                        ; implicit-def: $vgpr7
                                        ; implicit-def: $vgpr26
                                        ; implicit-def: $vgpr8_vgpr9
.LBB14_6598:
	s_and_not1_saveexec_b32 s78, s78
	s_cbranch_execz .LBB14_6616
; %bb.6599:
	s_mov_b32 s79, exec_lo
	v_cmpx_lt_i16_e32 1, v7
	s_xor_b32 s79, exec_lo, s79
	s_cbranch_execz .LBB14_6609
; %bb.6600:
	s_mov_b32 s88, exec_lo
	v_cmpx_lt_i16_e32 2, v7
	s_xor_b32 s88, exec_lo, s88
	;; [unrolled: 5-line block ×3, first 2 shown]
	s_cbranch_execz .LBB14_6603
; %bb.6602:
	v_trunc_f32_e32 v7, v26
	s_delay_alu instid0(VALU_DEP_1) | instskip(SKIP_1) | instid1(VALU_DEP_2)
	v_mul_f32_e64 v10, 0x2f800000, |v7|
	v_ashrrev_i32_e32 v26, 31, v7
	v_floor_f32_e32 v10, v10
	s_delay_alu instid0(VALU_DEP_1) | instskip(SKIP_1) | instid1(VALU_DEP_2)
	v_fma_f32 v27, 0xcf800000, v10, |v7|
	v_cvt_u32_f32_e32 v7, v10
	v_cvt_u32_f32_e32 v10, v27
	s_delay_alu instid0(VALU_DEP_2) | instskip(NEXT) | instid1(VALU_DEP_2)
	v_dual_mov_b32 v27, v26 :: v_dual_bitop2_b32 v31, v7, v26 bitop3:0x14
	v_xor_b32_e32 v30, v10, v26
	s_delay_alu instid0(VALU_DEP_1)
	v_sub_nc_u64_e32 v[26:27], v[30:31], v[26:27]
	flat_store_b64 v[8:9], v[26:27]
                                        ; implicit-def: $vgpr26
                                        ; implicit-def: $vgpr8_vgpr9
.LBB14_6603:
	s_wait_xcnt 0x0
	s_and_not1_saveexec_b32 s89, s89
	s_cbranch_execz .LBB14_6605
; %bb.6604:
	v_cvt_i32_f32_e32 v7, v26
	flat_store_b32 v[8:9], v7
.LBB14_6605:
	s_wait_xcnt 0x0
	s_or_b32 exec_lo, exec_lo, s89
                                        ; implicit-def: $vgpr26
                                        ; implicit-def: $vgpr8_vgpr9
.LBB14_6606:
	s_and_not1_saveexec_b32 s88, s88
	s_cbranch_execz .LBB14_6608
; %bb.6607:
	v_cvt_i32_f32_e32 v7, v26
	flat_store_b16 v[8:9], v7
.LBB14_6608:
	s_wait_xcnt 0x0
	s_or_b32 exec_lo, exec_lo, s88
                                        ; implicit-def: $vgpr26
                                        ; implicit-def: $vgpr8_vgpr9
                                        ; implicit-def: $vgpr7
.LBB14_6609:
	s_and_not1_saveexec_b32 s79, s79
	s_cbranch_execz .LBB14_6615
; %bb.6610:
	s_mov_b32 s88, exec_lo
	v_cmpx_lt_i16_e32 0, v7
	s_xor_b32 s88, exec_lo, s88
	s_cbranch_execz .LBB14_6612
; %bb.6611:
	v_cvt_i32_f32_e32 v7, v26
                                        ; implicit-def: $vgpr26
	flat_store_b8 v[8:9], v7
                                        ; implicit-def: $vgpr8_vgpr9
.LBB14_6612:
	s_wait_xcnt 0x0
	s_and_not1_saveexec_b32 s88, s88
	s_cbranch_execz .LBB14_6614
; %bb.6613:
	v_trunc_f32_e32 v7, v26
	s_delay_alu instid0(VALU_DEP_1) | instskip(NEXT) | instid1(VALU_DEP_1)
	v_mul_f32_e64 v10, 0x2f800000, |v7|
	v_floor_f32_e32 v10, v10
	s_delay_alu instid0(VALU_DEP_1) | instskip(SKIP_1) | instid1(VALU_DEP_2)
	v_fma_f32 v10, 0xcf800000, v10, |v7|
	v_ashrrev_i32_e32 v7, 31, v7
	v_cvt_u32_f32_e32 v10, v10
	s_delay_alu instid0(VALU_DEP_1) | instskip(NEXT) | instid1(VALU_DEP_1)
	v_xor_b32_e32 v10, v10, v7
	v_sub_nc_u32_e32 v7, v10, v7
	flat_store_b8 v[8:9], v7
.LBB14_6614:
	s_wait_xcnt 0x0
	s_or_b32 exec_lo, exec_lo, s88
.LBB14_6615:
	s_delay_alu instid0(SALU_CYCLE_1)
	s_or_b32 exec_lo, exec_lo, s79
.LBB14_6616:
	s_delay_alu instid0(SALU_CYCLE_1) | instskip(NEXT) | instid1(SALU_CYCLE_1)
	s_or_b32 exec_lo, exec_lo, s78
	s_or_b32 s0, s0, exec_lo
.LBB14_6617:
	s_or_b32 exec_lo, exec_lo, s74
	s_mov_b32 s78, 0
	s_mov_b32 s74, 0
	s_and_saveexec_b32 s79, s0
; %bb.6618:
	v_add_nc_u32_e32 v13, 0x200, v13
	s_mov_b32 s78, exec_lo
	s_delay_alu instid0(VALU_DEP_1)
	v_cmp_lt_i32_e32 vcc_lo, v13, v6
	s_and_b32 s74, vcc_lo, exec_lo
; %bb.6619:
	s_or_b32 exec_lo, exec_lo, s79
	s_delay_alu instid0(SALU_CYCLE_1)
	s_and_not1_b32 s0, s72, exec_lo
	s_and_b32 s77, s77, exec_lo
	s_and_b32 s79, s74, exec_lo
	s_or_b32 s74, s0, s77
	s_or_not1_b32 s78, s78, exec_lo
.LBB14_6620:
	s_or_b32 exec_lo, exec_lo, s75
	s_mov_b32 s0, 0
	s_mov_b32 s77, 0
                                        ; implicit-def: $vgpr8
                                        ; implicit-def: $vgpr7
                                        ; implicit-def: $vgpr38_vgpr39
	s_and_saveexec_b32 s75, s78
	s_cbranch_execz .LBB14_7742
; %bb.6621:
	s_mov_b32 s88, -1
	s_mov_b32 s78, 0
	s_mov_b32 s76, s74
	s_and_saveexec_b32 s77, s79
	s_cbranch_execz .LBB14_6749
; %bb.6622:
	v_dual_add_nc_u32 v7, s2, v13 :: v_dual_mov_b32 v9, 0
	s_wait_loadcnt 0x4
	v_mul_f32_e32 v10, v28, v29
	v_cmp_lt_f32_e32 vcc_lo, 0, v29
	s_mov_b32 s79, s74
	v_mul_lo_u32 v8, v7, v12
	v_and_b32_e32 v7, 0xff, v11
	s_mov_b32 s76, exec_lo
	v_cndmask_b32_e32 v26, v10, v29, vcc_lo
	s_delay_alu instid0(VALU_DEP_3) | instskip(NEXT) | instid1(VALU_DEP_3)
	v_add_nc_u64_e32 v[8:9], v[0:1], v[8:9]
	v_cmpx_lt_i16_e32 10, v7
	s_xor_b32 s76, exec_lo, s76
	s_cbranch_execz .LBB14_6704
; %bb.6623:
	s_mov_b32 s79, s74
	s_mov_b32 s88, exec_lo
	v_cmpx_lt_i16_e32 25, v7
	s_xor_b32 s88, exec_lo, s88
	s_cbranch_execz .LBB14_6659
; %bb.6624:
	s_mov_b32 s89, s74
	s_mov_b32 s79, exec_lo
	;; [unrolled: 6-line block ×3, first 2 shown]
	v_cmpx_lt_i16_e32 43, v7
	s_xor_b32 s89, exec_lo, s89
	s_cbranch_execz .LBB14_6637
; %bb.6626:
	s_mov_b32 s90, 0
	s_mov_b32 s91, s74
	s_mov_b32 s0, exec_lo
	v_cmpx_lt_i16_e32 45, v7
	s_xor_b32 s0, exec_lo, s0
	s_cbranch_execz .LBB14_6630
; %bb.6627:
	s_mov_b32 s92, -1
	s_mov_b32 s91, exec_lo
	v_cmpx_eq_u16_e32 46, v7
	s_cbranch_execz .LBB14_6629
; %bb.6628:
	v_bfe_u32 v7, v26, 16, 1
	v_cmp_o_f32_e32 vcc_lo, v26, v26
	s_mov_b32 s90, exec_lo
	s_xor_b32 s92, exec_lo, -1
	s_delay_alu instid0(VALU_DEP_2) | instskip(NEXT) | instid1(VALU_DEP_1)
	v_add3_u32 v7, v26, v7, 0x7fff
	v_lshrrev_b32_e32 v7, 16, v7
	s_delay_alu instid0(VALU_DEP_1)
	v_cndmask_b32_e32 v7, 0x7fc0, v7, vcc_lo
	flat_store_b32 v[8:9], v7
.LBB14_6629:
	s_wait_xcnt 0x0
	s_or_b32 exec_lo, exec_lo, s91
	s_delay_alu instid0(SALU_CYCLE_1)
	s_and_not1_b32 s91, s74, exec_lo
	s_and_b32 s92, s92, exec_lo
	s_and_b32 s90, s90, exec_lo
	s_or_b32 s91, s91, s92
                                        ; implicit-def: $vgpr7
                                        ; implicit-def: $vgpr8_vgpr9
                                        ; implicit-def: $vgpr26
.LBB14_6630:
	s_and_not1_saveexec_b32 s92, s0
	s_cbranch_execz .LBB14_6636
; %bb.6631:
	s_mov_b32 s94, -1
	s_mov_b32 s0, s90
	s_mov_b32 s93, exec_lo
	v_cmpx_eq_u16_e32 44, v7
	s_cbranch_execz .LBB14_6635
; %bb.6632:
	v_bfe_u32 v10, v26, 23, 8
	v_mov_b32_e32 v7, 0xff
	s_mov_b32 s94, exec_lo
	s_delay_alu instid0(VALU_DEP_2)
	v_cmpx_ne_u32_e32 0xff, v10
	s_cbranch_execz .LBB14_6634
; %bb.6633:
	v_and_b32_e32 v7, 0x400000, v26
	v_and_or_b32 v10, 0x3fffff, v26, v10
	s_delay_alu instid0(VALU_DEP_2) | instskip(NEXT) | instid1(VALU_DEP_2)
	v_cmp_ne_u32_e32 vcc_lo, 0, v7
	v_cmp_ne_u32_e64 s0, 0, v10
	v_lshrrev_b32_e32 v7, 23, v26
	s_and_b32 s0, vcc_lo, s0
	s_delay_alu instid0(SALU_CYCLE_1) | instskip(NEXT) | instid1(VALU_DEP_1)
	v_cndmask_b32_e64 v10, 0, 1, s0
	v_add_nc_u32_e32 v7, v7, v10
.LBB14_6634:
	s_or_b32 exec_lo, exec_lo, s94
	s_delay_alu instid0(SALU_CYCLE_1)
	s_xor_b32 s94, exec_lo, -1
	s_or_b32 s0, s90, exec_lo
	flat_store_b8 v[8:9], v7
.LBB14_6635:
	s_wait_xcnt 0x0
	s_or_b32 exec_lo, exec_lo, s93
	s_delay_alu instid0(SALU_CYCLE_1)
	s_and_not1_b32 s91, s91, exec_lo
	s_and_b32 s93, s94, exec_lo
	s_and_not1_b32 s90, s90, exec_lo
	s_and_b32 s0, s0, exec_lo
	s_or_b32 s91, s91, s93
	s_or_b32 s90, s90, s0
.LBB14_6636:
	s_or_b32 exec_lo, exec_lo, s92
	s_delay_alu instid0(SALU_CYCLE_1) | instskip(SKIP_1) | instid1(SALU_CYCLE_1)
	s_and_not1_b32 s0, s74, exec_lo
	s_and_b32 s91, s91, exec_lo
                                        ; implicit-def: $vgpr7
                                        ; implicit-def: $vgpr26
                                        ; implicit-def: $vgpr8_vgpr9
	s_or_b32 s91, s0, s91
	s_and_b32 s0, s90, exec_lo
.LBB14_6637:
	s_and_not1_saveexec_b32 s89, s89
	s_cbranch_execz .LBB14_6641
; %bb.6638:
	s_mov_b32 s93, -1
	s_mov_b32 s92, s0
	s_mov_b32 s90, exec_lo
	v_cmpx_eq_u16_e32 29, v7
	s_cbranch_execz .LBB14_6640
; %bb.6639:
	v_trunc_f32_e32 v7, v26
	s_xor_b32 s93, exec_lo, -1
	s_or_b32 s92, s0, exec_lo
	s_delay_alu instid0(VALU_DEP_1) | instskip(NEXT) | instid1(VALU_DEP_1)
	v_mul_f32_e32 v10, 0x2f800000, v7
	v_floor_f32_e32 v10, v10
	s_delay_alu instid0(VALU_DEP_1) | instskip(SKIP_1) | instid1(VALU_DEP_2)
	v_fmamk_f32 v7, v10, 0xcf800000, v7
	v_cvt_u32_f32_e32 v27, v10
	v_cvt_u32_f32_e32 v26, v7
	flat_store_b64 v[8:9], v[26:27]
.LBB14_6640:
	s_wait_xcnt 0x0
	s_or_b32 exec_lo, exec_lo, s90
	s_delay_alu instid0(SALU_CYCLE_1)
	s_and_not1_b32 s90, s91, exec_lo
	s_and_b32 s91, s93, exec_lo
	s_and_not1_b32 s0, s0, exec_lo
	s_and_b32 s92, s92, exec_lo
	s_or_b32 s91, s90, s91
	s_or_b32 s0, s0, s92
.LBB14_6641:
	s_or_b32 exec_lo, exec_lo, s89
	s_delay_alu instid0(SALU_CYCLE_1)
	s_and_not1_b32 s89, s74, exec_lo
	s_and_b32 s90, s91, exec_lo
	s_and_b32 s0, s0, exec_lo
	s_or_b32 s89, s89, s90
                                        ; implicit-def: $vgpr8_vgpr9
                                        ; implicit-def: $vgpr7
                                        ; implicit-def: $vgpr26
.LBB14_6642:
	s_and_not1_saveexec_b32 s79, s79
	s_cbranch_execz .LBB14_6658
; %bb.6643:
	s_mov_b32 s90, exec_lo
	v_cmpx_lt_i16_e32 26, v7
	s_xor_b32 s90, exec_lo, s90
	s_cbranch_execz .LBB14_6649
; %bb.6644:
	v_cmp_lt_i16_e32 vcc_lo, 27, v7
	v_cvt_u32_f32_e32 v7, v26
	s_and_saveexec_b32 s91, vcc_lo
	s_delay_alu instid0(SALU_CYCLE_1)
	s_xor_b32 s91, exec_lo, s91
	s_cbranch_execz .LBB14_6646
; %bb.6645:
	flat_store_b32 v[8:9], v7
                                        ; implicit-def: $vgpr8_vgpr9
                                        ; implicit-def: $vgpr7
.LBB14_6646:
	s_wait_xcnt 0x0
	s_and_not1_saveexec_b32 s91, s91
	s_cbranch_execz .LBB14_6648
; %bb.6647:
	flat_store_b16 v[8:9], v7
.LBB14_6648:
	s_wait_xcnt 0x0
	s_or_b32 exec_lo, exec_lo, s91
                                        ; implicit-def: $vgpr8_vgpr9
                                        ; implicit-def: $vgpr26
.LBB14_6649:
	s_and_not1_saveexec_b32 s90, s90
	s_cbranch_execz .LBB14_6657
; %bb.6650:
	v_and_b32_e32 v7, 0x7fffffff, v26
	v_mov_b32_e32 v10, 0x80
	s_mov_b32 s91, exec_lo
	s_delay_alu instid0(VALU_DEP_2)
	v_cmpx_gt_u32_e32 0x43800000, v7
	s_cbranch_execz .LBB14_6656
; %bb.6651:
	v_cmp_lt_u32_e32 vcc_lo, 0x3bffffff, v7
	s_mov_b32 s92, 0
                                        ; implicit-def: $vgpr7
	s_and_saveexec_b32 s93, vcc_lo
	s_delay_alu instid0(SALU_CYCLE_1)
	s_xor_b32 s93, exec_lo, s93
	s_cbranch_execnz .LBB14_7907
; %bb.6652:
	s_and_not1_saveexec_b32 s93, s93
	s_cbranch_execnz .LBB14_7908
.LBB14_6653:
	s_or_b32 exec_lo, exec_lo, s93
	v_mov_b32_e32 v10, 0
	s_and_saveexec_b32 s93, s92
.LBB14_6654:
	v_lshrrev_b32_e32 v10, 24, v26
	s_delay_alu instid0(VALU_DEP_1)
	v_and_or_b32 v10, 0x80, v10, v7
.LBB14_6655:
	s_or_b32 exec_lo, exec_lo, s93
.LBB14_6656:
	s_delay_alu instid0(SALU_CYCLE_1)
	s_or_b32 exec_lo, exec_lo, s91
	flat_store_b8 v[8:9], v10
.LBB14_6657:
	s_wait_xcnt 0x0
	s_or_b32 exec_lo, exec_lo, s90
	s_delay_alu instid0(SALU_CYCLE_1)
	s_or_b32 s0, s0, exec_lo
.LBB14_6658:
	s_or_b32 exec_lo, exec_lo, s79
	s_delay_alu instid0(SALU_CYCLE_1)
	s_and_not1_b32 s79, s74, exec_lo
	s_and_b32 s89, s89, exec_lo
	s_and_b32 s0, s0, exec_lo
	s_or_b32 s79, s79, s89
                                        ; implicit-def: $vgpr7
                                        ; implicit-def: $vgpr26
                                        ; implicit-def: $vgpr8_vgpr9
.LBB14_6659:
	s_and_not1_saveexec_b32 s88, s88
	s_cbranch_execz .LBB14_6703
; %bb.6660:
	s_mov_b32 s90, s0
	s_mov_b32 s89, exec_lo
	v_cmpx_lt_i16_e32 22, v7
	s_xor_b32 s89, exec_lo, s89
	s_cbranch_execz .LBB14_6692
; %bb.6661:
	s_mov_b32 s90, exec_lo
	v_cmpx_lt_i16_e32 23, v7
	s_xor_b32 s90, exec_lo, s90
	s_cbranch_execz .LBB14_6681
; %bb.6662:
	;; [unrolled: 5-line block ×3, first 2 shown]
	v_and_b32_e32 v7, 0x7fffffff, v26
	v_mov_b32_e32 v10, 0x80
	s_mov_b32 s92, exec_lo
	s_delay_alu instid0(VALU_DEP_2)
	v_cmpx_gt_u32_e32 0x47800000, v7
	s_cbranch_execz .LBB14_6669
; %bb.6664:
	v_cmp_lt_u32_e32 vcc_lo, 0x37ffffff, v7
	s_mov_b32 s93, 0
                                        ; implicit-def: $vgpr7
	s_and_saveexec_b32 s94, vcc_lo
	s_delay_alu instid0(SALU_CYCLE_1)
	s_xor_b32 s94, exec_lo, s94
	s_cbranch_execnz .LBB14_7909
; %bb.6665:
	s_and_not1_saveexec_b32 s94, s94
	s_cbranch_execnz .LBB14_7910
.LBB14_6666:
	s_or_b32 exec_lo, exec_lo, s94
	v_mov_b32_e32 v10, 0
	s_and_saveexec_b32 s94, s93
.LBB14_6667:
	v_lshrrev_b32_e32 v10, 24, v26
	s_delay_alu instid0(VALU_DEP_1)
	v_and_or_b32 v10, 0x80, v10, v7
.LBB14_6668:
	s_or_b32 exec_lo, exec_lo, s94
.LBB14_6669:
	s_delay_alu instid0(SALU_CYCLE_1)
	s_or_b32 exec_lo, exec_lo, s92
	flat_store_b8 v[8:9], v10
                                        ; implicit-def: $vgpr26
                                        ; implicit-def: $vgpr8_vgpr9
.LBB14_6670:
	s_wait_xcnt 0x0
	s_and_not1_saveexec_b32 s91, s91
	s_cbranch_execz .LBB14_6680
; %bb.6671:
	v_and_b32_e32 v10, 0x7fffffff, v26
	s_mov_b32 s92, exec_lo
                                        ; implicit-def: $vgpr7
	s_delay_alu instid0(VALU_DEP_1)
	v_cmpx_gt_u32_e32 0x43f00000, v10
	s_xor_b32 s92, exec_lo, s92
	s_cbranch_execz .LBB14_6677
; %bb.6672:
	s_mov_b32 s93, exec_lo
                                        ; implicit-def: $vgpr7
	v_cmpx_lt_u32_e32 0x3c7fffff, v10
	s_xor_b32 s93, exec_lo, s93
; %bb.6673:
	v_bfe_u32 v7, v26, 20, 1
	s_delay_alu instid0(VALU_DEP_1) | instskip(NEXT) | instid1(VALU_DEP_1)
	v_add3_u32 v7, v26, v7, 0x407ffff
	v_and_b32_e32 v10, 0xff00000, v7
	v_lshrrev_b32_e32 v7, 20, v7
	s_delay_alu instid0(VALU_DEP_2) | instskip(NEXT) | instid1(VALU_DEP_2)
	v_cmp_ne_u32_e32 vcc_lo, 0x7f00000, v10
	v_cndmask_b32_e32 v7, 0x7e, v7, vcc_lo
; %bb.6674:
	s_and_not1_saveexec_b32 s93, s93
; %bb.6675:
	v_add_f32_e64 v7, 0x46800000, |v26|
; %bb.6676:
	s_or_b32 exec_lo, exec_lo, s93
                                        ; implicit-def: $vgpr10
.LBB14_6677:
	s_and_not1_saveexec_b32 s92, s92
; %bb.6678:
	v_mov_b32_e32 v7, 0x7f
	v_cmp_lt_u32_e32 vcc_lo, 0x7f800000, v10
	s_delay_alu instid0(VALU_DEP_2)
	v_cndmask_b32_e32 v7, 0x7e, v7, vcc_lo
; %bb.6679:
	s_or_b32 exec_lo, exec_lo, s92
	v_lshrrev_b32_e32 v10, 24, v26
	s_delay_alu instid0(VALU_DEP_1)
	v_and_or_b32 v7, 0x80, v10, v7
	flat_store_b8 v[8:9], v7
.LBB14_6680:
	s_wait_xcnt 0x0
	s_or_b32 exec_lo, exec_lo, s91
                                        ; implicit-def: $vgpr26
                                        ; implicit-def: $vgpr8_vgpr9
.LBB14_6681:
	s_and_not1_saveexec_b32 s90, s90
	s_cbranch_execz .LBB14_6691
; %bb.6682:
	v_and_b32_e32 v10, 0x7fffffff, v26
	s_mov_b32 s91, exec_lo
                                        ; implicit-def: $vgpr7
	s_delay_alu instid0(VALU_DEP_1)
	v_cmpx_gt_u32_e32 0x47800000, v10
	s_xor_b32 s91, exec_lo, s91
	s_cbranch_execz .LBB14_6688
; %bb.6683:
	s_mov_b32 s92, exec_lo
                                        ; implicit-def: $vgpr7
	v_cmpx_lt_u32_e32 0x387fffff, v10
	s_xor_b32 s92, exec_lo, s92
; %bb.6684:
	v_bfe_u32 v7, v26, 21, 1
	s_delay_alu instid0(VALU_DEP_1) | instskip(NEXT) | instid1(VALU_DEP_1)
	v_add3_u32 v7, v26, v7, 0x80fffff
	v_lshrrev_b32_e32 v7, 21, v7
; %bb.6685:
	s_and_not1_saveexec_b32 s92, s92
; %bb.6686:
	v_add_f32_e64 v7, 0x43000000, |v26|
; %bb.6687:
	s_or_b32 exec_lo, exec_lo, s92
                                        ; implicit-def: $vgpr10
.LBB14_6688:
	s_and_not1_saveexec_b32 s91, s91
; %bb.6689:
	v_mov_b32_e32 v7, 0x7f
	v_cmp_lt_u32_e32 vcc_lo, 0x7f800000, v10
	s_delay_alu instid0(VALU_DEP_2)
	v_cndmask_b32_e32 v7, 0x7c, v7, vcc_lo
; %bb.6690:
	s_or_b32 exec_lo, exec_lo, s91
	v_lshrrev_b32_e32 v10, 24, v26
	s_delay_alu instid0(VALU_DEP_1)
	v_and_or_b32 v7, 0x80, v10, v7
	flat_store_b8 v[8:9], v7
.LBB14_6691:
	s_wait_xcnt 0x0
	s_or_b32 exec_lo, exec_lo, s90
	s_delay_alu instid0(SALU_CYCLE_1)
	s_or_b32 s90, s0, exec_lo
                                        ; implicit-def: $vgpr7
                                        ; implicit-def: $vgpr26
                                        ; implicit-def: $vgpr8_vgpr9
.LBB14_6692:
	s_or_saveexec_b32 s89, s89
	s_mov_b32 s91, s79
	s_xor_b32 exec_lo, exec_lo, s89
	s_cbranch_execz .LBB14_6702
; %bb.6693:
	s_mov_b32 s91, s90
	s_mov_b32 s92, s79
	s_mov_b32 s93, exec_lo
	v_cmpx_lt_i16_e32 14, v7
	s_xor_b32 s93, exec_lo, s93
	s_cbranch_execz .LBB14_6697
; %bb.6694:
	s_mov_b32 s94, -1
	s_mov_b32 s91, s90
	s_mov_b32 s92, exec_lo
	v_cmpx_eq_u16_e32 15, v7
	s_cbranch_execz .LBB14_6696
; %bb.6695:
	v_bfe_u32 v7, v26, 16, 1
	v_cmp_o_f32_e32 vcc_lo, v26, v26
	s_xor_b32 s94, exec_lo, -1
	s_or_b32 s91, s90, exec_lo
	s_delay_alu instid0(VALU_DEP_2) | instskip(NEXT) | instid1(VALU_DEP_1)
	v_add3_u32 v7, v26, v7, 0x7fff
	v_lshrrev_b32_e32 v7, 16, v7
	s_delay_alu instid0(VALU_DEP_1)
	v_cndmask_b32_e32 v7, 0x7fc0, v7, vcc_lo
	flat_store_b16 v[8:9], v7
.LBB14_6696:
	s_wait_xcnt 0x0
	s_or_b32 exec_lo, exec_lo, s92
	s_delay_alu instid0(SALU_CYCLE_1)
	s_and_not1_b32 s92, s79, exec_lo
	s_and_b32 s94, s94, exec_lo
	s_and_not1_b32 s95, s90, exec_lo
	s_and_b32 s91, s91, exec_lo
	s_or_b32 s92, s92, s94
	s_or_b32 s91, s95, s91
                                        ; implicit-def: $vgpr7
                                        ; implicit-def: $vgpr26
                                        ; implicit-def: $vgpr8_vgpr9
.LBB14_6697:
	s_and_not1_saveexec_b32 s93, s93
	s_cbranch_execz .LBB14_6701
; %bb.6698:
	s_mov_b32 s95, -1
	s_mov_b32 s94, s91
	s_mov_b32 vcc_hi, exec_lo
	v_cmpx_eq_u16_e32 11, v7
	s_cbranch_execz .LBB14_6700
; %bb.6699:
	v_cmp_neq_f32_e32 vcc_lo, 0, v26
	s_xor_b32 s95, exec_lo, -1
	s_or_b32 s94, s91, exec_lo
	v_cndmask_b32_e64 v7, 0, 1, vcc_lo
	flat_store_b8 v[8:9], v7
.LBB14_6700:
	s_wait_xcnt 0x0
	s_or_b32 exec_lo, exec_lo, vcc_hi
	s_delay_alu instid0(SALU_CYCLE_1)
	s_and_not1_b32 s92, s92, exec_lo
	s_and_b32 s95, s95, exec_lo
	s_and_not1_b32 s91, s91, exec_lo
	s_and_b32 s94, s94, exec_lo
	s_or_b32 s92, s92, s95
	s_or_b32 s91, s91, s94
.LBB14_6701:
	s_or_b32 exec_lo, exec_lo, s93
	s_delay_alu instid0(SALU_CYCLE_1)
	s_and_not1_b32 s93, s79, exec_lo
	s_and_b32 s92, s92, exec_lo
	s_and_not1_b32 s90, s90, exec_lo
	s_and_b32 s94, s91, exec_lo
	s_or_b32 s91, s93, s92
	s_or_b32 s90, s90, s94
.LBB14_6702:
	s_or_b32 exec_lo, exec_lo, s89
	s_delay_alu instid0(SALU_CYCLE_1)
	s_and_not1_b32 s79, s79, exec_lo
	s_and_b32 s89, s91, exec_lo
	s_and_not1_b32 s0, s0, exec_lo
	s_and_b32 s90, s90, exec_lo
	s_or_b32 s79, s79, s89
	s_or_b32 s0, s0, s90
.LBB14_6703:
	s_or_b32 exec_lo, exec_lo, s88
	s_delay_alu instid0(SALU_CYCLE_1)
	s_and_not1_b32 s88, s74, exec_lo
	s_and_b32 s79, s79, exec_lo
	s_and_b32 s0, s0, exec_lo
	s_or_b32 s79, s88, s79
                                        ; implicit-def: $vgpr7
                                        ; implicit-def: $vgpr26
                                        ; implicit-def: $vgpr8_vgpr9
.LBB14_6704:
	s_and_not1_saveexec_b32 s76, s76
	s_cbranch_execz .LBB14_6746
; %bb.6705:
	s_mov_b32 s88, exec_lo
	v_cmpx_lt_i16_e32 4, v7
	s_xor_b32 s88, exec_lo, s88
	s_cbranch_execz .LBB14_6727
; %bb.6706:
	s_mov_b32 s89, exec_lo
	v_cmpx_lt_i16_e32 7, v7
	s_xor_b32 s89, exec_lo, s89
	;; [unrolled: 5-line block ×4, first 2 shown]
	s_cbranch_execz .LBB14_6710
; %bb.6709:
	v_cvt_f64_f32_e32 v[26:27], v26
	v_mov_b32_e32 v28, 0
	s_delay_alu instid0(VALU_DEP_1)
	v_mov_b32_e32 v29, v28
	flat_store_b128 v[8:9], v[26:29]
                                        ; implicit-def: $vgpr26
                                        ; implicit-def: $vgpr8_vgpr9
.LBB14_6710:
	s_wait_xcnt 0x0
	s_and_not1_saveexec_b32 s91, s91
	s_cbranch_execz .LBB14_6712
; %bb.6711:
	v_mov_b32_e32 v27, 0
	flat_store_b64 v[8:9], v[26:27]
.LBB14_6712:
	s_wait_xcnt 0x0
	s_or_b32 exec_lo, exec_lo, s91
                                        ; implicit-def: $vgpr26
                                        ; implicit-def: $vgpr8_vgpr9
.LBB14_6713:
	s_and_not1_saveexec_b32 s90, s90
	s_cbranch_execz .LBB14_6715
; %bb.6714:
	v_cvt_f16_f32_e32 v7, v26
	s_delay_alu instid0(VALU_DEP_1)
	v_and_b32_e32 v7, 0xffff, v7
	flat_store_b32 v[8:9], v7
.LBB14_6715:
	s_wait_xcnt 0x0
	s_or_b32 exec_lo, exec_lo, s90
                                        ; implicit-def: $vgpr26
                                        ; implicit-def: $vgpr8_vgpr9
                                        ; implicit-def: $vgpr7
.LBB14_6716:
	s_and_not1_saveexec_b32 s89, s89
	s_cbranch_execz .LBB14_6726
; %bb.6717:
	s_mov_b32 s90, exec_lo
	v_cmpx_lt_i16_e32 5, v7
	s_xor_b32 s90, exec_lo, s90
	s_cbranch_execz .LBB14_6723
; %bb.6718:
	s_mov_b32 s91, exec_lo
	v_cmpx_lt_i16_e32 6, v7
	s_xor_b32 s91, exec_lo, s91
	s_cbranch_execz .LBB14_6720
; %bb.6719:
	v_cvt_f64_f32_e32 v[26:27], v26
	flat_store_b64 v[8:9], v[26:27]
                                        ; implicit-def: $vgpr8_vgpr9
                                        ; implicit-def: $vgpr26
.LBB14_6720:
	s_wait_xcnt 0x0
	s_and_not1_saveexec_b32 s91, s91
	s_cbranch_execz .LBB14_6722
; %bb.6721:
	flat_store_b32 v[8:9], v26
.LBB14_6722:
	s_wait_xcnt 0x0
	s_or_b32 exec_lo, exec_lo, s91
                                        ; implicit-def: $vgpr26
                                        ; implicit-def: $vgpr8_vgpr9
.LBB14_6723:
	s_and_not1_saveexec_b32 s90, s90
	s_cbranch_execz .LBB14_6725
; %bb.6724:
	v_cvt_f16_f32_e32 v7, v26
	flat_store_b16 v[8:9], v7
.LBB14_6725:
	s_wait_xcnt 0x0
	s_or_b32 exec_lo, exec_lo, s90
.LBB14_6726:
	s_delay_alu instid0(SALU_CYCLE_1)
	s_or_b32 exec_lo, exec_lo, s89
                                        ; implicit-def: $vgpr7
                                        ; implicit-def: $vgpr26
                                        ; implicit-def: $vgpr8_vgpr9
.LBB14_6727:
	s_and_not1_saveexec_b32 s88, s88
	s_cbranch_execz .LBB14_6745
; %bb.6728:
	s_mov_b32 s89, exec_lo
	v_cmpx_lt_i16_e32 1, v7
	s_xor_b32 s89, exec_lo, s89
	s_cbranch_execz .LBB14_6738
; %bb.6729:
	s_mov_b32 s90, exec_lo
	v_cmpx_lt_i16_e32 2, v7
	s_xor_b32 s90, exec_lo, s90
	;; [unrolled: 5-line block ×3, first 2 shown]
	s_cbranch_execz .LBB14_6732
; %bb.6731:
	v_trunc_f32_e32 v7, v26
	s_delay_alu instid0(VALU_DEP_1) | instskip(SKIP_1) | instid1(VALU_DEP_2)
	v_mul_f32_e64 v10, 0x2f800000, |v7|
	v_ashrrev_i32_e32 v26, 31, v7
	v_floor_f32_e32 v10, v10
	s_delay_alu instid0(VALU_DEP_1) | instskip(SKIP_1) | instid1(VALU_DEP_2)
	v_fma_f32 v27, 0xcf800000, v10, |v7|
	v_cvt_u32_f32_e32 v7, v10
	v_cvt_u32_f32_e32 v10, v27
	s_delay_alu instid0(VALU_DEP_2) | instskip(NEXT) | instid1(VALU_DEP_2)
	v_dual_mov_b32 v27, v26 :: v_dual_bitop2_b32 v29, v7, v26 bitop3:0x14
	v_xor_b32_e32 v28, v10, v26
	s_delay_alu instid0(VALU_DEP_1)
	v_sub_nc_u64_e32 v[26:27], v[28:29], v[26:27]
	flat_store_b64 v[8:9], v[26:27]
                                        ; implicit-def: $vgpr26
                                        ; implicit-def: $vgpr8_vgpr9
.LBB14_6732:
	s_wait_xcnt 0x0
	s_and_not1_saveexec_b32 s91, s91
	s_cbranch_execz .LBB14_6734
; %bb.6733:
	v_cvt_i32_f32_e32 v7, v26
	flat_store_b32 v[8:9], v7
.LBB14_6734:
	s_wait_xcnt 0x0
	s_or_b32 exec_lo, exec_lo, s91
                                        ; implicit-def: $vgpr26
                                        ; implicit-def: $vgpr8_vgpr9
.LBB14_6735:
	s_and_not1_saveexec_b32 s90, s90
	s_cbranch_execz .LBB14_6737
; %bb.6736:
	v_cvt_i32_f32_e32 v7, v26
	flat_store_b16 v[8:9], v7
.LBB14_6737:
	s_wait_xcnt 0x0
	s_or_b32 exec_lo, exec_lo, s90
                                        ; implicit-def: $vgpr26
                                        ; implicit-def: $vgpr8_vgpr9
                                        ; implicit-def: $vgpr7
.LBB14_6738:
	s_and_not1_saveexec_b32 s89, s89
	s_cbranch_execz .LBB14_6744
; %bb.6739:
	s_mov_b32 s90, exec_lo
	v_cmpx_lt_i16_e32 0, v7
	s_xor_b32 s90, exec_lo, s90
	s_cbranch_execz .LBB14_6741
; %bb.6740:
	v_cvt_i32_f32_e32 v7, v26
                                        ; implicit-def: $vgpr26
	flat_store_b8 v[8:9], v7
                                        ; implicit-def: $vgpr8_vgpr9
.LBB14_6741:
	s_wait_xcnt 0x0
	s_and_not1_saveexec_b32 s90, s90
	s_cbranch_execz .LBB14_6743
; %bb.6742:
	v_trunc_f32_e32 v7, v26
	s_delay_alu instid0(VALU_DEP_1) | instskip(NEXT) | instid1(VALU_DEP_1)
	v_mul_f32_e64 v10, 0x2f800000, |v7|
	v_floor_f32_e32 v10, v10
	s_delay_alu instid0(VALU_DEP_1) | instskip(SKIP_1) | instid1(VALU_DEP_2)
	v_fma_f32 v10, 0xcf800000, v10, |v7|
	v_ashrrev_i32_e32 v7, 31, v7
	v_cvt_u32_f32_e32 v10, v10
	s_delay_alu instid0(VALU_DEP_1) | instskip(NEXT) | instid1(VALU_DEP_1)
	v_xor_b32_e32 v10, v10, v7
	v_sub_nc_u32_e32 v7, v10, v7
	flat_store_b8 v[8:9], v7
.LBB14_6743:
	s_wait_xcnt 0x0
	s_or_b32 exec_lo, exec_lo, s90
.LBB14_6744:
	s_delay_alu instid0(SALU_CYCLE_1)
	s_or_b32 exec_lo, exec_lo, s89
.LBB14_6745:
	s_delay_alu instid0(SALU_CYCLE_1) | instskip(NEXT) | instid1(SALU_CYCLE_1)
	s_or_b32 exec_lo, exec_lo, s88
	s_or_b32 s0, s0, exec_lo
.LBB14_6746:
	s_or_b32 exec_lo, exec_lo, s76
	s_mov_b32 s88, 0
	s_mov_b32 s76, 0
	s_and_saveexec_b32 s89, s0
; %bb.6747:
	v_add_nc_u32_e32 v13, 0x200, v13
	s_mov_b32 s88, exec_lo
	s_delay_alu instid0(VALU_DEP_1)
	v_cmp_lt_i32_e32 vcc_lo, v13, v6
	s_and_b32 s76, vcc_lo, exec_lo
; %bb.6748:
	s_or_b32 exec_lo, exec_lo, s89
	s_delay_alu instid0(SALU_CYCLE_1)
	s_and_not1_b32 s89, s74, exec_lo
	s_and_b32 s79, s79, exec_lo
	s_and_b32 s0, s76, exec_lo
	s_or_b32 s76, s89, s79
	s_or_not1_b32 s88, s88, exec_lo
.LBB14_6749:
	s_or_b32 exec_lo, exec_lo, s77
	s_mov_b32 s79, 0
	s_mov_b32 s89, 0
                                        ; implicit-def: $vgpr8
                                        ; implicit-def: $vgpr7
                                        ; implicit-def: $vgpr38_vgpr39
	s_and_saveexec_b32 s77, s88
	s_cbranch_execz .LBB14_7741
; %bb.6750:
	s_mov_b32 s90, -1
	s_mov_b32 s88, 0
	s_mov_b32 s78, s76
	;; [unrolled: 1-line block ×3, first 2 shown]
	s_and_saveexec_b32 s79, s0
	s_cbranch_execz .LBB14_6878
; %bb.6751:
	v_dual_add_nc_u32 v7, s2, v13 :: v_dual_mov_b32 v9, 0
	s_wait_loadcnt 0x3
	v_mul_f32_e32 v10, v22, v23
	v_cmp_lt_f32_e32 vcc_lo, 0, v23
	s_mov_b32 s0, 0
	v_mul_lo_u32 v8, v7, v12
	v_and_b32_e32 v7, 0xff, v11
	s_mov_b32 s89, s76
	v_cndmask_b32_e32 v22, v10, v23, vcc_lo
	s_mov_b32 s78, exec_lo
	s_delay_alu instid0(VALU_DEP_3)
	v_add_nc_u64_e32 v[8:9], v[0:1], v[8:9]
	v_cmpx_lt_i16_e32 10, v7
	s_xor_b32 s78, exec_lo, s78
	s_cbranch_execz .LBB14_6833
; %bb.6752:
	s_mov_b32 s89, s76
	s_mov_b32 s90, exec_lo
	v_cmpx_lt_i16_e32 25, v7
	s_xor_b32 s90, exec_lo, s90
	s_cbranch_execz .LBB14_6788
; %bb.6753:
	s_mov_b32 s91, s76
	s_mov_b32 s89, exec_lo
	;; [unrolled: 6-line block ×3, first 2 shown]
	v_cmpx_lt_i16_e32 43, v7
	s_xor_b32 s91, exec_lo, s91
	s_cbranch_execz .LBB14_6766
; %bb.6755:
	s_mov_b32 s92, 0
	s_mov_b32 s93, s76
	s_mov_b32 s0, exec_lo
	v_cmpx_lt_i16_e32 45, v7
	s_xor_b32 s0, exec_lo, s0
	s_cbranch_execz .LBB14_6759
; %bb.6756:
	s_mov_b32 s94, -1
	s_mov_b32 s93, exec_lo
	v_cmpx_eq_u16_e32 46, v7
	s_cbranch_execz .LBB14_6758
; %bb.6757:
	v_bfe_u32 v7, v22, 16, 1
	v_cmp_o_f32_e32 vcc_lo, v22, v22
	s_mov_b32 s92, exec_lo
	s_xor_b32 s94, exec_lo, -1
	s_delay_alu instid0(VALU_DEP_2) | instskip(NEXT) | instid1(VALU_DEP_1)
	v_add3_u32 v7, v22, v7, 0x7fff
	v_lshrrev_b32_e32 v7, 16, v7
	s_delay_alu instid0(VALU_DEP_1)
	v_cndmask_b32_e32 v7, 0x7fc0, v7, vcc_lo
	flat_store_b32 v[8:9], v7
.LBB14_6758:
	s_wait_xcnt 0x0
	s_or_b32 exec_lo, exec_lo, s93
	s_delay_alu instid0(SALU_CYCLE_1)
	s_and_not1_b32 s93, s76, exec_lo
	s_and_b32 s94, s94, exec_lo
	s_and_b32 s92, s92, exec_lo
	s_or_b32 s93, s93, s94
                                        ; implicit-def: $vgpr7
                                        ; implicit-def: $vgpr8_vgpr9
                                        ; implicit-def: $vgpr22
.LBB14_6759:
	s_and_not1_saveexec_b32 s94, s0
	s_cbranch_execz .LBB14_6765
; %bb.6760:
	s_mov_b32 vcc_hi, -1
	s_mov_b32 s0, s92
	s_mov_b32 s95, exec_lo
	v_cmpx_eq_u16_e32 44, v7
	s_cbranch_execz .LBB14_6764
; %bb.6761:
	v_bfe_u32 v10, v22, 23, 8
	v_mov_b32_e32 v7, 0xff
	s_mov_b32 vcc_hi, exec_lo
	s_delay_alu instid0(VALU_DEP_2)
	v_cmpx_ne_u32_e32 0xff, v10
	s_cbranch_execz .LBB14_6763
; %bb.6762:
	v_and_b32_e32 v7, 0x400000, v22
	v_and_or_b32 v10, 0x3fffff, v22, v10
	s_delay_alu instid0(VALU_DEP_2) | instskip(NEXT) | instid1(VALU_DEP_2)
	v_cmp_ne_u32_e32 vcc_lo, 0, v7
	v_cmp_ne_u32_e64 s0, 0, v10
	v_lshrrev_b32_e32 v7, 23, v22
	s_and_b32 s0, vcc_lo, s0
	s_delay_alu instid0(SALU_CYCLE_1) | instskip(NEXT) | instid1(VALU_DEP_1)
	v_cndmask_b32_e64 v10, 0, 1, s0
	v_add_nc_u32_e32 v7, v7, v10
.LBB14_6763:
	s_or_b32 exec_lo, exec_lo, vcc_hi
	s_delay_alu instid0(SALU_CYCLE_1)
	s_xor_b32 vcc_hi, exec_lo, -1
	s_or_b32 s0, s92, exec_lo
	flat_store_b8 v[8:9], v7
.LBB14_6764:
	s_wait_xcnt 0x0
	s_or_b32 exec_lo, exec_lo, s95
	s_delay_alu instid0(SALU_CYCLE_1)
	s_and_not1_b32 s93, s93, exec_lo
	s_and_b32 s95, vcc_hi, exec_lo
	s_and_not1_b32 s92, s92, exec_lo
	s_and_b32 s0, s0, exec_lo
	s_or_b32 s93, s93, s95
	s_or_b32 s92, s92, s0
.LBB14_6765:
	s_or_b32 exec_lo, exec_lo, s94
	s_delay_alu instid0(SALU_CYCLE_1) | instskip(SKIP_1) | instid1(SALU_CYCLE_1)
	s_and_not1_b32 s0, s76, exec_lo
	s_and_b32 s93, s93, exec_lo
                                        ; implicit-def: $vgpr7
                                        ; implicit-def: $vgpr22
                                        ; implicit-def: $vgpr8_vgpr9
	s_or_b32 s93, s0, s93
	s_and_b32 s0, s92, exec_lo
.LBB14_6766:
	s_and_not1_saveexec_b32 s91, s91
	s_cbranch_execz .LBB14_6770
; %bb.6767:
	s_mov_b32 s95, -1
	s_mov_b32 s94, s0
	s_mov_b32 s92, exec_lo
	v_cmpx_eq_u16_e32 29, v7
	s_cbranch_execz .LBB14_6769
; %bb.6768:
	v_trunc_f32_e32 v7, v22
	s_xor_b32 s95, exec_lo, -1
	s_or_b32 s94, s0, exec_lo
	s_delay_alu instid0(VALU_DEP_1) | instskip(NEXT) | instid1(VALU_DEP_1)
	v_mul_f32_e32 v10, 0x2f800000, v7
	v_floor_f32_e32 v10, v10
	s_delay_alu instid0(VALU_DEP_1) | instskip(SKIP_1) | instid1(VALU_DEP_2)
	v_fmamk_f32 v7, v10, 0xcf800000, v7
	v_cvt_u32_f32_e32 v23, v10
	v_cvt_u32_f32_e32 v22, v7
	flat_store_b64 v[8:9], v[22:23]
.LBB14_6769:
	s_wait_xcnt 0x0
	s_or_b32 exec_lo, exec_lo, s92
	s_delay_alu instid0(SALU_CYCLE_1)
	s_and_not1_b32 s92, s93, exec_lo
	s_and_b32 s93, s95, exec_lo
	s_and_not1_b32 s0, s0, exec_lo
	s_and_b32 s94, s94, exec_lo
	s_or_b32 s93, s92, s93
	s_or_b32 s0, s0, s94
.LBB14_6770:
	s_or_b32 exec_lo, exec_lo, s91
	s_delay_alu instid0(SALU_CYCLE_1)
	s_and_not1_b32 s91, s76, exec_lo
	s_and_b32 s92, s93, exec_lo
	s_and_b32 s0, s0, exec_lo
	s_or_b32 s91, s91, s92
                                        ; implicit-def: $vgpr8_vgpr9
                                        ; implicit-def: $vgpr7
                                        ; implicit-def: $vgpr22
.LBB14_6771:
	s_and_not1_saveexec_b32 s89, s89
	s_cbranch_execz .LBB14_6787
; %bb.6772:
	s_mov_b32 s92, exec_lo
	v_cmpx_lt_i16_e32 26, v7
	s_xor_b32 s92, exec_lo, s92
	s_cbranch_execz .LBB14_6778
; %bb.6773:
	v_cmp_lt_i16_e32 vcc_lo, 27, v7
	v_cvt_u32_f32_e32 v7, v22
	s_and_saveexec_b32 s93, vcc_lo
	s_delay_alu instid0(SALU_CYCLE_1)
	s_xor_b32 s93, exec_lo, s93
	s_cbranch_execz .LBB14_6775
; %bb.6774:
	flat_store_b32 v[8:9], v7
                                        ; implicit-def: $vgpr8_vgpr9
                                        ; implicit-def: $vgpr7
.LBB14_6775:
	s_wait_xcnt 0x0
	s_and_not1_saveexec_b32 s93, s93
	s_cbranch_execz .LBB14_6777
; %bb.6776:
	flat_store_b16 v[8:9], v7
.LBB14_6777:
	s_wait_xcnt 0x0
	s_or_b32 exec_lo, exec_lo, s93
                                        ; implicit-def: $vgpr8_vgpr9
                                        ; implicit-def: $vgpr22
.LBB14_6778:
	s_and_not1_saveexec_b32 s92, s92
	s_cbranch_execz .LBB14_6786
; %bb.6779:
	v_and_b32_e32 v7, 0x7fffffff, v22
	v_mov_b32_e32 v10, 0x80
	s_mov_b32 s93, exec_lo
	s_delay_alu instid0(VALU_DEP_2)
	v_cmpx_gt_u32_e32 0x43800000, v7
	s_cbranch_execz .LBB14_6785
; %bb.6780:
	v_cmp_lt_u32_e32 vcc_lo, 0x3bffffff, v7
	s_mov_b32 s94, 0
                                        ; implicit-def: $vgpr7
	s_and_saveexec_b32 s95, vcc_lo
	s_delay_alu instid0(SALU_CYCLE_1)
	s_xor_b32 s95, exec_lo, s95
	s_cbranch_execnz .LBB14_7911
; %bb.6781:
	s_and_not1_saveexec_b32 s95, s95
	s_cbranch_execnz .LBB14_7912
.LBB14_6782:
	s_or_b32 exec_lo, exec_lo, s95
	v_mov_b32_e32 v10, 0
	s_and_saveexec_b32 s95, s94
.LBB14_6783:
	v_lshrrev_b32_e32 v10, 24, v22
	s_delay_alu instid0(VALU_DEP_1)
	v_and_or_b32 v10, 0x80, v10, v7
.LBB14_6784:
	s_or_b32 exec_lo, exec_lo, s95
.LBB14_6785:
	s_delay_alu instid0(SALU_CYCLE_1)
	s_or_b32 exec_lo, exec_lo, s93
	flat_store_b8 v[8:9], v10
.LBB14_6786:
	s_wait_xcnt 0x0
	s_or_b32 exec_lo, exec_lo, s92
	s_delay_alu instid0(SALU_CYCLE_1)
	s_or_b32 s0, s0, exec_lo
.LBB14_6787:
	s_or_b32 exec_lo, exec_lo, s89
	s_delay_alu instid0(SALU_CYCLE_1)
	s_and_not1_b32 s89, s76, exec_lo
	s_and_b32 s91, s91, exec_lo
	s_and_b32 s0, s0, exec_lo
	s_or_b32 s89, s89, s91
                                        ; implicit-def: $vgpr7
                                        ; implicit-def: $vgpr22
                                        ; implicit-def: $vgpr8_vgpr9
.LBB14_6788:
	s_and_not1_saveexec_b32 s90, s90
	s_cbranch_execz .LBB14_6832
; %bb.6789:
	s_mov_b32 s92, s0
	s_mov_b32 s91, exec_lo
	v_cmpx_lt_i16_e32 22, v7
	s_xor_b32 s91, exec_lo, s91
	s_cbranch_execz .LBB14_6821
; %bb.6790:
	s_mov_b32 s92, exec_lo
	v_cmpx_lt_i16_e32 23, v7
	s_xor_b32 s92, exec_lo, s92
	s_cbranch_execz .LBB14_6810
; %bb.6791:
	;; [unrolled: 5-line block ×3, first 2 shown]
	v_and_b32_e32 v7, 0x7fffffff, v22
	v_mov_b32_e32 v10, 0x80
	s_mov_b32 s94, exec_lo
	s_delay_alu instid0(VALU_DEP_2)
	v_cmpx_gt_u32_e32 0x47800000, v7
	s_cbranch_execz .LBB14_6798
; %bb.6793:
	v_cmp_lt_u32_e32 vcc_lo, 0x37ffffff, v7
	s_mov_b32 s95, 0
                                        ; implicit-def: $vgpr7
	s_and_saveexec_b32 vcc_hi, vcc_lo
	s_delay_alu instid0(SALU_CYCLE_1)
	s_xor_b32 vcc_lo, exec_lo, vcc_hi
	s_cbranch_execnz .LBB14_7913
; %bb.6794:
	s_and_not1_saveexec_b32 vcc_hi, vcc_lo
	s_cbranch_execnz .LBB14_7914
.LBB14_6795:
	s_or_b32 exec_lo, exec_lo, vcc_hi
	v_mov_b32_e32 v10, 0
	s_and_saveexec_b32 vcc_lo, s95
.LBB14_6796:
	v_lshrrev_b32_e32 v10, 24, v22
	s_delay_alu instid0(VALU_DEP_1)
	v_and_or_b32 v10, 0x80, v10, v7
.LBB14_6797:
	s_or_b32 exec_lo, exec_lo, vcc_lo
.LBB14_6798:
	s_delay_alu instid0(SALU_CYCLE_1)
	s_or_b32 exec_lo, exec_lo, s94
	flat_store_b8 v[8:9], v10
                                        ; implicit-def: $vgpr22
                                        ; implicit-def: $vgpr8_vgpr9
.LBB14_6799:
	s_wait_xcnt 0x0
	s_and_not1_saveexec_b32 s93, s93
	s_cbranch_execz .LBB14_6809
; %bb.6800:
	v_and_b32_e32 v10, 0x7fffffff, v22
	s_mov_b32 s94, exec_lo
                                        ; implicit-def: $vgpr7
	s_delay_alu instid0(VALU_DEP_1)
	v_cmpx_gt_u32_e32 0x43f00000, v10
	s_xor_b32 s94, exec_lo, s94
	s_cbranch_execz .LBB14_6806
; %bb.6801:
	s_mov_b32 s95, exec_lo
                                        ; implicit-def: $vgpr7
	v_cmpx_lt_u32_e32 0x3c7fffff, v10
	s_xor_b32 s95, exec_lo, s95
; %bb.6802:
	v_bfe_u32 v7, v22, 20, 1
	s_delay_alu instid0(VALU_DEP_1) | instskip(NEXT) | instid1(VALU_DEP_1)
	v_add3_u32 v7, v22, v7, 0x407ffff
	v_and_b32_e32 v10, 0xff00000, v7
	v_lshrrev_b32_e32 v7, 20, v7
	s_delay_alu instid0(VALU_DEP_2) | instskip(NEXT) | instid1(VALU_DEP_2)
	v_cmp_ne_u32_e32 vcc_lo, 0x7f00000, v10
	v_cndmask_b32_e32 v7, 0x7e, v7, vcc_lo
; %bb.6803:
	s_and_not1_saveexec_b32 s95, s95
; %bb.6804:
	v_add_f32_e64 v7, 0x46800000, |v22|
; %bb.6805:
	s_or_b32 exec_lo, exec_lo, s95
                                        ; implicit-def: $vgpr10
.LBB14_6806:
	s_and_not1_saveexec_b32 s94, s94
; %bb.6807:
	v_mov_b32_e32 v7, 0x7f
	v_cmp_lt_u32_e32 vcc_lo, 0x7f800000, v10
	s_delay_alu instid0(VALU_DEP_2)
	v_cndmask_b32_e32 v7, 0x7e, v7, vcc_lo
; %bb.6808:
	s_or_b32 exec_lo, exec_lo, s94
	v_lshrrev_b32_e32 v10, 24, v22
	s_delay_alu instid0(VALU_DEP_1)
	v_and_or_b32 v7, 0x80, v10, v7
	flat_store_b8 v[8:9], v7
.LBB14_6809:
	s_wait_xcnt 0x0
	s_or_b32 exec_lo, exec_lo, s93
                                        ; implicit-def: $vgpr22
                                        ; implicit-def: $vgpr8_vgpr9
.LBB14_6810:
	s_and_not1_saveexec_b32 s92, s92
	s_cbranch_execz .LBB14_6820
; %bb.6811:
	v_and_b32_e32 v10, 0x7fffffff, v22
	s_mov_b32 s93, exec_lo
                                        ; implicit-def: $vgpr7
	s_delay_alu instid0(VALU_DEP_1)
	v_cmpx_gt_u32_e32 0x47800000, v10
	s_xor_b32 s93, exec_lo, s93
	s_cbranch_execz .LBB14_6817
; %bb.6812:
	s_mov_b32 s94, exec_lo
                                        ; implicit-def: $vgpr7
	v_cmpx_lt_u32_e32 0x387fffff, v10
	s_xor_b32 s94, exec_lo, s94
; %bb.6813:
	v_bfe_u32 v7, v22, 21, 1
	s_delay_alu instid0(VALU_DEP_1) | instskip(NEXT) | instid1(VALU_DEP_1)
	v_add3_u32 v7, v22, v7, 0x80fffff
	v_lshrrev_b32_e32 v7, 21, v7
; %bb.6814:
	s_and_not1_saveexec_b32 s94, s94
; %bb.6815:
	v_add_f32_e64 v7, 0x43000000, |v22|
; %bb.6816:
	s_or_b32 exec_lo, exec_lo, s94
                                        ; implicit-def: $vgpr10
.LBB14_6817:
	s_and_not1_saveexec_b32 s93, s93
; %bb.6818:
	v_mov_b32_e32 v7, 0x7f
	v_cmp_lt_u32_e32 vcc_lo, 0x7f800000, v10
	s_delay_alu instid0(VALU_DEP_2)
	v_cndmask_b32_e32 v7, 0x7c, v7, vcc_lo
; %bb.6819:
	s_or_b32 exec_lo, exec_lo, s93
	v_lshrrev_b32_e32 v10, 24, v22
	s_delay_alu instid0(VALU_DEP_1)
	v_and_or_b32 v7, 0x80, v10, v7
	flat_store_b8 v[8:9], v7
.LBB14_6820:
	s_wait_xcnt 0x0
	s_or_b32 exec_lo, exec_lo, s92
	s_delay_alu instid0(SALU_CYCLE_1)
	s_or_b32 s92, s0, exec_lo
                                        ; implicit-def: $vgpr7
                                        ; implicit-def: $vgpr22
                                        ; implicit-def: $vgpr8_vgpr9
.LBB14_6821:
	s_or_saveexec_b32 s91, s91
	s_mov_b32 s93, s89
	s_xor_b32 exec_lo, exec_lo, s91
	s_cbranch_execz .LBB14_6831
; %bb.6822:
	s_mov_b32 s93, s92
	s_mov_b32 s94, s89
	s_mov_b32 s95, exec_lo
	v_cmpx_lt_i16_e32 14, v7
	s_xor_b32 s95, exec_lo, s95
	s_cbranch_execz .LBB14_6826
; %bb.6823:
	s_mov_b32 vcc_hi, -1
	s_mov_b32 s93, s92
	s_mov_b32 s94, exec_lo
	v_cmpx_eq_u16_e32 15, v7
	s_cbranch_execz .LBB14_6825
; %bb.6824:
	v_bfe_u32 v7, v22, 16, 1
	v_cmp_o_f32_e32 vcc_lo, v22, v22
	s_xor_b32 vcc_hi, exec_lo, -1
	s_or_b32 s93, s92, exec_lo
	s_delay_alu instid0(VALU_DEP_2) | instskip(NEXT) | instid1(VALU_DEP_1)
	v_add3_u32 v7, v22, v7, 0x7fff
	v_lshrrev_b32_e32 v7, 16, v7
	s_delay_alu instid0(VALU_DEP_1)
	v_cndmask_b32_e32 v7, 0x7fc0, v7, vcc_lo
	flat_store_b16 v[8:9], v7
.LBB14_6825:
	s_wait_xcnt 0x0
	s_or_b32 exec_lo, exec_lo, s94
	s_delay_alu instid0(SALU_CYCLE_1)
	s_and_not1_b32 s94, s89, exec_lo
	s_and_b32 vcc_lo, vcc_hi, exec_lo
	s_and_not1_b32 vcc_hi, s92, exec_lo
	s_and_b32 s93, s93, exec_lo
	s_or_b32 s94, s94, vcc_lo
	s_or_b32 s93, vcc_hi, s93
                                        ; implicit-def: $vgpr7
                                        ; implicit-def: $vgpr22
                                        ; implicit-def: $vgpr8_vgpr9
.LBB14_6826:
	s_and_not1_saveexec_b32 s95, s95
	s_cbranch_execz .LBB14_6830
; %bb.6827:
	s_mov_b32 s30, -1
	s_mov_b32 vcc_hi, s93
	s_mov_b32 s31, exec_lo
	v_cmpx_eq_u16_e32 11, v7
	s_cbranch_execz .LBB14_6829
; %bb.6828:
	v_cmp_neq_f32_e32 vcc_lo, 0, v22
	s_xor_b32 s30, exec_lo, -1
	s_or_b32 vcc_hi, s93, exec_lo
	v_cndmask_b32_e64 v7, 0, 1, vcc_lo
	flat_store_b8 v[8:9], v7
.LBB14_6829:
	s_wait_xcnt 0x0
	s_or_b32 exec_lo, exec_lo, s31
	s_delay_alu instid0(SALU_CYCLE_1)
	s_and_not1_b32 s94, s94, exec_lo
	s_and_b32 vcc_lo, s30, exec_lo
	s_and_not1_b32 s93, s93, exec_lo
	s_and_b32 vcc_hi, vcc_hi, exec_lo
	s_or_b32 s94, s94, vcc_lo
	s_or_b32 s93, s93, vcc_hi
.LBB14_6830:
	s_or_b32 exec_lo, exec_lo, s95
	s_delay_alu instid0(SALU_CYCLE_1)
	s_and_not1_b32 s95, s89, exec_lo
	s_and_b32 s94, s94, exec_lo
	s_and_not1_b32 s92, s92, exec_lo
	s_and_b32 vcc_lo, s93, exec_lo
	s_or_b32 s93, s95, s94
	s_or_b32 s92, s92, vcc_lo
.LBB14_6831:
	s_or_b32 exec_lo, exec_lo, s91
	s_delay_alu instid0(SALU_CYCLE_1)
	s_and_not1_b32 s89, s89, exec_lo
	s_and_b32 s91, s93, exec_lo
	s_and_not1_b32 s0, s0, exec_lo
	s_and_b32 s92, s92, exec_lo
	s_or_b32 s89, s89, s91
	s_or_b32 s0, s0, s92
.LBB14_6832:
	s_or_b32 exec_lo, exec_lo, s90
	s_delay_alu instid0(SALU_CYCLE_1)
	s_and_not1_b32 s90, s76, exec_lo
	s_and_b32 s89, s89, exec_lo
	s_and_b32 s0, s0, exec_lo
	s_or_b32 s89, s90, s89
                                        ; implicit-def: $vgpr7
                                        ; implicit-def: $vgpr22
                                        ; implicit-def: $vgpr8_vgpr9
.LBB14_6833:
	s_and_not1_saveexec_b32 s78, s78
	s_cbranch_execz .LBB14_6875
; %bb.6834:
	s_mov_b32 s90, exec_lo
	v_cmpx_lt_i16_e32 4, v7
	s_xor_b32 s90, exec_lo, s90
	s_cbranch_execz .LBB14_6856
; %bb.6835:
	s_mov_b32 s91, exec_lo
	v_cmpx_lt_i16_e32 7, v7
	s_xor_b32 s91, exec_lo, s91
	s_cbranch_execz .LBB14_6845
; %bb.6836:
	s_mov_b32 s92, exec_lo
	v_cmpx_lt_i16_e32 8, v7
	s_xor_b32 s92, exec_lo, s92
	s_cbranch_execz .LBB14_6842
; %bb.6837:
	s_mov_b32 s93, exec_lo
	v_cmpx_lt_i16_e32 9, v7
	s_xor_b32 s93, exec_lo, s93
	s_cbranch_execz .LBB14_6839
; %bb.6838:
	v_cvt_f64_f32_e32 v[26:27], v22
	v_mov_b32_e32 v28, 0
                                        ; implicit-def: $vgpr22
	s_delay_alu instid0(VALU_DEP_1)
	v_mov_b32_e32 v29, v28
	flat_store_b128 v[8:9], v[26:29]
                                        ; implicit-def: $vgpr8_vgpr9
.LBB14_6839:
	s_wait_xcnt 0x0
	s_and_not1_saveexec_b32 s93, s93
	s_cbranch_execz .LBB14_6841
; %bb.6840:
	v_mov_b32_e32 v23, 0
	flat_store_b64 v[8:9], v[22:23]
.LBB14_6841:
	s_wait_xcnt 0x0
	s_or_b32 exec_lo, exec_lo, s93
                                        ; implicit-def: $vgpr22
                                        ; implicit-def: $vgpr8_vgpr9
.LBB14_6842:
	s_and_not1_saveexec_b32 s92, s92
	s_cbranch_execz .LBB14_6844
; %bb.6843:
	v_cvt_f16_f32_e32 v7, v22
	s_delay_alu instid0(VALU_DEP_1)
	v_and_b32_e32 v7, 0xffff, v7
	flat_store_b32 v[8:9], v7
.LBB14_6844:
	s_wait_xcnt 0x0
	s_or_b32 exec_lo, exec_lo, s92
                                        ; implicit-def: $vgpr22
                                        ; implicit-def: $vgpr8_vgpr9
                                        ; implicit-def: $vgpr7
.LBB14_6845:
	s_and_not1_saveexec_b32 s91, s91
	s_cbranch_execz .LBB14_6855
; %bb.6846:
	s_mov_b32 s92, exec_lo
	v_cmpx_lt_i16_e32 5, v7
	s_xor_b32 s92, exec_lo, s92
	s_cbranch_execz .LBB14_6852
; %bb.6847:
	s_mov_b32 s93, exec_lo
	v_cmpx_lt_i16_e32 6, v7
	s_xor_b32 s93, exec_lo, s93
	s_cbranch_execz .LBB14_6849
; %bb.6848:
	v_cvt_f64_f32_e32 v[22:23], v22
	flat_store_b64 v[8:9], v[22:23]
                                        ; implicit-def: $vgpr8_vgpr9
                                        ; implicit-def: $vgpr22
.LBB14_6849:
	s_wait_xcnt 0x0
	s_and_not1_saveexec_b32 s93, s93
	s_cbranch_execz .LBB14_6851
; %bb.6850:
	flat_store_b32 v[8:9], v22
.LBB14_6851:
	s_wait_xcnt 0x0
	s_or_b32 exec_lo, exec_lo, s93
                                        ; implicit-def: $vgpr22
                                        ; implicit-def: $vgpr8_vgpr9
.LBB14_6852:
	s_and_not1_saveexec_b32 s92, s92
	s_cbranch_execz .LBB14_6854
; %bb.6853:
	v_cvt_f16_f32_e32 v7, v22
	flat_store_b16 v[8:9], v7
.LBB14_6854:
	s_wait_xcnt 0x0
	s_or_b32 exec_lo, exec_lo, s92
.LBB14_6855:
	s_delay_alu instid0(SALU_CYCLE_1)
	s_or_b32 exec_lo, exec_lo, s91
                                        ; implicit-def: $vgpr7
                                        ; implicit-def: $vgpr22
                                        ; implicit-def: $vgpr8_vgpr9
.LBB14_6856:
	s_and_not1_saveexec_b32 s90, s90
	s_cbranch_execz .LBB14_6874
; %bb.6857:
	s_mov_b32 s91, exec_lo
	v_cmpx_lt_i16_e32 1, v7
	s_xor_b32 s91, exec_lo, s91
	s_cbranch_execz .LBB14_6867
; %bb.6858:
	s_mov_b32 s92, exec_lo
	v_cmpx_lt_i16_e32 2, v7
	s_xor_b32 s92, exec_lo, s92
	;; [unrolled: 5-line block ×3, first 2 shown]
	s_cbranch_execz .LBB14_6861
; %bb.6860:
	v_trunc_f32_e32 v7, v22
	s_delay_alu instid0(VALU_DEP_1) | instskip(SKIP_1) | instid1(VALU_DEP_2)
	v_mul_f32_e64 v10, 0x2f800000, |v7|
	v_ashrrev_i32_e32 v22, 31, v7
	v_floor_f32_e32 v10, v10
	s_delay_alu instid0(VALU_DEP_1) | instskip(SKIP_1) | instid1(VALU_DEP_2)
	v_fma_f32 v23, 0xcf800000, v10, |v7|
	v_cvt_u32_f32_e32 v7, v10
	v_cvt_u32_f32_e32 v10, v23
	s_delay_alu instid0(VALU_DEP_2) | instskip(NEXT) | instid1(VALU_DEP_2)
	v_dual_mov_b32 v23, v22 :: v_dual_bitop2_b32 v27, v7, v22 bitop3:0x14
	v_xor_b32_e32 v26, v10, v22
	s_delay_alu instid0(VALU_DEP_1)
	v_sub_nc_u64_e32 v[22:23], v[26:27], v[22:23]
	flat_store_b64 v[8:9], v[22:23]
                                        ; implicit-def: $vgpr22
                                        ; implicit-def: $vgpr8_vgpr9
.LBB14_6861:
	s_wait_xcnt 0x0
	s_and_not1_saveexec_b32 s93, s93
	s_cbranch_execz .LBB14_6863
; %bb.6862:
	v_cvt_i32_f32_e32 v7, v22
	flat_store_b32 v[8:9], v7
.LBB14_6863:
	s_wait_xcnt 0x0
	s_or_b32 exec_lo, exec_lo, s93
                                        ; implicit-def: $vgpr22
                                        ; implicit-def: $vgpr8_vgpr9
.LBB14_6864:
	s_and_not1_saveexec_b32 s92, s92
	s_cbranch_execz .LBB14_6866
; %bb.6865:
	v_cvt_i32_f32_e32 v7, v22
	flat_store_b16 v[8:9], v7
.LBB14_6866:
	s_wait_xcnt 0x0
	s_or_b32 exec_lo, exec_lo, s92
                                        ; implicit-def: $vgpr22
                                        ; implicit-def: $vgpr8_vgpr9
                                        ; implicit-def: $vgpr7
.LBB14_6867:
	s_and_not1_saveexec_b32 s91, s91
	s_cbranch_execz .LBB14_6873
; %bb.6868:
	s_mov_b32 s92, exec_lo
	v_cmpx_lt_i16_e32 0, v7
	s_xor_b32 s92, exec_lo, s92
	s_cbranch_execz .LBB14_6870
; %bb.6869:
	v_cvt_i32_f32_e32 v7, v22
                                        ; implicit-def: $vgpr22
	flat_store_b8 v[8:9], v7
                                        ; implicit-def: $vgpr8_vgpr9
.LBB14_6870:
	s_wait_xcnt 0x0
	s_and_not1_saveexec_b32 s92, s92
	s_cbranch_execz .LBB14_6872
; %bb.6871:
	v_trunc_f32_e32 v7, v22
	s_delay_alu instid0(VALU_DEP_1) | instskip(NEXT) | instid1(VALU_DEP_1)
	v_mul_f32_e64 v10, 0x2f800000, |v7|
	v_floor_f32_e32 v10, v10
	s_delay_alu instid0(VALU_DEP_1) | instskip(SKIP_1) | instid1(VALU_DEP_2)
	v_fma_f32 v10, 0xcf800000, v10, |v7|
	v_ashrrev_i32_e32 v7, 31, v7
	v_cvt_u32_f32_e32 v10, v10
	s_delay_alu instid0(VALU_DEP_1) | instskip(NEXT) | instid1(VALU_DEP_1)
	v_xor_b32_e32 v10, v10, v7
	v_sub_nc_u32_e32 v7, v10, v7
	flat_store_b8 v[8:9], v7
.LBB14_6872:
	s_wait_xcnt 0x0
	s_or_b32 exec_lo, exec_lo, s92
.LBB14_6873:
	s_delay_alu instid0(SALU_CYCLE_1)
	s_or_b32 exec_lo, exec_lo, s91
.LBB14_6874:
	s_delay_alu instid0(SALU_CYCLE_1) | instskip(NEXT) | instid1(SALU_CYCLE_1)
	s_or_b32 exec_lo, exec_lo, s90
	s_or_b32 s0, s0, exec_lo
.LBB14_6875:
	s_or_b32 exec_lo, exec_lo, s78
	s_mov_b32 s90, 0
	s_mov_b32 s78, 0
	s_and_saveexec_b32 s91, s0
; %bb.6876:
	v_add_nc_u32_e32 v13, 0x200, v13
	s_mov_b32 s90, exec_lo
	s_delay_alu instid0(VALU_DEP_1)
	v_cmp_lt_i32_e32 vcc_lo, v13, v6
	s_and_b32 s78, vcc_lo, exec_lo
; %bb.6877:
	s_or_b32 exec_lo, exec_lo, s91
	s_delay_alu instid0(SALU_CYCLE_1)
	s_and_not1_b32 s0, s76, exec_lo
	s_and_b32 s89, s89, exec_lo
	s_and_b32 s91, s78, exec_lo
	s_or_b32 s78, s0, s89
	s_or_not1_b32 s90, s90, exec_lo
.LBB14_6878:
	s_or_b32 exec_lo, exec_lo, s79
	s_mov_b32 s0, 0
	s_mov_b32 s89, 0
                                        ; implicit-def: $vgpr8
                                        ; implicit-def: $vgpr7
                                        ; implicit-def: $vgpr38_vgpr39
	s_and_saveexec_b32 s79, s90
	s_cbranch_execz .LBB14_7740
; %bb.6879:
	s_mov_b32 s92, -1
	s_mov_b32 s90, 0
	s_mov_b32 s88, s78
	s_and_saveexec_b32 s89, s91
	s_cbranch_execz .LBB14_7007
; %bb.6880:
	v_dual_add_nc_u32 v7, s2, v13 :: v_dual_mov_b32 v9, 0
	s_wait_loadcnt 0x3
	v_mul_f32_e32 v10, v24, v25
	v_cmp_lt_f32_e32 vcc_lo, 0, v25
	s_mov_b32 s91, s78
	v_mul_lo_u32 v8, v7, v12
	v_and_b32_e32 v7, 0xff, v11
	s_mov_b32 s88, exec_lo
	v_cndmask_b32_e32 v22, v10, v25, vcc_lo
	s_delay_alu instid0(VALU_DEP_3) | instskip(NEXT) | instid1(VALU_DEP_3)
	v_add_nc_u64_e32 v[8:9], v[0:1], v[8:9]
	v_cmpx_lt_i16_e32 10, v7
	s_xor_b32 s88, exec_lo, s88
	s_cbranch_execz .LBB14_6962
; %bb.6881:
	s_mov_b32 s91, s78
	s_mov_b32 s92, exec_lo
	v_cmpx_lt_i16_e32 25, v7
	s_xor_b32 s92, exec_lo, s92
	s_cbranch_execz .LBB14_6917
; %bb.6882:
	s_mov_b32 s93, s78
	s_mov_b32 s91, exec_lo
	;; [unrolled: 6-line block ×3, first 2 shown]
	v_cmpx_lt_i16_e32 43, v7
	s_xor_b32 s93, exec_lo, s93
	s_cbranch_execz .LBB14_6895
; %bb.6884:
	s_mov_b32 s94, 0
	s_mov_b32 s95, s78
	s_mov_b32 s0, exec_lo
	v_cmpx_lt_i16_e32 45, v7
	s_xor_b32 s0, exec_lo, s0
	s_cbranch_execz .LBB14_6888
; %bb.6885:
	s_mov_b32 vcc_hi, -1
	s_mov_b32 s95, exec_lo
	v_cmpx_eq_u16_e32 46, v7
	s_cbranch_execz .LBB14_6887
; %bb.6886:
	v_bfe_u32 v7, v22, 16, 1
	v_cmp_o_f32_e32 vcc_lo, v22, v22
	s_mov_b32 s94, exec_lo
	s_xor_b32 vcc_hi, exec_lo, -1
	s_delay_alu instid0(VALU_DEP_2) | instskip(NEXT) | instid1(VALU_DEP_1)
	v_add3_u32 v7, v22, v7, 0x7fff
	v_lshrrev_b32_e32 v7, 16, v7
	s_delay_alu instid0(VALU_DEP_1)
	v_cndmask_b32_e32 v7, 0x7fc0, v7, vcc_lo
	flat_store_b32 v[8:9], v7
.LBB14_6887:
	s_wait_xcnt 0x0
	s_or_b32 exec_lo, exec_lo, s95
	s_delay_alu instid0(SALU_CYCLE_1)
	s_and_not1_b32 s95, s78, exec_lo
	s_and_b32 vcc_lo, vcc_hi, exec_lo
	s_and_b32 s94, s94, exec_lo
	s_or_b32 s95, s95, vcc_lo
                                        ; implicit-def: $vgpr7
                                        ; implicit-def: $vgpr8_vgpr9
                                        ; implicit-def: $vgpr22
.LBB14_6888:
	s_and_not1_saveexec_b32 vcc_hi, s0
	s_cbranch_execz .LBB14_6894
; %bb.6889:
	s_mov_b32 s31, -1
	s_mov_b32 s0, s94
	s_mov_b32 s30, exec_lo
	v_cmpx_eq_u16_e32 44, v7
	s_cbranch_execz .LBB14_6893
; %bb.6890:
	v_bfe_u32 v10, v22, 23, 8
	v_mov_b32_e32 v7, 0xff
	s_mov_b32 s31, exec_lo
	s_delay_alu instid0(VALU_DEP_2)
	v_cmpx_ne_u32_e32 0xff, v10
	s_cbranch_execz .LBB14_6892
; %bb.6891:
	v_and_b32_e32 v7, 0x400000, v22
	v_and_or_b32 v10, 0x3fffff, v22, v10
	s_delay_alu instid0(VALU_DEP_2) | instskip(NEXT) | instid1(VALU_DEP_2)
	v_cmp_ne_u32_e32 vcc_lo, 0, v7
	v_cmp_ne_u32_e64 s0, 0, v10
	v_lshrrev_b32_e32 v7, 23, v22
	s_and_b32 s0, vcc_lo, s0
	s_delay_alu instid0(SALU_CYCLE_1) | instskip(NEXT) | instid1(VALU_DEP_1)
	v_cndmask_b32_e64 v10, 0, 1, s0
	v_add_nc_u32_e32 v7, v7, v10
.LBB14_6892:
	s_or_b32 exec_lo, exec_lo, s31
	s_delay_alu instid0(SALU_CYCLE_1)
	s_xor_b32 s31, exec_lo, -1
	s_or_b32 s0, s94, exec_lo
	flat_store_b8 v[8:9], v7
.LBB14_6893:
	s_wait_xcnt 0x0
	s_or_b32 exec_lo, exec_lo, s30
	s_delay_alu instid0(SALU_CYCLE_1)
	s_and_not1_b32 s95, s95, exec_lo
	s_and_b32 vcc_lo, s31, exec_lo
	s_and_not1_b32 s94, s94, exec_lo
	s_and_b32 s0, s0, exec_lo
	s_or_b32 s95, s95, vcc_lo
	s_or_b32 s94, s94, s0
.LBB14_6894:
	s_or_b32 exec_lo, exec_lo, vcc_hi
	s_delay_alu instid0(SALU_CYCLE_1) | instskip(SKIP_1) | instid1(SALU_CYCLE_1)
	s_and_not1_b32 s0, s78, exec_lo
	s_and_b32 s95, s95, exec_lo
                                        ; implicit-def: $vgpr7
                                        ; implicit-def: $vgpr22
                                        ; implicit-def: $vgpr8_vgpr9
	s_or_b32 s95, s0, s95
	s_and_b32 s0, s94, exec_lo
.LBB14_6895:
	s_and_not1_saveexec_b32 s93, s93
	s_cbranch_execz .LBB14_6899
; %bb.6896:
	s_mov_b32 s30, -1
	s_mov_b32 vcc_hi, s0
	s_mov_b32 s94, exec_lo
	v_cmpx_eq_u16_e32 29, v7
	s_cbranch_execz .LBB14_6898
; %bb.6897:
	v_trunc_f32_e32 v7, v22
	s_xor_b32 s30, exec_lo, -1
	s_or_b32 vcc_hi, s0, exec_lo
	s_delay_alu instid0(VALU_DEP_1) | instskip(NEXT) | instid1(VALU_DEP_1)
	v_mul_f32_e32 v10, 0x2f800000, v7
	v_floor_f32_e32 v10, v10
	s_delay_alu instid0(VALU_DEP_1) | instskip(SKIP_1) | instid1(VALU_DEP_2)
	v_fmamk_f32 v7, v10, 0xcf800000, v7
	v_cvt_u32_f32_e32 v23, v10
	v_cvt_u32_f32_e32 v22, v7
	flat_store_b64 v[8:9], v[22:23]
.LBB14_6898:
	s_wait_xcnt 0x0
	s_or_b32 exec_lo, exec_lo, s94
	s_delay_alu instid0(SALU_CYCLE_1)
	s_and_not1_b32 s94, s95, exec_lo
	s_and_b32 s95, s30, exec_lo
	s_and_not1_b32 s0, s0, exec_lo
	s_and_b32 vcc_lo, vcc_hi, exec_lo
	s_or_b32 s95, s94, s95
	s_or_b32 s0, s0, vcc_lo
.LBB14_6899:
	s_or_b32 exec_lo, exec_lo, s93
	s_delay_alu instid0(SALU_CYCLE_1)
	s_and_not1_b32 s93, s78, exec_lo
	s_and_b32 s94, s95, exec_lo
	s_and_b32 s0, s0, exec_lo
	s_or_b32 s93, s93, s94
                                        ; implicit-def: $vgpr8_vgpr9
                                        ; implicit-def: $vgpr7
                                        ; implicit-def: $vgpr22
.LBB14_6900:
	s_and_not1_saveexec_b32 s91, s91
	s_cbranch_execz .LBB14_6916
; %bb.6901:
	s_mov_b32 s94, exec_lo
	v_cmpx_lt_i16_e32 26, v7
	s_xor_b32 s94, exec_lo, s94
	s_cbranch_execz .LBB14_6907
; %bb.6902:
	v_cmp_lt_i16_e32 vcc_lo, 27, v7
	v_cvt_u32_f32_e32 v7, v22
	s_and_saveexec_b32 s95, vcc_lo
	s_delay_alu instid0(SALU_CYCLE_1)
	s_xor_b32 s95, exec_lo, s95
	s_cbranch_execz .LBB14_6904
; %bb.6903:
	flat_store_b32 v[8:9], v7
                                        ; implicit-def: $vgpr8_vgpr9
                                        ; implicit-def: $vgpr7
.LBB14_6904:
	s_wait_xcnt 0x0
	s_and_not1_saveexec_b32 s95, s95
	s_cbranch_execz .LBB14_6906
; %bb.6905:
	flat_store_b16 v[8:9], v7
.LBB14_6906:
	s_wait_xcnt 0x0
	s_or_b32 exec_lo, exec_lo, s95
                                        ; implicit-def: $vgpr8_vgpr9
                                        ; implicit-def: $vgpr22
.LBB14_6907:
	s_and_not1_saveexec_b32 s94, s94
	s_cbranch_execz .LBB14_6915
; %bb.6908:
	v_and_b32_e32 v7, 0x7fffffff, v22
	v_mov_b32_e32 v10, 0x80
	s_mov_b32 s95, exec_lo
	s_delay_alu instid0(VALU_DEP_2)
	v_cmpx_gt_u32_e32 0x43800000, v7
	s_cbranch_execz .LBB14_6914
; %bb.6909:
	v_cmp_lt_u32_e32 vcc_lo, 0x3bffffff, v7
	s_mov_b32 vcc_hi, 0
                                        ; implicit-def: $vgpr7
	s_and_saveexec_b32 s30, vcc_lo
	s_delay_alu instid0(SALU_CYCLE_1)
	s_xor_b32 vcc_lo, exec_lo, s30
	s_cbranch_execnz .LBB14_7915
; %bb.6910:
	s_and_not1_saveexec_b32 s30, vcc_lo
	s_cbranch_execnz .LBB14_7916
.LBB14_6911:
	s_or_b32 exec_lo, exec_lo, s30
	v_mov_b32_e32 v10, 0
	s_and_saveexec_b32 vcc_lo, vcc_hi
.LBB14_6912:
	v_lshrrev_b32_e32 v10, 24, v22
	s_delay_alu instid0(VALU_DEP_1)
	v_and_or_b32 v10, 0x80, v10, v7
.LBB14_6913:
	s_or_b32 exec_lo, exec_lo, vcc_lo
.LBB14_6914:
	s_delay_alu instid0(SALU_CYCLE_1)
	s_or_b32 exec_lo, exec_lo, s95
	flat_store_b8 v[8:9], v10
.LBB14_6915:
	s_wait_xcnt 0x0
	s_or_b32 exec_lo, exec_lo, s94
	s_delay_alu instid0(SALU_CYCLE_1)
	s_or_b32 s0, s0, exec_lo
.LBB14_6916:
	s_or_b32 exec_lo, exec_lo, s91
	s_delay_alu instid0(SALU_CYCLE_1)
	s_and_not1_b32 s91, s78, exec_lo
	s_and_b32 s93, s93, exec_lo
	s_and_b32 s0, s0, exec_lo
	s_or_b32 s91, s91, s93
                                        ; implicit-def: $vgpr7
                                        ; implicit-def: $vgpr22
                                        ; implicit-def: $vgpr8_vgpr9
.LBB14_6917:
	s_and_not1_saveexec_b32 s92, s92
	s_cbranch_execz .LBB14_6961
; %bb.6918:
	s_mov_b32 s94, s0
	s_mov_b32 s93, exec_lo
	v_cmpx_lt_i16_e32 22, v7
	s_xor_b32 s93, exec_lo, s93
	s_cbranch_execz .LBB14_6950
; %bb.6919:
	s_mov_b32 s94, exec_lo
	v_cmpx_lt_i16_e32 23, v7
	s_xor_b32 s94, exec_lo, s94
	s_cbranch_execz .LBB14_6939
; %bb.6920:
	;; [unrolled: 5-line block ×3, first 2 shown]
	v_and_b32_e32 v7, 0x7fffffff, v22
	v_mov_b32_e32 v10, 0x80
	s_mov_b32 vcc_hi, exec_lo
	s_delay_alu instid0(VALU_DEP_2)
	v_cmpx_gt_u32_e32 0x47800000, v7
	s_cbranch_execz .LBB14_6927
; %bb.6922:
	v_cmp_lt_u32_e32 vcc_lo, 0x37ffffff, v7
	s_mov_b32 s30, 0
                                        ; implicit-def: $vgpr7
	s_and_saveexec_b32 s31, vcc_lo
	s_delay_alu instid0(SALU_CYCLE_1)
	s_xor_b32 vcc_lo, exec_lo, s31
	s_cbranch_execnz .LBB14_7917
; %bb.6923:
	s_and_not1_saveexec_b32 s31, vcc_lo
	s_cbranch_execnz .LBB14_7918
.LBB14_6924:
	s_or_b32 exec_lo, exec_lo, s31
	v_mov_b32_e32 v10, 0
	s_and_saveexec_b32 vcc_lo, s30
.LBB14_6925:
	v_lshrrev_b32_e32 v10, 24, v22
	s_delay_alu instid0(VALU_DEP_1)
	v_and_or_b32 v10, 0x80, v10, v7
.LBB14_6926:
	s_or_b32 exec_lo, exec_lo, vcc_lo
.LBB14_6927:
	s_delay_alu instid0(SALU_CYCLE_1)
	s_or_b32 exec_lo, exec_lo, vcc_hi
	flat_store_b8 v[8:9], v10
                                        ; implicit-def: $vgpr22
                                        ; implicit-def: $vgpr8_vgpr9
.LBB14_6928:
	s_wait_xcnt 0x0
	s_and_not1_saveexec_b32 s95, s95
	s_cbranch_execz .LBB14_6938
; %bb.6929:
	v_and_b32_e32 v10, 0x7fffffff, v22
	s_mov_b32 vcc_hi, exec_lo
                                        ; implicit-def: $vgpr7
	s_delay_alu instid0(VALU_DEP_1)
	v_cmpx_gt_u32_e32 0x43f00000, v10
	s_xor_b32 vcc_hi, exec_lo, vcc_hi
	s_cbranch_execz .LBB14_6935
; %bb.6930:
	s_mov_b32 s30, exec_lo
                                        ; implicit-def: $vgpr7
	v_cmpx_lt_u32_e32 0x3c7fffff, v10
	s_xor_b32 s30, exec_lo, s30
; %bb.6931:
	v_bfe_u32 v7, v22, 20, 1
	s_delay_alu instid0(VALU_DEP_1) | instskip(NEXT) | instid1(VALU_DEP_1)
	v_add3_u32 v7, v22, v7, 0x407ffff
	v_and_b32_e32 v10, 0xff00000, v7
	v_lshrrev_b32_e32 v7, 20, v7
	s_delay_alu instid0(VALU_DEP_2) | instskip(NEXT) | instid1(VALU_DEP_2)
	v_cmp_ne_u32_e32 vcc_lo, 0x7f00000, v10
	v_cndmask_b32_e32 v7, 0x7e, v7, vcc_lo
; %bb.6932:
	s_and_not1_saveexec_b32 vcc_lo, s30
; %bb.6933:
	v_add_f32_e64 v7, 0x46800000, |v22|
; %bb.6934:
	s_or_b32 exec_lo, exec_lo, vcc_lo
                                        ; implicit-def: $vgpr10
.LBB14_6935:
	s_and_not1_saveexec_b32 vcc_hi, vcc_hi
; %bb.6936:
	v_mov_b32_e32 v7, 0x7f
	v_cmp_lt_u32_e32 vcc_lo, 0x7f800000, v10
	s_delay_alu instid0(VALU_DEP_2)
	v_cndmask_b32_e32 v7, 0x7e, v7, vcc_lo
; %bb.6937:
	s_or_b32 exec_lo, exec_lo, vcc_hi
	v_lshrrev_b32_e32 v10, 24, v22
	s_delay_alu instid0(VALU_DEP_1)
	v_and_or_b32 v7, 0x80, v10, v7
	flat_store_b8 v[8:9], v7
.LBB14_6938:
	s_wait_xcnt 0x0
	s_or_b32 exec_lo, exec_lo, s95
                                        ; implicit-def: $vgpr22
                                        ; implicit-def: $vgpr8_vgpr9
.LBB14_6939:
	s_and_not1_saveexec_b32 s94, s94
	s_cbranch_execz .LBB14_6949
; %bb.6940:
	v_and_b32_e32 v10, 0x7fffffff, v22
	s_mov_b32 s95, exec_lo
                                        ; implicit-def: $vgpr7
	s_delay_alu instid0(VALU_DEP_1)
	v_cmpx_gt_u32_e32 0x47800000, v10
	s_xor_b32 s95, exec_lo, s95
	s_cbranch_execz .LBB14_6946
; %bb.6941:
	v_cmp_lt_u32_e32 vcc_lo, 0x387fffff, v10
                                        ; implicit-def: $vgpr7
	s_and_saveexec_b32 vcc_hi, vcc_lo
	s_delay_alu instid0(SALU_CYCLE_1)
	s_xor_b32 vcc_lo, exec_lo, vcc_hi
; %bb.6942:
	v_bfe_u32 v7, v22, 21, 1
	s_delay_alu instid0(VALU_DEP_1) | instskip(NEXT) | instid1(VALU_DEP_1)
	v_add3_u32 v7, v22, v7, 0x80fffff
	v_lshrrev_b32_e32 v7, 21, v7
; %bb.6943:
	s_and_not1_saveexec_b32 vcc_lo, vcc_lo
; %bb.6944:
	v_add_f32_e64 v7, 0x43000000, |v22|
; %bb.6945:
	s_or_b32 exec_lo, exec_lo, vcc_lo
                                        ; implicit-def: $vgpr10
.LBB14_6946:
	s_and_not1_saveexec_b32 s95, s95
; %bb.6947:
	v_mov_b32_e32 v7, 0x7f
	v_cmp_lt_u32_e32 vcc_lo, 0x7f800000, v10
	s_delay_alu instid0(VALU_DEP_2)
	v_cndmask_b32_e32 v7, 0x7c, v7, vcc_lo
; %bb.6948:
	s_or_b32 exec_lo, exec_lo, s95
	v_lshrrev_b32_e32 v10, 24, v22
	s_delay_alu instid0(VALU_DEP_1)
	v_and_or_b32 v7, 0x80, v10, v7
	flat_store_b8 v[8:9], v7
.LBB14_6949:
	s_wait_xcnt 0x0
	s_or_b32 exec_lo, exec_lo, s94
	s_delay_alu instid0(SALU_CYCLE_1)
	s_or_b32 s94, s0, exec_lo
                                        ; implicit-def: $vgpr7
                                        ; implicit-def: $vgpr22
                                        ; implicit-def: $vgpr8_vgpr9
.LBB14_6950:
	s_or_saveexec_b32 s93, s93
	s_mov_b32 s95, s91
	s_xor_b32 exec_lo, exec_lo, s93
	s_cbranch_execz .LBB14_6960
; %bb.6951:
	s_mov_b32 s95, s94
	s_mov_b32 vcc_hi, s91
	s_mov_b32 s30, exec_lo
	v_cmpx_lt_i16_e32 14, v7
	s_xor_b32 s30, exec_lo, s30
	s_cbranch_execz .LBB14_6955
; %bb.6952:
	s_mov_b32 s31, -1
	s_mov_b32 s95, s94
	s_mov_b32 vcc_hi, exec_lo
	v_cmpx_eq_u16_e32 15, v7
	s_cbranch_execz .LBB14_6954
; %bb.6953:
	v_bfe_u32 v7, v22, 16, 1
	v_cmp_o_f32_e32 vcc_lo, v22, v22
	s_xor_b32 s31, exec_lo, -1
	s_or_b32 s95, s94, exec_lo
	s_delay_alu instid0(VALU_DEP_2) | instskip(NEXT) | instid1(VALU_DEP_1)
	v_add3_u32 v7, v22, v7, 0x7fff
	v_lshrrev_b32_e32 v7, 16, v7
	s_delay_alu instid0(VALU_DEP_1)
	v_cndmask_b32_e32 v7, 0x7fc0, v7, vcc_lo
	flat_store_b16 v[8:9], v7
.LBB14_6954:
	s_wait_xcnt 0x0
	s_or_b32 exec_lo, exec_lo, vcc_hi
	s_delay_alu instid0(SALU_CYCLE_1)
	s_and_not1_b32 vcc_lo, s91, exec_lo
	s_and_b32 vcc_hi, s31, exec_lo
	s_and_not1_b32 s31, s94, exec_lo
	s_and_b32 s95, s95, exec_lo
	s_or_b32 vcc_hi, vcc_lo, vcc_hi
	s_or_b32 s95, s31, s95
                                        ; implicit-def: $vgpr7
                                        ; implicit-def: $vgpr22
                                        ; implicit-def: $vgpr8_vgpr9
.LBB14_6955:
	s_and_not1_saveexec_b32 s30, s30
	s_cbranch_execz .LBB14_6959
; %bb.6956:
	s_mov_b32 s34, -1
	s_mov_b32 s31, s95
	s_mov_b32 s35, exec_lo
	v_cmpx_eq_u16_e32 11, v7
	s_cbranch_execz .LBB14_6958
; %bb.6957:
	v_cmp_neq_f32_e32 vcc_lo, 0, v22
	s_xor_b32 s34, exec_lo, -1
	s_or_b32 s31, s95, exec_lo
	v_cndmask_b32_e64 v7, 0, 1, vcc_lo
	flat_store_b8 v[8:9], v7
.LBB14_6958:
	s_wait_xcnt 0x0
	s_or_b32 exec_lo, exec_lo, s35
	s_delay_alu instid0(SALU_CYCLE_1)
	s_and_not1_b32 vcc_lo, vcc_hi, exec_lo
	s_and_b32 vcc_hi, s34, exec_lo
	s_and_not1_b32 s95, s95, exec_lo
	s_and_b32 s31, s31, exec_lo
	s_or_b32 vcc_hi, vcc_lo, vcc_hi
	s_or_b32 s95, s95, s31
.LBB14_6959:
	s_or_b32 exec_lo, exec_lo, s30
	s_delay_alu instid0(SALU_CYCLE_1)
	s_and_not1_b32 vcc_lo, s91, exec_lo
	s_and_b32 vcc_hi, vcc_hi, exec_lo
	s_and_not1_b32 s94, s94, exec_lo
	s_and_b32 s30, s95, exec_lo
	s_or_b32 s95, vcc_lo, vcc_hi
	s_or_b32 s94, s94, s30
.LBB14_6960:
	s_or_b32 exec_lo, exec_lo, s93
	s_delay_alu instid0(SALU_CYCLE_1)
	s_and_not1_b32 s91, s91, exec_lo
	s_and_b32 s93, s95, exec_lo
	s_and_not1_b32 s0, s0, exec_lo
	s_and_b32 s94, s94, exec_lo
	s_or_b32 s91, s91, s93
	s_or_b32 s0, s0, s94
.LBB14_6961:
	s_or_b32 exec_lo, exec_lo, s92
	s_delay_alu instid0(SALU_CYCLE_1)
	s_and_not1_b32 s92, s78, exec_lo
	s_and_b32 s91, s91, exec_lo
	s_and_b32 s0, s0, exec_lo
	s_or_b32 s91, s92, s91
                                        ; implicit-def: $vgpr7
                                        ; implicit-def: $vgpr22
                                        ; implicit-def: $vgpr8_vgpr9
.LBB14_6962:
	s_and_not1_saveexec_b32 s88, s88
	s_cbranch_execz .LBB14_7004
; %bb.6963:
	s_mov_b32 s92, exec_lo
	v_cmpx_lt_i16_e32 4, v7
	s_xor_b32 s92, exec_lo, s92
	s_cbranch_execz .LBB14_6985
; %bb.6964:
	s_mov_b32 s93, exec_lo
	v_cmpx_lt_i16_e32 7, v7
	s_xor_b32 s93, exec_lo, s93
	;; [unrolled: 5-line block ×4, first 2 shown]
	s_cbranch_execz .LBB14_6968
; %bb.6967:
	v_cvt_f64_f32_e32 v[22:23], v22
	v_mov_b32_e32 v24, 0
	s_delay_alu instid0(VALU_DEP_1)
	v_mov_b32_e32 v25, v24
	flat_store_b128 v[8:9], v[22:25]
                                        ; implicit-def: $vgpr22
                                        ; implicit-def: $vgpr8_vgpr9
.LBB14_6968:
	s_wait_xcnt 0x0
	s_and_not1_saveexec_b32 s95, s95
	s_cbranch_execz .LBB14_6970
; %bb.6969:
	v_mov_b32_e32 v23, 0
	flat_store_b64 v[8:9], v[22:23]
.LBB14_6970:
	s_wait_xcnt 0x0
	s_or_b32 exec_lo, exec_lo, s95
                                        ; implicit-def: $vgpr22
                                        ; implicit-def: $vgpr8_vgpr9
.LBB14_6971:
	s_and_not1_saveexec_b32 s94, s94
	s_cbranch_execz .LBB14_6973
; %bb.6972:
	v_cvt_f16_f32_e32 v7, v22
	s_delay_alu instid0(VALU_DEP_1)
	v_and_b32_e32 v7, 0xffff, v7
	flat_store_b32 v[8:9], v7
.LBB14_6973:
	s_wait_xcnt 0x0
	s_or_b32 exec_lo, exec_lo, s94
                                        ; implicit-def: $vgpr22
                                        ; implicit-def: $vgpr8_vgpr9
                                        ; implicit-def: $vgpr7
.LBB14_6974:
	s_and_not1_saveexec_b32 s93, s93
	s_cbranch_execz .LBB14_6984
; %bb.6975:
	s_mov_b32 s94, exec_lo
	v_cmpx_lt_i16_e32 5, v7
	s_xor_b32 s94, exec_lo, s94
	s_cbranch_execz .LBB14_6981
; %bb.6976:
	s_mov_b32 s95, exec_lo
	v_cmpx_lt_i16_e32 6, v7
	s_xor_b32 s95, exec_lo, s95
	s_cbranch_execz .LBB14_6978
; %bb.6977:
	v_cvt_f64_f32_e32 v[22:23], v22
	flat_store_b64 v[8:9], v[22:23]
                                        ; implicit-def: $vgpr8_vgpr9
                                        ; implicit-def: $vgpr22
.LBB14_6978:
	s_wait_xcnt 0x0
	s_and_not1_saveexec_b32 s95, s95
	s_cbranch_execz .LBB14_6980
; %bb.6979:
	flat_store_b32 v[8:9], v22
.LBB14_6980:
	s_wait_xcnt 0x0
	s_or_b32 exec_lo, exec_lo, s95
                                        ; implicit-def: $vgpr22
                                        ; implicit-def: $vgpr8_vgpr9
.LBB14_6981:
	s_and_not1_saveexec_b32 s94, s94
	s_cbranch_execz .LBB14_6983
; %bb.6982:
	v_cvt_f16_f32_e32 v7, v22
	flat_store_b16 v[8:9], v7
.LBB14_6983:
	s_wait_xcnt 0x0
	s_or_b32 exec_lo, exec_lo, s94
.LBB14_6984:
	s_delay_alu instid0(SALU_CYCLE_1)
	s_or_b32 exec_lo, exec_lo, s93
                                        ; implicit-def: $vgpr7
                                        ; implicit-def: $vgpr22
                                        ; implicit-def: $vgpr8_vgpr9
.LBB14_6985:
	s_and_not1_saveexec_b32 s92, s92
	s_cbranch_execz .LBB14_7003
; %bb.6986:
	s_mov_b32 s93, exec_lo
	v_cmpx_lt_i16_e32 1, v7
	s_xor_b32 s93, exec_lo, s93
	s_cbranch_execz .LBB14_6996
; %bb.6987:
	s_mov_b32 s94, exec_lo
	v_cmpx_lt_i16_e32 2, v7
	s_xor_b32 s94, exec_lo, s94
	;; [unrolled: 5-line block ×3, first 2 shown]
	s_cbranch_execz .LBB14_6990
; %bb.6989:
	v_trunc_f32_e32 v7, v22
	s_delay_alu instid0(VALU_DEP_1) | instskip(SKIP_1) | instid1(VALU_DEP_2)
	v_mul_f32_e64 v10, 0x2f800000, |v7|
	v_ashrrev_i32_e32 v22, 31, v7
	v_floor_f32_e32 v10, v10
	s_delay_alu instid0(VALU_DEP_1) | instskip(SKIP_1) | instid1(VALU_DEP_2)
	v_fma_f32 v23, 0xcf800000, v10, |v7|
	v_cvt_u32_f32_e32 v7, v10
	v_cvt_u32_f32_e32 v10, v23
	s_delay_alu instid0(VALU_DEP_2) | instskip(NEXT) | instid1(VALU_DEP_2)
	v_dual_mov_b32 v23, v22 :: v_dual_bitop2_b32 v25, v7, v22 bitop3:0x14
	v_xor_b32_e32 v24, v10, v22
	s_delay_alu instid0(VALU_DEP_1)
	v_sub_nc_u64_e32 v[22:23], v[24:25], v[22:23]
	flat_store_b64 v[8:9], v[22:23]
                                        ; implicit-def: $vgpr22
                                        ; implicit-def: $vgpr8_vgpr9
.LBB14_6990:
	s_wait_xcnt 0x0
	s_and_not1_saveexec_b32 s95, s95
	s_cbranch_execz .LBB14_6992
; %bb.6991:
	v_cvt_i32_f32_e32 v7, v22
	flat_store_b32 v[8:9], v7
.LBB14_6992:
	s_wait_xcnt 0x0
	s_or_b32 exec_lo, exec_lo, s95
                                        ; implicit-def: $vgpr22
                                        ; implicit-def: $vgpr8_vgpr9
.LBB14_6993:
	s_and_not1_saveexec_b32 s94, s94
	s_cbranch_execz .LBB14_6995
; %bb.6994:
	v_cvt_i32_f32_e32 v7, v22
	flat_store_b16 v[8:9], v7
.LBB14_6995:
	s_wait_xcnt 0x0
	s_or_b32 exec_lo, exec_lo, s94
                                        ; implicit-def: $vgpr22
                                        ; implicit-def: $vgpr8_vgpr9
                                        ; implicit-def: $vgpr7
.LBB14_6996:
	s_and_not1_saveexec_b32 s93, s93
	s_cbranch_execz .LBB14_7002
; %bb.6997:
	s_mov_b32 s94, exec_lo
	v_cmpx_lt_i16_e32 0, v7
	s_xor_b32 s94, exec_lo, s94
	s_cbranch_execz .LBB14_6999
; %bb.6998:
	v_cvt_i32_f32_e32 v7, v22
                                        ; implicit-def: $vgpr22
	flat_store_b8 v[8:9], v7
                                        ; implicit-def: $vgpr8_vgpr9
.LBB14_6999:
	s_wait_xcnt 0x0
	s_and_not1_saveexec_b32 s94, s94
	s_cbranch_execz .LBB14_7001
; %bb.7000:
	v_trunc_f32_e32 v7, v22
	s_delay_alu instid0(VALU_DEP_1) | instskip(NEXT) | instid1(VALU_DEP_1)
	v_mul_f32_e64 v10, 0x2f800000, |v7|
	v_floor_f32_e32 v10, v10
	s_delay_alu instid0(VALU_DEP_1) | instskip(SKIP_1) | instid1(VALU_DEP_2)
	v_fma_f32 v10, 0xcf800000, v10, |v7|
	v_ashrrev_i32_e32 v7, 31, v7
	v_cvt_u32_f32_e32 v10, v10
	s_delay_alu instid0(VALU_DEP_1) | instskip(NEXT) | instid1(VALU_DEP_1)
	v_xor_b32_e32 v10, v10, v7
	v_sub_nc_u32_e32 v7, v10, v7
	flat_store_b8 v[8:9], v7
.LBB14_7001:
	s_wait_xcnt 0x0
	s_or_b32 exec_lo, exec_lo, s94
.LBB14_7002:
	s_delay_alu instid0(SALU_CYCLE_1)
	s_or_b32 exec_lo, exec_lo, s93
.LBB14_7003:
	s_delay_alu instid0(SALU_CYCLE_1) | instskip(NEXT) | instid1(SALU_CYCLE_1)
	s_or_b32 exec_lo, exec_lo, s92
	s_or_b32 s0, s0, exec_lo
.LBB14_7004:
	s_or_b32 exec_lo, exec_lo, s88
	s_mov_b32 s92, 0
	s_mov_b32 s88, 0
	s_and_saveexec_b32 s93, s0
; %bb.7005:
	v_add_nc_u32_e32 v13, 0x200, v13
	s_mov_b32 s92, exec_lo
	s_delay_alu instid0(VALU_DEP_1)
	v_cmp_lt_i32_e32 vcc_lo, v13, v6
	s_and_b32 s88, vcc_lo, exec_lo
; %bb.7006:
	s_or_b32 exec_lo, exec_lo, s93
	s_delay_alu instid0(SALU_CYCLE_1)
	s_and_not1_b32 s93, s78, exec_lo
	s_and_b32 s91, s91, exec_lo
	s_and_b32 s0, s88, exec_lo
	s_or_b32 s88, s93, s91
	s_or_not1_b32 s92, s92, exec_lo
.LBB14_7007:
	s_or_b32 exec_lo, exec_lo, s89
	s_mov_b32 s91, 0
	s_mov_b32 s93, 0
                                        ; implicit-def: $vgpr8
                                        ; implicit-def: $vgpr7
                                        ; implicit-def: $vgpr38_vgpr39
	s_and_saveexec_b32 s89, s92
	s_cbranch_execz .LBB14_7739
; %bb.7008:
	s_mov_b32 s94, -1
	s_mov_b32 s92, 0
	s_mov_b32 s90, s88
	;; [unrolled: 1-line block ×3, first 2 shown]
	s_and_saveexec_b32 s91, s0
	s_cbranch_execz .LBB14_7136
; %bb.7009:
	v_dual_add_nc_u32 v7, s2, v13 :: v_dual_mov_b32 v9, 0
	s_wait_loadcnt 0x2
	v_mul_f32_e32 v10, v18, v19
	v_cmp_lt_f32_e32 vcc_lo, 0, v19
	s_mov_b32 s0, 0
	v_mul_lo_u32 v8, v7, v12
	v_and_b32_e32 v7, 0xff, v11
	s_mov_b32 s93, s88
	v_cndmask_b32_e32 v18, v10, v19, vcc_lo
	s_mov_b32 s90, exec_lo
	s_delay_alu instid0(VALU_DEP_3)
	v_add_nc_u64_e32 v[8:9], v[0:1], v[8:9]
	v_cmpx_lt_i16_e32 10, v7
	s_xor_b32 s90, exec_lo, s90
	s_cbranch_execz .LBB14_7091
; %bb.7010:
	s_mov_b32 s93, s88
	s_mov_b32 s94, exec_lo
	v_cmpx_lt_i16_e32 25, v7
	s_xor_b32 s94, exec_lo, s94
	s_cbranch_execz .LBB14_7046
; %bb.7011:
	s_mov_b32 s95, s88
	s_mov_b32 s93, exec_lo
	;; [unrolled: 6-line block ×3, first 2 shown]
	v_cmpx_lt_i16_e32 43, v7
	s_xor_b32 s95, exec_lo, s95
	s_cbranch_execz .LBB14_7024
; %bb.7013:
	s_mov_b32 vcc_hi, 0
	s_mov_b32 s30, s88
	s_mov_b32 s0, exec_lo
	v_cmpx_lt_i16_e32 45, v7
	s_xor_b32 s0, exec_lo, s0
	s_cbranch_execz .LBB14_7017
; %bb.7014:
	s_mov_b32 s31, -1
	s_mov_b32 s30, exec_lo
	v_cmpx_eq_u16_e32 46, v7
	s_cbranch_execz .LBB14_7016
; %bb.7015:
	v_bfe_u32 v7, v18, 16, 1
	v_cmp_o_f32_e32 vcc_lo, v18, v18
	s_mov_b32 vcc_hi, exec_lo
	s_xor_b32 s31, exec_lo, -1
	s_delay_alu instid0(VALU_DEP_2) | instskip(NEXT) | instid1(VALU_DEP_1)
	v_add3_u32 v7, v18, v7, 0x7fff
	v_lshrrev_b32_e32 v7, 16, v7
	s_delay_alu instid0(VALU_DEP_1)
	v_cndmask_b32_e32 v7, 0x7fc0, v7, vcc_lo
	flat_store_b32 v[8:9], v7
.LBB14_7016:
	s_wait_xcnt 0x0
	s_or_b32 exec_lo, exec_lo, s30
	s_delay_alu instid0(SALU_CYCLE_1)
	s_and_not1_b32 vcc_lo, s88, exec_lo
	s_and_b32 s30, s31, exec_lo
	s_and_b32 vcc_hi, vcc_hi, exec_lo
	s_or_b32 s30, vcc_lo, s30
                                        ; implicit-def: $vgpr7
                                        ; implicit-def: $vgpr8_vgpr9
                                        ; implicit-def: $vgpr18
.LBB14_7017:
	s_and_not1_saveexec_b32 s31, s0
	s_cbranch_execz .LBB14_7023
; %bb.7018:
	s_mov_b32 s35, -1
	s_mov_b32 s0, vcc_hi
	s_mov_b32 s34, exec_lo
	v_cmpx_eq_u16_e32 44, v7
	s_cbranch_execz .LBB14_7022
; %bb.7019:
	v_bfe_u32 v10, v18, 23, 8
	v_mov_b32_e32 v7, 0xff
	s_mov_b32 s35, exec_lo
	s_delay_alu instid0(VALU_DEP_2)
	v_cmpx_ne_u32_e32 0xff, v10
	s_cbranch_execz .LBB14_7021
; %bb.7020:
	v_and_b32_e32 v7, 0x400000, v18
	v_and_or_b32 v10, 0x3fffff, v18, v10
	s_delay_alu instid0(VALU_DEP_2) | instskip(NEXT) | instid1(VALU_DEP_2)
	v_cmp_ne_u32_e32 vcc_lo, 0, v7
	v_cmp_ne_u32_e64 s0, 0, v10
	v_lshrrev_b32_e32 v7, 23, v18
	s_and_b32 s0, vcc_lo, s0
	s_delay_alu instid0(SALU_CYCLE_1) | instskip(NEXT) | instid1(VALU_DEP_1)
	v_cndmask_b32_e64 v10, 0, 1, s0
	v_add_nc_u32_e32 v7, v7, v10
.LBB14_7021:
	s_or_b32 exec_lo, exec_lo, s35
	s_delay_alu instid0(SALU_CYCLE_1)
	s_xor_b32 s35, exec_lo, -1
	s_or_b32 s0, vcc_hi, exec_lo
	flat_store_b8 v[8:9], v7
.LBB14_7022:
	s_wait_xcnt 0x0
	s_or_b32 exec_lo, exec_lo, s34
	s_delay_alu instid0(SALU_CYCLE_1)
	s_and_not1_b32 vcc_lo, s30, exec_lo
	s_and_b32 s30, s35, exec_lo
	s_and_not1_b32 vcc_hi, vcc_hi, exec_lo
	s_and_b32 s0, s0, exec_lo
	s_or_b32 s30, vcc_lo, s30
	s_or_b32 vcc_hi, vcc_hi, s0
.LBB14_7023:
	s_or_b32 exec_lo, exec_lo, s31
	s_delay_alu instid0(SALU_CYCLE_1) | instskip(SKIP_1) | instid1(SALU_CYCLE_1)
	s_and_not1_b32 s0, s88, exec_lo
	s_and_b32 vcc_lo, s30, exec_lo
                                        ; implicit-def: $vgpr7
                                        ; implicit-def: $vgpr18
                                        ; implicit-def: $vgpr8_vgpr9
	s_or_b32 s30, s0, vcc_lo
	s_and_b32 s0, vcc_hi, exec_lo
.LBB14_7024:
	s_and_not1_saveexec_b32 s95, s95
	s_cbranch_execz .LBB14_7028
; %bb.7025:
	s_mov_b32 s34, -1
	s_mov_b32 s31, s0
	s_mov_b32 vcc_hi, exec_lo
	v_cmpx_eq_u16_e32 29, v7
	s_cbranch_execz .LBB14_7027
; %bb.7026:
	v_trunc_f32_e32 v7, v18
	s_xor_b32 s34, exec_lo, -1
	s_or_b32 s31, s0, exec_lo
	s_delay_alu instid0(VALU_DEP_1) | instskip(NEXT) | instid1(VALU_DEP_1)
	v_mul_f32_e32 v10, 0x2f800000, v7
	v_floor_f32_e32 v10, v10
	s_delay_alu instid0(VALU_DEP_1) | instskip(SKIP_1) | instid1(VALU_DEP_2)
	v_fmamk_f32 v7, v10, 0xcf800000, v7
	v_cvt_u32_f32_e32 v19, v10
	v_cvt_u32_f32_e32 v18, v7
	flat_store_b64 v[8:9], v[18:19]
.LBB14_7027:
	s_wait_xcnt 0x0
	s_or_b32 exec_lo, exec_lo, vcc_hi
	s_delay_alu instid0(SALU_CYCLE_1)
	s_and_not1_b32 vcc_lo, s30, exec_lo
	s_and_b32 vcc_hi, s34, exec_lo
	s_and_not1_b32 s0, s0, exec_lo
	s_and_b32 s31, s31, exec_lo
	s_or_b32 s30, vcc_lo, vcc_hi
	s_or_b32 s0, s0, s31
.LBB14_7028:
	s_or_b32 exec_lo, exec_lo, s95
	s_delay_alu instid0(SALU_CYCLE_1)
	s_and_not1_b32 s95, s88, exec_lo
	s_and_b32 vcc_lo, s30, exec_lo
	s_and_b32 s0, s0, exec_lo
	s_or_b32 s95, s95, vcc_lo
                                        ; implicit-def: $vgpr8_vgpr9
                                        ; implicit-def: $vgpr7
                                        ; implicit-def: $vgpr18
.LBB14_7029:
	s_and_not1_saveexec_b32 s93, s93
	s_cbranch_execz .LBB14_7045
; %bb.7030:
	s_mov_b32 vcc_hi, exec_lo
	v_cmpx_lt_i16_e32 26, v7
	s_xor_b32 vcc_hi, exec_lo, vcc_hi
	s_cbranch_execz .LBB14_7036
; %bb.7031:
	v_cmp_lt_i16_e32 vcc_lo, 27, v7
	v_cvt_u32_f32_e32 v7, v18
	s_and_saveexec_b32 s30, vcc_lo
	s_delay_alu instid0(SALU_CYCLE_1)
	s_xor_b32 vcc_lo, exec_lo, s30
	s_cbranch_execz .LBB14_7033
; %bb.7032:
	flat_store_b32 v[8:9], v7
                                        ; implicit-def: $vgpr8_vgpr9
                                        ; implicit-def: $vgpr7
.LBB14_7033:
	s_wait_xcnt 0x0
	s_and_not1_saveexec_b32 vcc_lo, vcc_lo
	s_cbranch_execz .LBB14_7035
; %bb.7034:
	flat_store_b16 v[8:9], v7
.LBB14_7035:
	s_wait_xcnt 0x0
	s_or_b32 exec_lo, exec_lo, vcc_lo
                                        ; implicit-def: $vgpr8_vgpr9
                                        ; implicit-def: $vgpr18
.LBB14_7036:
	s_and_not1_saveexec_b32 vcc_hi, vcc_hi
	s_cbranch_execz .LBB14_7044
; %bb.7037:
	v_and_b32_e32 v7, 0x7fffffff, v18
	v_mov_b32_e32 v10, 0x80
	s_mov_b32 s30, exec_lo
	s_delay_alu instid0(VALU_DEP_2)
	v_cmpx_gt_u32_e32 0x43800000, v7
	s_cbranch_execz .LBB14_7043
; %bb.7038:
	v_cmp_lt_u32_e32 vcc_lo, 0x3bffffff, v7
	s_mov_b32 s31, 0
                                        ; implicit-def: $vgpr7
	s_and_saveexec_b32 s34, vcc_lo
	s_delay_alu instid0(SALU_CYCLE_1)
	s_xor_b32 vcc_lo, exec_lo, s34
	s_cbranch_execnz .LBB14_7919
; %bb.7039:
	s_and_not1_saveexec_b32 s34, vcc_lo
	s_cbranch_execnz .LBB14_7920
.LBB14_7040:
	s_or_b32 exec_lo, exec_lo, s34
	v_mov_b32_e32 v10, 0
	s_and_saveexec_b32 vcc_lo, s31
.LBB14_7041:
	v_lshrrev_b32_e32 v10, 24, v18
	s_delay_alu instid0(VALU_DEP_1)
	v_and_or_b32 v10, 0x80, v10, v7
.LBB14_7042:
	s_or_b32 exec_lo, exec_lo, vcc_lo
.LBB14_7043:
	s_delay_alu instid0(SALU_CYCLE_1)
	s_or_b32 exec_lo, exec_lo, s30
	flat_store_b8 v[8:9], v10
.LBB14_7044:
	s_wait_xcnt 0x0
	s_or_b32 exec_lo, exec_lo, vcc_hi
	s_delay_alu instid0(SALU_CYCLE_1)
	s_or_b32 s0, s0, exec_lo
.LBB14_7045:
	s_or_b32 exec_lo, exec_lo, s93
	s_delay_alu instid0(SALU_CYCLE_1)
	s_and_not1_b32 s93, s88, exec_lo
	s_and_b32 s95, s95, exec_lo
	s_and_b32 s0, s0, exec_lo
	s_or_b32 s93, s93, s95
                                        ; implicit-def: $vgpr7
                                        ; implicit-def: $vgpr18
                                        ; implicit-def: $vgpr8_vgpr9
.LBB14_7046:
	s_and_not1_saveexec_b32 s94, s94
	s_cbranch_execz .LBB14_7090
; %bb.7047:
	s_mov_b32 vcc_hi, s0
	s_mov_b32 s95, exec_lo
	v_cmpx_lt_i16_e32 22, v7
	s_xor_b32 s95, exec_lo, s95
	s_cbranch_execz .LBB14_7079
; %bb.7048:
	s_mov_b32 vcc_hi, exec_lo
	v_cmpx_lt_i16_e32 23, v7
	s_xor_b32 vcc_hi, exec_lo, vcc_hi
	s_cbranch_execz .LBB14_7068
; %bb.7049:
	s_mov_b32 s30, exec_lo
	v_cmpx_lt_i16_e32 24, v7
	s_xor_b32 s30, exec_lo, s30
	s_cbranch_execz .LBB14_7057
; %bb.7050:
	v_and_b32_e32 v7, 0x7fffffff, v18
	v_mov_b32_e32 v10, 0x80
	s_mov_b32 s31, exec_lo
	s_delay_alu instid0(VALU_DEP_2)
	v_cmpx_gt_u32_e32 0x47800000, v7
	s_cbranch_execz .LBB14_7056
; %bb.7051:
	v_cmp_lt_u32_e32 vcc_lo, 0x37ffffff, v7
	s_mov_b32 s34, 0
                                        ; implicit-def: $vgpr7
	s_and_saveexec_b32 s35, vcc_lo
	s_delay_alu instid0(SALU_CYCLE_1)
	s_xor_b32 vcc_lo, exec_lo, s35
	s_cbranch_execnz .LBB14_7921
; %bb.7052:
	s_and_not1_saveexec_b32 s35, vcc_lo
	s_cbranch_execnz .LBB14_7922
.LBB14_7053:
	s_or_b32 exec_lo, exec_lo, s35
	v_mov_b32_e32 v10, 0
	s_and_saveexec_b32 vcc_lo, s34
.LBB14_7054:
	v_lshrrev_b32_e32 v10, 24, v18
	s_delay_alu instid0(VALU_DEP_1)
	v_and_or_b32 v10, 0x80, v10, v7
.LBB14_7055:
	s_or_b32 exec_lo, exec_lo, vcc_lo
.LBB14_7056:
	s_delay_alu instid0(SALU_CYCLE_1)
	s_or_b32 exec_lo, exec_lo, s31
	flat_store_b8 v[8:9], v10
                                        ; implicit-def: $vgpr18
                                        ; implicit-def: $vgpr8_vgpr9
.LBB14_7057:
	s_wait_xcnt 0x0
	s_and_not1_saveexec_b32 s30, s30
	s_cbranch_execz .LBB14_7067
; %bb.7058:
	v_and_b32_e32 v10, 0x7fffffff, v18
	s_mov_b32 s31, exec_lo
                                        ; implicit-def: $vgpr7
	s_delay_alu instid0(VALU_DEP_1)
	v_cmpx_gt_u32_e32 0x43f00000, v10
	s_xor_b32 s31, exec_lo, s31
	s_cbranch_execz .LBB14_7064
; %bb.7059:
	s_mov_b32 s34, exec_lo
                                        ; implicit-def: $vgpr7
	v_cmpx_lt_u32_e32 0x3c7fffff, v10
	s_xor_b32 s34, exec_lo, s34
; %bb.7060:
	v_bfe_u32 v7, v18, 20, 1
	s_delay_alu instid0(VALU_DEP_1) | instskip(NEXT) | instid1(VALU_DEP_1)
	v_add3_u32 v7, v18, v7, 0x407ffff
	v_and_b32_e32 v10, 0xff00000, v7
	v_lshrrev_b32_e32 v7, 20, v7
	s_delay_alu instid0(VALU_DEP_2) | instskip(NEXT) | instid1(VALU_DEP_2)
	v_cmp_ne_u32_e32 vcc_lo, 0x7f00000, v10
	v_cndmask_b32_e32 v7, 0x7e, v7, vcc_lo
; %bb.7061:
	s_and_not1_saveexec_b32 vcc_lo, s34
; %bb.7062:
	v_add_f32_e64 v7, 0x46800000, |v18|
; %bb.7063:
	s_or_b32 exec_lo, exec_lo, vcc_lo
                                        ; implicit-def: $vgpr10
.LBB14_7064:
	s_and_not1_saveexec_b32 s31, s31
; %bb.7065:
	v_mov_b32_e32 v7, 0x7f
	v_cmp_lt_u32_e32 vcc_lo, 0x7f800000, v10
	s_delay_alu instid0(VALU_DEP_2)
	v_cndmask_b32_e32 v7, 0x7e, v7, vcc_lo
; %bb.7066:
	s_or_b32 exec_lo, exec_lo, s31
	v_lshrrev_b32_e32 v10, 24, v18
	s_delay_alu instid0(VALU_DEP_1)
	v_and_or_b32 v7, 0x80, v10, v7
	flat_store_b8 v[8:9], v7
.LBB14_7067:
	s_wait_xcnt 0x0
	s_or_b32 exec_lo, exec_lo, s30
                                        ; implicit-def: $vgpr18
                                        ; implicit-def: $vgpr8_vgpr9
.LBB14_7068:
	s_and_not1_saveexec_b32 vcc_hi, vcc_hi
	s_cbranch_execz .LBB14_7078
; %bb.7069:
	v_and_b32_e32 v10, 0x7fffffff, v18
	s_mov_b32 s30, exec_lo
                                        ; implicit-def: $vgpr7
	s_delay_alu instid0(VALU_DEP_1)
	v_cmpx_gt_u32_e32 0x47800000, v10
	s_xor_b32 s30, exec_lo, s30
	s_cbranch_execz .LBB14_7075
; %bb.7070:
	v_cmp_lt_u32_e32 vcc_lo, 0x387fffff, v10
                                        ; implicit-def: $vgpr7
	s_and_saveexec_b32 s31, vcc_lo
	s_delay_alu instid0(SALU_CYCLE_1)
	s_xor_b32 vcc_lo, exec_lo, s31
; %bb.7071:
	v_bfe_u32 v7, v18, 21, 1
	s_delay_alu instid0(VALU_DEP_1) | instskip(NEXT) | instid1(VALU_DEP_1)
	v_add3_u32 v7, v18, v7, 0x80fffff
	v_lshrrev_b32_e32 v7, 21, v7
; %bb.7072:
	s_and_not1_saveexec_b32 vcc_lo, vcc_lo
; %bb.7073:
	v_add_f32_e64 v7, 0x43000000, |v18|
; %bb.7074:
	s_or_b32 exec_lo, exec_lo, vcc_lo
                                        ; implicit-def: $vgpr10
.LBB14_7075:
	s_and_not1_saveexec_b32 s30, s30
; %bb.7076:
	v_mov_b32_e32 v7, 0x7f
	v_cmp_lt_u32_e32 vcc_lo, 0x7f800000, v10
	s_delay_alu instid0(VALU_DEP_2)
	v_cndmask_b32_e32 v7, 0x7c, v7, vcc_lo
; %bb.7077:
	s_or_b32 exec_lo, exec_lo, s30
	v_lshrrev_b32_e32 v10, 24, v18
	s_delay_alu instid0(VALU_DEP_1)
	v_and_or_b32 v7, 0x80, v10, v7
	flat_store_b8 v[8:9], v7
.LBB14_7078:
	s_wait_xcnt 0x0
	s_or_b32 exec_lo, exec_lo, vcc_hi
	s_delay_alu instid0(SALU_CYCLE_1)
	s_or_b32 vcc_hi, s0, exec_lo
                                        ; implicit-def: $vgpr7
                                        ; implicit-def: $vgpr18
                                        ; implicit-def: $vgpr8_vgpr9
.LBB14_7079:
	s_or_saveexec_b32 s95, s95
	s_mov_b32 vcc_lo, s93
	s_xor_b32 exec_lo, exec_lo, s95
	s_cbranch_execz .LBB14_7089
; %bb.7080:
	s_mov_b32 s30, vcc_hi
	s_mov_b32 s31, s93
	s_mov_b32 s34, exec_lo
	v_cmpx_lt_i16_e32 14, v7
	s_xor_b32 s34, exec_lo, s34
	s_cbranch_execz .LBB14_7084
; %bb.7081:
	s_mov_b32 s35, -1
	s_mov_b32 s30, vcc_hi
	s_mov_b32 s31, exec_lo
	v_cmpx_eq_u16_e32 15, v7
	s_cbranch_execz .LBB14_7083
; %bb.7082:
	v_bfe_u32 v7, v18, 16, 1
	v_cmp_o_f32_e32 vcc_lo, v18, v18
	s_xor_b32 s35, exec_lo, -1
	s_or_b32 s30, vcc_hi, exec_lo
	s_delay_alu instid0(VALU_DEP_2) | instskip(NEXT) | instid1(VALU_DEP_1)
	v_add3_u32 v7, v18, v7, 0x7fff
	v_lshrrev_b32_e32 v7, 16, v7
	s_delay_alu instid0(VALU_DEP_1)
	v_cndmask_b32_e32 v7, 0x7fc0, v7, vcc_lo
	flat_store_b16 v[8:9], v7
.LBB14_7083:
	s_wait_xcnt 0x0
	s_or_b32 exec_lo, exec_lo, s31
	s_delay_alu instid0(SALU_CYCLE_1)
	s_and_not1_b32 vcc_lo, s93, exec_lo
	s_and_b32 s31, s35, exec_lo
	s_and_not1_b32 s35, vcc_hi, exec_lo
	s_and_b32 s30, s30, exec_lo
	s_or_b32 s31, vcc_lo, s31
	s_or_b32 s30, s35, s30
                                        ; implicit-def: $vgpr7
                                        ; implicit-def: $vgpr18
                                        ; implicit-def: $vgpr8_vgpr9
.LBB14_7084:
	s_and_not1_saveexec_b32 s34, s34
	s_cbranch_execz .LBB14_7088
; %bb.7085:
	s_mov_b32 s36, -1
	s_mov_b32 s35, s30
	s_mov_b32 s37, exec_lo
	v_cmpx_eq_u16_e32 11, v7
	s_cbranch_execz .LBB14_7087
; %bb.7086:
	v_cmp_neq_f32_e32 vcc_lo, 0, v18
	s_xor_b32 s36, exec_lo, -1
	s_or_b32 s35, s30, exec_lo
	v_cndmask_b32_e64 v7, 0, 1, vcc_lo
	flat_store_b8 v[8:9], v7
.LBB14_7087:
	s_wait_xcnt 0x0
	s_or_b32 exec_lo, exec_lo, s37
	s_delay_alu instid0(SALU_CYCLE_1)
	s_and_not1_b32 vcc_lo, s31, exec_lo
	s_and_b32 s31, s36, exec_lo
	s_and_not1_b32 s30, s30, exec_lo
	s_and_b32 s35, s35, exec_lo
	s_or_b32 s31, vcc_lo, s31
	s_or_b32 s30, s30, s35
.LBB14_7088:
	s_or_b32 exec_lo, exec_lo, s34
	s_delay_alu instid0(SALU_CYCLE_1)
	s_and_not1_b32 vcc_lo, s93, exec_lo
	s_and_b32 s31, s31, exec_lo
	s_and_not1_b32 vcc_hi, vcc_hi, exec_lo
	s_and_b32 s30, s30, exec_lo
	s_or_b32 vcc_lo, vcc_lo, s31
	s_or_b32 vcc_hi, vcc_hi, s30
.LBB14_7089:
	s_or_b32 exec_lo, exec_lo, s95
	s_delay_alu instid0(SALU_CYCLE_1)
	s_and_not1_b32 s93, s93, exec_lo
	s_and_b32 s95, vcc_lo, exec_lo
	s_and_not1_b32 s0, s0, exec_lo
	s_and_b32 vcc_lo, vcc_hi, exec_lo
	s_or_b32 s93, s93, s95
	s_or_b32 s0, s0, vcc_lo
.LBB14_7090:
	s_or_b32 exec_lo, exec_lo, s94
	s_delay_alu instid0(SALU_CYCLE_1)
	s_and_not1_b32 s94, s88, exec_lo
	s_and_b32 s93, s93, exec_lo
	s_and_b32 s0, s0, exec_lo
	s_or_b32 s93, s94, s93
                                        ; implicit-def: $vgpr7
                                        ; implicit-def: $vgpr18
                                        ; implicit-def: $vgpr8_vgpr9
.LBB14_7091:
	s_and_not1_saveexec_b32 s90, s90
	s_cbranch_execz .LBB14_7133
; %bb.7092:
	s_mov_b32 s94, exec_lo
	v_cmpx_lt_i16_e32 4, v7
	s_xor_b32 s94, exec_lo, s94
	s_cbranch_execz .LBB14_7114
; %bb.7093:
	s_mov_b32 s95, exec_lo
	v_cmpx_lt_i16_e32 7, v7
	s_xor_b32 s95, exec_lo, s95
	s_cbranch_execz .LBB14_7103
; %bb.7094:
	s_mov_b32 vcc_hi, exec_lo
	v_cmpx_lt_i16_e32 8, v7
	s_xor_b32 vcc_hi, exec_lo, vcc_hi
	s_cbranch_execz .LBB14_7100
; %bb.7095:
	v_cmp_lt_i16_e32 vcc_lo, 9, v7
	s_and_saveexec_b32 s30, vcc_lo
	s_delay_alu instid0(SALU_CYCLE_1)
	s_xor_b32 vcc_lo, exec_lo, s30
	s_cbranch_execz .LBB14_7097
; %bb.7096:
	v_cvt_f64_f32_e32 v[22:23], v18
	v_mov_b32_e32 v24, 0
                                        ; implicit-def: $vgpr18
	s_delay_alu instid0(VALU_DEP_1)
	v_mov_b32_e32 v25, v24
	flat_store_b128 v[8:9], v[22:25]
                                        ; implicit-def: $vgpr8_vgpr9
.LBB14_7097:
	s_wait_xcnt 0x0
	s_and_not1_saveexec_b32 vcc_lo, vcc_lo
	s_cbranch_execz .LBB14_7099
; %bb.7098:
	v_mov_b32_e32 v19, 0
	flat_store_b64 v[8:9], v[18:19]
.LBB14_7099:
	s_wait_xcnt 0x0
	s_or_b32 exec_lo, exec_lo, vcc_lo
                                        ; implicit-def: $vgpr18
                                        ; implicit-def: $vgpr8_vgpr9
.LBB14_7100:
	s_and_not1_saveexec_b32 vcc_lo, vcc_hi
	s_cbranch_execz .LBB14_7102
; %bb.7101:
	v_cvt_f16_f32_e32 v7, v18
	s_delay_alu instid0(VALU_DEP_1)
	v_and_b32_e32 v7, 0xffff, v7
	flat_store_b32 v[8:9], v7
.LBB14_7102:
	s_wait_xcnt 0x0
	s_or_b32 exec_lo, exec_lo, vcc_lo
                                        ; implicit-def: $vgpr18
                                        ; implicit-def: $vgpr8_vgpr9
                                        ; implicit-def: $vgpr7
.LBB14_7103:
	s_and_not1_saveexec_b32 s95, s95
	s_cbranch_execz .LBB14_7113
; %bb.7104:
	s_mov_b32 vcc_hi, exec_lo
	v_cmpx_lt_i16_e32 5, v7
	s_xor_b32 vcc_hi, exec_lo, vcc_hi
	s_cbranch_execz .LBB14_7110
; %bb.7105:
	v_cmp_lt_i16_e32 vcc_lo, 6, v7
	s_and_saveexec_b32 s30, vcc_lo
	s_delay_alu instid0(SALU_CYCLE_1)
	s_xor_b32 vcc_lo, exec_lo, s30
	s_cbranch_execz .LBB14_7107
; %bb.7106:
	v_cvt_f64_f32_e32 v[18:19], v18
	flat_store_b64 v[8:9], v[18:19]
                                        ; implicit-def: $vgpr8_vgpr9
                                        ; implicit-def: $vgpr18
.LBB14_7107:
	s_wait_xcnt 0x0
	s_and_not1_saveexec_b32 vcc_lo, vcc_lo
	s_cbranch_execz .LBB14_7109
; %bb.7108:
	flat_store_b32 v[8:9], v18
.LBB14_7109:
	s_wait_xcnt 0x0
	s_or_b32 exec_lo, exec_lo, vcc_lo
                                        ; implicit-def: $vgpr18
                                        ; implicit-def: $vgpr8_vgpr9
.LBB14_7110:
	s_and_not1_saveexec_b32 vcc_lo, vcc_hi
	s_cbranch_execz .LBB14_7112
; %bb.7111:
	v_cvt_f16_f32_e32 v7, v18
	flat_store_b16 v[8:9], v7
.LBB14_7112:
	s_wait_xcnt 0x0
	s_or_b32 exec_lo, exec_lo, vcc_lo
.LBB14_7113:
	s_delay_alu instid0(SALU_CYCLE_1)
	s_or_b32 exec_lo, exec_lo, s95
                                        ; implicit-def: $vgpr7
                                        ; implicit-def: $vgpr18
                                        ; implicit-def: $vgpr8_vgpr9
.LBB14_7114:
	s_and_not1_saveexec_b32 s94, s94
	s_cbranch_execz .LBB14_7132
; %bb.7115:
	s_mov_b32 s95, exec_lo
	v_cmpx_lt_i16_e32 1, v7
	s_xor_b32 s95, exec_lo, s95
	s_cbranch_execz .LBB14_7125
; %bb.7116:
	s_mov_b32 vcc_hi, exec_lo
	v_cmpx_lt_i16_e32 2, v7
	s_xor_b32 vcc_hi, exec_lo, vcc_hi
	s_cbranch_execz .LBB14_7122
; %bb.7117:
	v_cmp_lt_i16_e32 vcc_lo, 3, v7
	s_and_saveexec_b32 s30, vcc_lo
	s_delay_alu instid0(SALU_CYCLE_1)
	s_xor_b32 vcc_lo, exec_lo, s30
	s_cbranch_execz .LBB14_7119
; %bb.7118:
	v_trunc_f32_e32 v7, v18
	s_delay_alu instid0(VALU_DEP_1) | instskip(SKIP_1) | instid1(VALU_DEP_2)
	v_mul_f32_e64 v10, 0x2f800000, |v7|
	v_ashrrev_i32_e32 v18, 31, v7
	v_floor_f32_e32 v10, v10
	s_delay_alu instid0(VALU_DEP_1) | instskip(SKIP_1) | instid1(VALU_DEP_2)
	v_fma_f32 v19, 0xcf800000, v10, |v7|
	v_cvt_u32_f32_e32 v7, v10
	v_cvt_u32_f32_e32 v10, v19
	s_delay_alu instid0(VALU_DEP_2) | instskip(NEXT) | instid1(VALU_DEP_2)
	v_dual_mov_b32 v19, v18 :: v_dual_bitop2_b32 v23, v7, v18 bitop3:0x14
	v_xor_b32_e32 v22, v10, v18
	s_delay_alu instid0(VALU_DEP_1)
	v_sub_nc_u64_e32 v[18:19], v[22:23], v[18:19]
	flat_store_b64 v[8:9], v[18:19]
                                        ; implicit-def: $vgpr18
                                        ; implicit-def: $vgpr8_vgpr9
.LBB14_7119:
	s_wait_xcnt 0x0
	s_and_not1_saveexec_b32 vcc_lo, vcc_lo
	s_cbranch_execz .LBB14_7121
; %bb.7120:
	v_cvt_i32_f32_e32 v7, v18
	flat_store_b32 v[8:9], v7
.LBB14_7121:
	s_wait_xcnt 0x0
	s_or_b32 exec_lo, exec_lo, vcc_lo
                                        ; implicit-def: $vgpr18
                                        ; implicit-def: $vgpr8_vgpr9
.LBB14_7122:
	s_and_not1_saveexec_b32 vcc_lo, vcc_hi
	s_cbranch_execz .LBB14_7124
; %bb.7123:
	v_cvt_i32_f32_e32 v7, v18
	flat_store_b16 v[8:9], v7
.LBB14_7124:
	s_wait_xcnt 0x0
	s_or_b32 exec_lo, exec_lo, vcc_lo
                                        ; implicit-def: $vgpr18
                                        ; implicit-def: $vgpr8_vgpr9
                                        ; implicit-def: $vgpr7
.LBB14_7125:
	s_and_not1_saveexec_b32 s95, s95
	s_cbranch_execz .LBB14_7131
; %bb.7126:
	v_cmp_lt_i16_e32 vcc_lo, 0, v7
	s_and_saveexec_b32 vcc_hi, vcc_lo
	s_delay_alu instid0(SALU_CYCLE_1)
	s_xor_b32 vcc_lo, exec_lo, vcc_hi
	s_cbranch_execz .LBB14_7128
; %bb.7127:
	v_cvt_i32_f32_e32 v7, v18
                                        ; implicit-def: $vgpr18
	flat_store_b8 v[8:9], v7
                                        ; implicit-def: $vgpr8_vgpr9
.LBB14_7128:
	s_wait_xcnt 0x0
	s_and_not1_saveexec_b32 vcc_lo, vcc_lo
	s_cbranch_execz .LBB14_7130
; %bb.7129:
	v_trunc_f32_e32 v7, v18
	s_delay_alu instid0(VALU_DEP_1) | instskip(NEXT) | instid1(VALU_DEP_1)
	v_mul_f32_e64 v10, 0x2f800000, |v7|
	v_floor_f32_e32 v10, v10
	s_delay_alu instid0(VALU_DEP_1) | instskip(SKIP_1) | instid1(VALU_DEP_2)
	v_fma_f32 v10, 0xcf800000, v10, |v7|
	v_ashrrev_i32_e32 v7, 31, v7
	v_cvt_u32_f32_e32 v10, v10
	s_delay_alu instid0(VALU_DEP_1) | instskip(NEXT) | instid1(VALU_DEP_1)
	v_xor_b32_e32 v10, v10, v7
	v_sub_nc_u32_e32 v7, v10, v7
	flat_store_b8 v[8:9], v7
.LBB14_7130:
	s_wait_xcnt 0x0
	s_or_b32 exec_lo, exec_lo, vcc_lo
.LBB14_7131:
	s_delay_alu instid0(SALU_CYCLE_1)
	s_or_b32 exec_lo, exec_lo, s95
.LBB14_7132:
	s_delay_alu instid0(SALU_CYCLE_1) | instskip(NEXT) | instid1(SALU_CYCLE_1)
	s_or_b32 exec_lo, exec_lo, s94
	s_or_b32 s0, s0, exec_lo
.LBB14_7133:
	s_or_b32 exec_lo, exec_lo, s90
	s_mov_b32 s94, 0
	s_mov_b32 s90, 0
	s_and_saveexec_b32 s95, s0
; %bb.7134:
	v_add_nc_u32_e32 v13, 0x200, v13
	s_mov_b32 s94, exec_lo
	s_delay_alu instid0(VALU_DEP_1)
	v_cmp_lt_i32_e32 vcc_lo, v13, v6
	s_and_b32 s90, vcc_lo, exec_lo
; %bb.7135:
	s_or_b32 exec_lo, exec_lo, s95
	s_delay_alu instid0(SALU_CYCLE_1)
	s_and_not1_b32 s0, s88, exec_lo
	s_and_b32 s93, s93, exec_lo
	s_and_b32 s95, s90, exec_lo
	s_or_b32 s90, s0, s93
	s_or_not1_b32 s94, s94, exec_lo
.LBB14_7136:
	s_or_b32 exec_lo, exec_lo, s91
	s_mov_b32 s0, 0
	s_mov_b32 s93, 0
                                        ; implicit-def: $vgpr8
                                        ; implicit-def: $vgpr7
                                        ; implicit-def: $vgpr38_vgpr39
	s_and_saveexec_b32 s91, s94
	s_cbranch_execz .LBB14_7738
; %bb.7137:
	s_mov_b32 vcc_hi, -1
	s_mov_b32 s94, 0
	s_mov_b32 s92, s90
	s_and_saveexec_b32 s93, s95
	s_cbranch_execz .LBB14_7265
; %bb.7138:
	v_dual_add_nc_u32 v7, s2, v13 :: v_dual_mov_b32 v9, 0
	s_wait_loadcnt 0x2
	v_mul_f32_e32 v10, v20, v21
	v_cmp_lt_f32_e32 vcc_lo, 0, v21
	s_mov_b32 s95, s90
	v_mul_lo_u32 v8, v7, v12
	v_and_b32_e32 v7, 0xff, v11
	s_mov_b32 s92, exec_lo
	v_cndmask_b32_e32 v18, v10, v21, vcc_lo
	s_delay_alu instid0(VALU_DEP_3) | instskip(NEXT) | instid1(VALU_DEP_3)
	v_add_nc_u64_e32 v[8:9], v[0:1], v[8:9]
	v_cmpx_lt_i16_e32 10, v7
	s_xor_b32 s92, exec_lo, s92
	s_cbranch_execz .LBB14_7220
; %bb.7139:
	s_mov_b32 s95, s90
	s_mov_b32 vcc_hi, exec_lo
	v_cmpx_lt_i16_e32 25, v7
	s_xor_b32 vcc_hi, exec_lo, vcc_hi
	s_cbranch_execz .LBB14_7175
; %bb.7140:
	s_mov_b32 s30, s90
	s_mov_b32 s95, exec_lo
	v_cmpx_lt_i16_e32 28, v7
	s_xor_b32 s95, exec_lo, s95
	s_cbranch_execz .LBB14_7158
; %bb.7141:
	s_mov_b32 s34, s90
	s_mov_b32 s30, exec_lo
	v_cmpx_lt_i16_e32 43, v7
	s_xor_b32 s30, exec_lo, s30
	s_cbranch_execz .LBB14_7153
; %bb.7142:
	s_mov_b32 s31, 0
	s_mov_b32 s34, s90
	s_mov_b32 s0, exec_lo
	v_cmpx_lt_i16_e32 45, v7
	s_xor_b32 s0, exec_lo, s0
	s_cbranch_execz .LBB14_7146
; %bb.7143:
	s_mov_b32 s35, -1
	s_mov_b32 s34, exec_lo
	v_cmpx_eq_u16_e32 46, v7
	s_cbranch_execz .LBB14_7145
; %bb.7144:
	v_bfe_u32 v7, v18, 16, 1
	v_cmp_o_f32_e32 vcc_lo, v18, v18
	s_mov_b32 s31, exec_lo
	s_xor_b32 s35, exec_lo, -1
	s_delay_alu instid0(VALU_DEP_2) | instskip(NEXT) | instid1(VALU_DEP_1)
	v_add3_u32 v7, v18, v7, 0x7fff
	v_lshrrev_b32_e32 v7, 16, v7
	s_delay_alu instid0(VALU_DEP_1)
	v_cndmask_b32_e32 v7, 0x7fc0, v7, vcc_lo
	flat_store_b32 v[8:9], v7
.LBB14_7145:
	s_wait_xcnt 0x0
	s_or_b32 exec_lo, exec_lo, s34
	s_delay_alu instid0(SALU_CYCLE_1)
	s_and_not1_b32 vcc_lo, s90, exec_lo
	s_and_b32 s34, s35, exec_lo
	s_and_b32 s31, s31, exec_lo
	s_or_b32 s34, vcc_lo, s34
                                        ; implicit-def: $vgpr7
                                        ; implicit-def: $vgpr8_vgpr9
                                        ; implicit-def: $vgpr18
.LBB14_7146:
	s_and_not1_saveexec_b32 s35, s0
	s_cbranch_execz .LBB14_7152
; %bb.7147:
	s_mov_b32 s37, -1
	s_mov_b32 s0, s31
	s_mov_b32 s36, exec_lo
	v_cmpx_eq_u16_e32 44, v7
	s_cbranch_execz .LBB14_7151
; %bb.7148:
	v_bfe_u32 v10, v18, 23, 8
	v_mov_b32_e32 v7, 0xff
	s_mov_b32 s37, exec_lo
	s_delay_alu instid0(VALU_DEP_2)
	v_cmpx_ne_u32_e32 0xff, v10
	s_cbranch_execz .LBB14_7150
; %bb.7149:
	v_and_b32_e32 v7, 0x400000, v18
	v_and_or_b32 v10, 0x3fffff, v18, v10
	s_delay_alu instid0(VALU_DEP_2) | instskip(NEXT) | instid1(VALU_DEP_2)
	v_cmp_ne_u32_e32 vcc_lo, 0, v7
	v_cmp_ne_u32_e64 s0, 0, v10
	v_lshrrev_b32_e32 v7, 23, v18
	s_and_b32 s0, vcc_lo, s0
	s_delay_alu instid0(SALU_CYCLE_1) | instskip(NEXT) | instid1(VALU_DEP_1)
	v_cndmask_b32_e64 v10, 0, 1, s0
	v_add_nc_u32_e32 v7, v7, v10
.LBB14_7150:
	s_or_b32 exec_lo, exec_lo, s37
	s_delay_alu instid0(SALU_CYCLE_1)
	s_xor_b32 s37, exec_lo, -1
	s_or_b32 s0, s31, exec_lo
	flat_store_b8 v[8:9], v7
.LBB14_7151:
	s_wait_xcnt 0x0
	s_or_b32 exec_lo, exec_lo, s36
	s_delay_alu instid0(SALU_CYCLE_1)
	s_and_not1_b32 vcc_lo, s34, exec_lo
	s_and_b32 s34, s37, exec_lo
	s_and_not1_b32 s31, s31, exec_lo
	s_and_b32 s0, s0, exec_lo
	s_or_b32 s34, vcc_lo, s34
	s_or_b32 s31, s31, s0
.LBB14_7152:
	s_or_b32 exec_lo, exec_lo, s35
	s_delay_alu instid0(SALU_CYCLE_1) | instskip(SKIP_1) | instid1(SALU_CYCLE_1)
	s_and_not1_b32 s0, s90, exec_lo
	s_and_b32 vcc_lo, s34, exec_lo
                                        ; implicit-def: $vgpr7
                                        ; implicit-def: $vgpr18
                                        ; implicit-def: $vgpr8_vgpr9
	s_or_b32 s34, s0, vcc_lo
	s_and_b32 s0, s31, exec_lo
.LBB14_7153:
	s_and_not1_saveexec_b32 s30, s30
	s_cbranch_execz .LBB14_7157
; %bb.7154:
	s_mov_b32 s36, -1
	s_mov_b32 s35, s0
	s_mov_b32 s31, exec_lo
	v_cmpx_eq_u16_e32 29, v7
	s_cbranch_execz .LBB14_7156
; %bb.7155:
	v_trunc_f32_e32 v7, v18
	s_xor_b32 s36, exec_lo, -1
	s_or_b32 s35, s0, exec_lo
	s_delay_alu instid0(VALU_DEP_1) | instskip(NEXT) | instid1(VALU_DEP_1)
	v_mul_f32_e32 v10, 0x2f800000, v7
	v_floor_f32_e32 v10, v10
	s_delay_alu instid0(VALU_DEP_1) | instskip(SKIP_1) | instid1(VALU_DEP_2)
	v_fmamk_f32 v7, v10, 0xcf800000, v7
	v_cvt_u32_f32_e32 v19, v10
	v_cvt_u32_f32_e32 v18, v7
	flat_store_b64 v[8:9], v[18:19]
.LBB14_7156:
	s_wait_xcnt 0x0
	s_or_b32 exec_lo, exec_lo, s31
	s_delay_alu instid0(SALU_CYCLE_1)
	s_and_not1_b32 vcc_lo, s34, exec_lo
	s_and_b32 s31, s36, exec_lo
	s_and_not1_b32 s0, s0, exec_lo
	s_and_b32 s35, s35, exec_lo
	s_or_b32 s34, vcc_lo, s31
	s_or_b32 s0, s0, s35
.LBB14_7157:
	s_or_b32 exec_lo, exec_lo, s30
	s_delay_alu instid0(SALU_CYCLE_1)
	s_and_not1_b32 vcc_lo, s90, exec_lo
	s_and_b32 s30, s34, exec_lo
	s_and_b32 s0, s0, exec_lo
	s_or_b32 s30, vcc_lo, s30
                                        ; implicit-def: $vgpr8_vgpr9
                                        ; implicit-def: $vgpr7
                                        ; implicit-def: $vgpr18
.LBB14_7158:
	s_and_not1_saveexec_b32 s95, s95
	s_cbranch_execz .LBB14_7174
; %bb.7159:
	s_mov_b32 s31, exec_lo
	v_cmpx_lt_i16_e32 26, v7
	s_xor_b32 s31, exec_lo, s31
	s_cbranch_execz .LBB14_7165
; %bb.7160:
	v_cmp_lt_i16_e32 vcc_lo, 27, v7
	v_cvt_u32_f32_e32 v7, v18
	s_and_saveexec_b32 s34, vcc_lo
	s_delay_alu instid0(SALU_CYCLE_1)
	s_xor_b32 vcc_lo, exec_lo, s34
	s_cbranch_execz .LBB14_7162
; %bb.7161:
	flat_store_b32 v[8:9], v7
                                        ; implicit-def: $vgpr8_vgpr9
                                        ; implicit-def: $vgpr7
.LBB14_7162:
	s_wait_xcnt 0x0
	s_and_not1_saveexec_b32 vcc_lo, vcc_lo
	s_cbranch_execz .LBB14_7164
; %bb.7163:
	flat_store_b16 v[8:9], v7
.LBB14_7164:
	s_wait_xcnt 0x0
	s_or_b32 exec_lo, exec_lo, vcc_lo
                                        ; implicit-def: $vgpr8_vgpr9
                                        ; implicit-def: $vgpr18
.LBB14_7165:
	s_and_not1_saveexec_b32 s31, s31
	s_cbranch_execz .LBB14_7173
; %bb.7166:
	v_and_b32_e32 v7, 0x7fffffff, v18
	v_mov_b32_e32 v10, 0x80
	s_mov_b32 s34, exec_lo
	s_delay_alu instid0(VALU_DEP_2)
	v_cmpx_gt_u32_e32 0x43800000, v7
	s_cbranch_execz .LBB14_7172
; %bb.7167:
	v_cmp_lt_u32_e32 vcc_lo, 0x3bffffff, v7
	s_mov_b32 s35, 0
                                        ; implicit-def: $vgpr7
	s_and_saveexec_b32 s36, vcc_lo
	s_delay_alu instid0(SALU_CYCLE_1)
	s_xor_b32 vcc_lo, exec_lo, s36
	s_cbranch_execnz .LBB14_7923
; %bb.7168:
	s_and_not1_saveexec_b32 s36, vcc_lo
	s_cbranch_execnz .LBB14_7924
.LBB14_7169:
	s_or_b32 exec_lo, exec_lo, s36
	v_mov_b32_e32 v10, 0
	s_and_saveexec_b32 vcc_lo, s35
.LBB14_7170:
	v_lshrrev_b32_e32 v10, 24, v18
	s_delay_alu instid0(VALU_DEP_1)
	v_and_or_b32 v10, 0x80, v10, v7
.LBB14_7171:
	s_or_b32 exec_lo, exec_lo, vcc_lo
.LBB14_7172:
	s_delay_alu instid0(SALU_CYCLE_1)
	s_or_b32 exec_lo, exec_lo, s34
	flat_store_b8 v[8:9], v10
.LBB14_7173:
	s_wait_xcnt 0x0
	s_or_b32 exec_lo, exec_lo, s31
	s_delay_alu instid0(SALU_CYCLE_1)
	s_or_b32 s0, s0, exec_lo
.LBB14_7174:
	s_or_b32 exec_lo, exec_lo, s95
	s_delay_alu instid0(SALU_CYCLE_1)
	s_and_not1_b32 s95, s90, exec_lo
	s_and_b32 vcc_lo, s30, exec_lo
	s_and_b32 s0, s0, exec_lo
	s_or_b32 s95, s95, vcc_lo
                                        ; implicit-def: $vgpr7
                                        ; implicit-def: $vgpr18
                                        ; implicit-def: $vgpr8_vgpr9
.LBB14_7175:
	s_and_not1_saveexec_b32 vcc_hi, vcc_hi
	s_cbranch_execz .LBB14_7219
; %bb.7176:
	s_mov_b32 s31, s0
	s_mov_b32 s30, exec_lo
	v_cmpx_lt_i16_e32 22, v7
	s_xor_b32 s30, exec_lo, s30
	s_cbranch_execz .LBB14_7208
; %bb.7177:
	s_mov_b32 s31, exec_lo
	v_cmpx_lt_i16_e32 23, v7
	s_xor_b32 s31, exec_lo, s31
	s_cbranch_execz .LBB14_7197
; %bb.7178:
	;; [unrolled: 5-line block ×3, first 2 shown]
	v_and_b32_e32 v7, 0x7fffffff, v18
	v_mov_b32_e32 v10, 0x80
	s_mov_b32 s35, exec_lo
	s_delay_alu instid0(VALU_DEP_2)
	v_cmpx_gt_u32_e32 0x47800000, v7
	s_cbranch_execz .LBB14_7185
; %bb.7180:
	v_cmp_lt_u32_e32 vcc_lo, 0x37ffffff, v7
	s_mov_b32 s36, 0
                                        ; implicit-def: $vgpr7
	s_and_saveexec_b32 s37, vcc_lo
	s_delay_alu instid0(SALU_CYCLE_1)
	s_xor_b32 vcc_lo, exec_lo, s37
	s_cbranch_execnz .LBB14_7925
; %bb.7181:
	s_and_not1_saveexec_b32 s37, vcc_lo
	s_cbranch_execnz .LBB14_7926
.LBB14_7182:
	s_or_b32 exec_lo, exec_lo, s37
	v_mov_b32_e32 v10, 0
	s_and_saveexec_b32 vcc_lo, s36
.LBB14_7183:
	v_lshrrev_b32_e32 v10, 24, v18
	s_delay_alu instid0(VALU_DEP_1)
	v_and_or_b32 v10, 0x80, v10, v7
.LBB14_7184:
	s_or_b32 exec_lo, exec_lo, vcc_lo
.LBB14_7185:
	s_delay_alu instid0(SALU_CYCLE_1)
	s_or_b32 exec_lo, exec_lo, s35
	flat_store_b8 v[8:9], v10
                                        ; implicit-def: $vgpr18
                                        ; implicit-def: $vgpr8_vgpr9
.LBB14_7186:
	s_wait_xcnt 0x0
	s_and_not1_saveexec_b32 s34, s34
	s_cbranch_execz .LBB14_7196
; %bb.7187:
	v_and_b32_e32 v10, 0x7fffffff, v18
	s_mov_b32 s35, exec_lo
                                        ; implicit-def: $vgpr7
	s_delay_alu instid0(VALU_DEP_1)
	v_cmpx_gt_u32_e32 0x43f00000, v10
	s_xor_b32 s35, exec_lo, s35
	s_cbranch_execz .LBB14_7193
; %bb.7188:
	s_mov_b32 s36, exec_lo
                                        ; implicit-def: $vgpr7
	v_cmpx_lt_u32_e32 0x3c7fffff, v10
	s_xor_b32 s36, exec_lo, s36
; %bb.7189:
	v_bfe_u32 v7, v18, 20, 1
	s_delay_alu instid0(VALU_DEP_1) | instskip(NEXT) | instid1(VALU_DEP_1)
	v_add3_u32 v7, v18, v7, 0x407ffff
	v_and_b32_e32 v10, 0xff00000, v7
	v_lshrrev_b32_e32 v7, 20, v7
	s_delay_alu instid0(VALU_DEP_2) | instskip(NEXT) | instid1(VALU_DEP_2)
	v_cmp_ne_u32_e32 vcc_lo, 0x7f00000, v10
	v_cndmask_b32_e32 v7, 0x7e, v7, vcc_lo
; %bb.7190:
	s_and_not1_saveexec_b32 vcc_lo, s36
; %bb.7191:
	v_add_f32_e64 v7, 0x46800000, |v18|
; %bb.7192:
	s_or_b32 exec_lo, exec_lo, vcc_lo
                                        ; implicit-def: $vgpr10
.LBB14_7193:
	s_and_not1_saveexec_b32 s35, s35
; %bb.7194:
	v_mov_b32_e32 v7, 0x7f
	v_cmp_lt_u32_e32 vcc_lo, 0x7f800000, v10
	s_delay_alu instid0(VALU_DEP_2)
	v_cndmask_b32_e32 v7, 0x7e, v7, vcc_lo
; %bb.7195:
	s_or_b32 exec_lo, exec_lo, s35
	v_lshrrev_b32_e32 v10, 24, v18
	s_delay_alu instid0(VALU_DEP_1)
	v_and_or_b32 v7, 0x80, v10, v7
	flat_store_b8 v[8:9], v7
.LBB14_7196:
	s_wait_xcnt 0x0
	s_or_b32 exec_lo, exec_lo, s34
                                        ; implicit-def: $vgpr18
                                        ; implicit-def: $vgpr8_vgpr9
.LBB14_7197:
	s_and_not1_saveexec_b32 s31, s31
	s_cbranch_execz .LBB14_7207
; %bb.7198:
	v_and_b32_e32 v10, 0x7fffffff, v18
	s_mov_b32 s34, exec_lo
                                        ; implicit-def: $vgpr7
	s_delay_alu instid0(VALU_DEP_1)
	v_cmpx_gt_u32_e32 0x47800000, v10
	s_xor_b32 s34, exec_lo, s34
	s_cbranch_execz .LBB14_7204
; %bb.7199:
	v_cmp_lt_u32_e32 vcc_lo, 0x387fffff, v10
                                        ; implicit-def: $vgpr7
	s_and_saveexec_b32 s35, vcc_lo
	s_delay_alu instid0(SALU_CYCLE_1)
	s_xor_b32 vcc_lo, exec_lo, s35
; %bb.7200:
	v_bfe_u32 v7, v18, 21, 1
	s_delay_alu instid0(VALU_DEP_1) | instskip(NEXT) | instid1(VALU_DEP_1)
	v_add3_u32 v7, v18, v7, 0x80fffff
	v_lshrrev_b32_e32 v7, 21, v7
; %bb.7201:
	s_and_not1_saveexec_b32 vcc_lo, vcc_lo
; %bb.7202:
	v_add_f32_e64 v7, 0x43000000, |v18|
; %bb.7203:
	s_or_b32 exec_lo, exec_lo, vcc_lo
                                        ; implicit-def: $vgpr10
.LBB14_7204:
	s_and_not1_saveexec_b32 s34, s34
; %bb.7205:
	v_mov_b32_e32 v7, 0x7f
	v_cmp_lt_u32_e32 vcc_lo, 0x7f800000, v10
	s_delay_alu instid0(VALU_DEP_2)
	v_cndmask_b32_e32 v7, 0x7c, v7, vcc_lo
; %bb.7206:
	s_or_b32 exec_lo, exec_lo, s34
	v_lshrrev_b32_e32 v10, 24, v18
	s_delay_alu instid0(VALU_DEP_1)
	v_and_or_b32 v7, 0x80, v10, v7
	flat_store_b8 v[8:9], v7
.LBB14_7207:
	s_wait_xcnt 0x0
	s_or_b32 exec_lo, exec_lo, s31
	s_delay_alu instid0(SALU_CYCLE_1)
	s_or_b32 s31, s0, exec_lo
                                        ; implicit-def: $vgpr7
                                        ; implicit-def: $vgpr18
                                        ; implicit-def: $vgpr8_vgpr9
.LBB14_7208:
	s_or_saveexec_b32 s30, s30
	s_mov_b32 vcc_lo, s95
	s_xor_b32 exec_lo, exec_lo, s30
	s_cbranch_execz .LBB14_7218
; %bb.7209:
	s_mov_b32 s34, s31
	s_mov_b32 s35, s95
	s_mov_b32 s36, exec_lo
	v_cmpx_lt_i16_e32 14, v7
	s_xor_b32 s36, exec_lo, s36
	s_cbranch_execz .LBB14_7213
; %bb.7210:
	s_mov_b32 s37, -1
	s_mov_b32 s34, s31
	s_mov_b32 s35, exec_lo
	v_cmpx_eq_u16_e32 15, v7
	s_cbranch_execz .LBB14_7212
; %bb.7211:
	v_bfe_u32 v7, v18, 16, 1
	v_cmp_o_f32_e32 vcc_lo, v18, v18
	s_xor_b32 s37, exec_lo, -1
	s_or_b32 s34, s31, exec_lo
	s_delay_alu instid0(VALU_DEP_2) | instskip(NEXT) | instid1(VALU_DEP_1)
	v_add3_u32 v7, v18, v7, 0x7fff
	v_lshrrev_b32_e32 v7, 16, v7
	s_delay_alu instid0(VALU_DEP_1)
	v_cndmask_b32_e32 v7, 0x7fc0, v7, vcc_lo
	flat_store_b16 v[8:9], v7
.LBB14_7212:
	s_wait_xcnt 0x0
	s_or_b32 exec_lo, exec_lo, s35
	s_delay_alu instid0(SALU_CYCLE_1)
	s_and_not1_b32 vcc_lo, s95, exec_lo
	s_and_b32 s35, s37, exec_lo
	s_and_not1_b32 s37, s31, exec_lo
	s_and_b32 s34, s34, exec_lo
	s_or_b32 s35, vcc_lo, s35
	s_or_b32 s34, s37, s34
                                        ; implicit-def: $vgpr7
                                        ; implicit-def: $vgpr18
                                        ; implicit-def: $vgpr8_vgpr9
.LBB14_7213:
	s_and_not1_saveexec_b32 s36, s36
	s_cbranch_execz .LBB14_7217
; %bb.7214:
	s_mov_b32 s38, -1
	s_mov_b32 s37, s34
	s_mov_b32 s39, exec_lo
	v_cmpx_eq_u16_e32 11, v7
	s_cbranch_execz .LBB14_7216
; %bb.7215:
	v_cmp_neq_f32_e32 vcc_lo, 0, v18
	s_xor_b32 s38, exec_lo, -1
	s_or_b32 s37, s34, exec_lo
	v_cndmask_b32_e64 v7, 0, 1, vcc_lo
	flat_store_b8 v[8:9], v7
.LBB14_7216:
	s_wait_xcnt 0x0
	s_or_b32 exec_lo, exec_lo, s39
	s_delay_alu instid0(SALU_CYCLE_1)
	s_and_not1_b32 vcc_lo, s35, exec_lo
	s_and_b32 s35, s38, exec_lo
	s_and_not1_b32 s34, s34, exec_lo
	s_and_b32 s37, s37, exec_lo
	s_or_b32 s35, vcc_lo, s35
	s_or_b32 s34, s34, s37
.LBB14_7217:
	s_or_b32 exec_lo, exec_lo, s36
	s_delay_alu instid0(SALU_CYCLE_1)
	s_and_not1_b32 vcc_lo, s95, exec_lo
	s_and_b32 s35, s35, exec_lo
	s_and_not1_b32 s31, s31, exec_lo
	s_and_b32 s34, s34, exec_lo
	s_or_b32 vcc_lo, vcc_lo, s35
	s_or_b32 s31, s31, s34
.LBB14_7218:
	s_or_b32 exec_lo, exec_lo, s30
	s_delay_alu instid0(SALU_CYCLE_1)
	s_and_not1_b32 s95, s95, exec_lo
	s_and_b32 vcc_lo, vcc_lo, exec_lo
	s_and_not1_b32 s0, s0, exec_lo
	s_and_b32 s30, s31, exec_lo
	s_or_b32 s95, s95, vcc_lo
	s_or_b32 s0, s0, s30
.LBB14_7219:
	s_or_b32 exec_lo, exec_lo, vcc_hi
	s_delay_alu instid0(SALU_CYCLE_1)
	s_and_not1_b32 vcc_lo, s90, exec_lo
	s_and_b32 s95, s95, exec_lo
	s_and_b32 s0, s0, exec_lo
	s_or_b32 s95, vcc_lo, s95
                                        ; implicit-def: $vgpr7
                                        ; implicit-def: $vgpr18
                                        ; implicit-def: $vgpr8_vgpr9
.LBB14_7220:
	s_and_not1_saveexec_b32 s92, s92
	s_cbranch_execz .LBB14_7262
; %bb.7221:
	s_mov_b32 vcc_hi, exec_lo
	v_cmpx_lt_i16_e32 4, v7
	s_xor_b32 vcc_hi, exec_lo, vcc_hi
	s_cbranch_execz .LBB14_7243
; %bb.7222:
	s_mov_b32 s30, exec_lo
	v_cmpx_lt_i16_e32 7, v7
	s_xor_b32 s30, exec_lo, s30
	s_cbranch_execz .LBB14_7232
; %bb.7223:
	s_mov_b32 s31, exec_lo
	v_cmpx_lt_i16_e32 8, v7
	s_xor_b32 s31, exec_lo, s31
	s_cbranch_execz .LBB14_7229
; %bb.7224:
	v_cmp_lt_i16_e32 vcc_lo, 9, v7
	s_and_saveexec_b32 s34, vcc_lo
	s_delay_alu instid0(SALU_CYCLE_1)
	s_xor_b32 vcc_lo, exec_lo, s34
	s_cbranch_execz .LBB14_7226
; %bb.7225:
	v_cvt_f64_f32_e32 v[18:19], v18
	v_mov_b32_e32 v20, 0
	s_delay_alu instid0(VALU_DEP_1)
	v_mov_b32_e32 v21, v20
	flat_store_b128 v[8:9], v[18:21]
                                        ; implicit-def: $vgpr18
                                        ; implicit-def: $vgpr8_vgpr9
.LBB14_7226:
	s_wait_xcnt 0x0
	s_and_not1_saveexec_b32 vcc_lo, vcc_lo
	s_cbranch_execz .LBB14_7228
; %bb.7227:
	v_mov_b32_e32 v19, 0
	flat_store_b64 v[8:9], v[18:19]
.LBB14_7228:
	s_wait_xcnt 0x0
	s_or_b32 exec_lo, exec_lo, vcc_lo
                                        ; implicit-def: $vgpr18
                                        ; implicit-def: $vgpr8_vgpr9
.LBB14_7229:
	s_and_not1_saveexec_b32 vcc_lo, s31
	s_cbranch_execz .LBB14_7231
; %bb.7230:
	v_cvt_f16_f32_e32 v7, v18
	s_delay_alu instid0(VALU_DEP_1)
	v_and_b32_e32 v7, 0xffff, v7
	flat_store_b32 v[8:9], v7
.LBB14_7231:
	s_wait_xcnt 0x0
	s_or_b32 exec_lo, exec_lo, vcc_lo
                                        ; implicit-def: $vgpr18
                                        ; implicit-def: $vgpr8_vgpr9
                                        ; implicit-def: $vgpr7
.LBB14_7232:
	s_and_not1_saveexec_b32 s30, s30
	s_cbranch_execz .LBB14_7242
; %bb.7233:
	s_mov_b32 s31, exec_lo
	v_cmpx_lt_i16_e32 5, v7
	s_xor_b32 s31, exec_lo, s31
	s_cbranch_execz .LBB14_7239
; %bb.7234:
	v_cmp_lt_i16_e32 vcc_lo, 6, v7
	s_and_saveexec_b32 s34, vcc_lo
	s_delay_alu instid0(SALU_CYCLE_1)
	s_xor_b32 vcc_lo, exec_lo, s34
	s_cbranch_execz .LBB14_7236
; %bb.7235:
	v_cvt_f64_f32_e32 v[18:19], v18
	flat_store_b64 v[8:9], v[18:19]
                                        ; implicit-def: $vgpr8_vgpr9
                                        ; implicit-def: $vgpr18
.LBB14_7236:
	s_wait_xcnt 0x0
	s_and_not1_saveexec_b32 vcc_lo, vcc_lo
	s_cbranch_execz .LBB14_7238
; %bb.7237:
	flat_store_b32 v[8:9], v18
.LBB14_7238:
	s_wait_xcnt 0x0
	s_or_b32 exec_lo, exec_lo, vcc_lo
                                        ; implicit-def: $vgpr18
                                        ; implicit-def: $vgpr8_vgpr9
.LBB14_7239:
	s_and_not1_saveexec_b32 vcc_lo, s31
	s_cbranch_execz .LBB14_7241
; %bb.7240:
	v_cvt_f16_f32_e32 v7, v18
	flat_store_b16 v[8:9], v7
.LBB14_7241:
	s_wait_xcnt 0x0
	s_or_b32 exec_lo, exec_lo, vcc_lo
.LBB14_7242:
	s_delay_alu instid0(SALU_CYCLE_1)
	s_or_b32 exec_lo, exec_lo, s30
                                        ; implicit-def: $vgpr7
                                        ; implicit-def: $vgpr18
                                        ; implicit-def: $vgpr8_vgpr9
.LBB14_7243:
	s_and_not1_saveexec_b32 vcc_hi, vcc_hi
	s_cbranch_execz .LBB14_7261
; %bb.7244:
	s_mov_b32 s30, exec_lo
	v_cmpx_lt_i16_e32 1, v7
	s_xor_b32 s30, exec_lo, s30
	s_cbranch_execz .LBB14_7254
; %bb.7245:
	s_mov_b32 s31, exec_lo
	v_cmpx_lt_i16_e32 2, v7
	s_xor_b32 s31, exec_lo, s31
	s_cbranch_execz .LBB14_7251
; %bb.7246:
	v_cmp_lt_i16_e32 vcc_lo, 3, v7
	s_and_saveexec_b32 s34, vcc_lo
	s_delay_alu instid0(SALU_CYCLE_1)
	s_xor_b32 vcc_lo, exec_lo, s34
	s_cbranch_execz .LBB14_7248
; %bb.7247:
	v_trunc_f32_e32 v7, v18
	s_delay_alu instid0(VALU_DEP_1) | instskip(SKIP_1) | instid1(VALU_DEP_2)
	v_mul_f32_e64 v10, 0x2f800000, |v7|
	v_ashrrev_i32_e32 v18, 31, v7
	v_floor_f32_e32 v10, v10
	s_delay_alu instid0(VALU_DEP_1) | instskip(SKIP_1) | instid1(VALU_DEP_2)
	v_fma_f32 v19, 0xcf800000, v10, |v7|
	v_cvt_u32_f32_e32 v7, v10
	v_cvt_u32_f32_e32 v10, v19
	s_delay_alu instid0(VALU_DEP_2) | instskip(NEXT) | instid1(VALU_DEP_2)
	v_dual_mov_b32 v19, v18 :: v_dual_bitop2_b32 v21, v7, v18 bitop3:0x14
	v_xor_b32_e32 v20, v10, v18
	s_delay_alu instid0(VALU_DEP_1)
	v_sub_nc_u64_e32 v[18:19], v[20:21], v[18:19]
	flat_store_b64 v[8:9], v[18:19]
                                        ; implicit-def: $vgpr18
                                        ; implicit-def: $vgpr8_vgpr9
.LBB14_7248:
	s_wait_xcnt 0x0
	s_and_not1_saveexec_b32 vcc_lo, vcc_lo
	s_cbranch_execz .LBB14_7250
; %bb.7249:
	v_cvt_i32_f32_e32 v7, v18
	flat_store_b32 v[8:9], v7
.LBB14_7250:
	s_wait_xcnt 0x0
	s_or_b32 exec_lo, exec_lo, vcc_lo
                                        ; implicit-def: $vgpr18
                                        ; implicit-def: $vgpr8_vgpr9
.LBB14_7251:
	s_and_not1_saveexec_b32 vcc_lo, s31
	s_cbranch_execz .LBB14_7253
; %bb.7252:
	v_cvt_i32_f32_e32 v7, v18
	flat_store_b16 v[8:9], v7
.LBB14_7253:
	s_wait_xcnt 0x0
	s_or_b32 exec_lo, exec_lo, vcc_lo
                                        ; implicit-def: $vgpr18
                                        ; implicit-def: $vgpr8_vgpr9
                                        ; implicit-def: $vgpr7
.LBB14_7254:
	s_and_not1_saveexec_b32 s30, s30
	s_cbranch_execz .LBB14_7260
; %bb.7255:
	v_cmp_lt_i16_e32 vcc_lo, 0, v7
	s_and_saveexec_b32 s31, vcc_lo
	s_delay_alu instid0(SALU_CYCLE_1)
	s_xor_b32 vcc_lo, exec_lo, s31
	s_cbranch_execz .LBB14_7257
; %bb.7256:
	v_cvt_i32_f32_e32 v7, v18
                                        ; implicit-def: $vgpr18
	flat_store_b8 v[8:9], v7
                                        ; implicit-def: $vgpr8_vgpr9
.LBB14_7257:
	s_wait_xcnt 0x0
	s_and_not1_saveexec_b32 vcc_lo, vcc_lo
	s_cbranch_execz .LBB14_7259
; %bb.7258:
	v_trunc_f32_e32 v7, v18
	s_delay_alu instid0(VALU_DEP_1) | instskip(NEXT) | instid1(VALU_DEP_1)
	v_mul_f32_e64 v10, 0x2f800000, |v7|
	v_floor_f32_e32 v10, v10
	s_delay_alu instid0(VALU_DEP_1) | instskip(SKIP_1) | instid1(VALU_DEP_2)
	v_fma_f32 v10, 0xcf800000, v10, |v7|
	v_ashrrev_i32_e32 v7, 31, v7
	v_cvt_u32_f32_e32 v10, v10
	s_delay_alu instid0(VALU_DEP_1) | instskip(NEXT) | instid1(VALU_DEP_1)
	v_xor_b32_e32 v10, v10, v7
	v_sub_nc_u32_e32 v7, v10, v7
	flat_store_b8 v[8:9], v7
.LBB14_7259:
	s_wait_xcnt 0x0
	s_or_b32 exec_lo, exec_lo, vcc_lo
.LBB14_7260:
	s_delay_alu instid0(SALU_CYCLE_1)
	s_or_b32 exec_lo, exec_lo, s30
.LBB14_7261:
	s_delay_alu instid0(SALU_CYCLE_1) | instskip(NEXT) | instid1(SALU_CYCLE_1)
	s_or_b32 exec_lo, exec_lo, vcc_hi
	s_or_b32 s0, s0, exec_lo
.LBB14_7262:
	s_or_b32 exec_lo, exec_lo, s92
	s_mov_b32 vcc_hi, 0
	s_mov_b32 s92, 0
	s_and_saveexec_b32 s30, s0
; %bb.7263:
	v_add_nc_u32_e32 v13, 0x200, v13
	s_mov_b32 vcc_hi, exec_lo
	s_delay_alu instid0(VALU_DEP_1)
	v_cmp_lt_i32_e32 vcc_lo, v13, v6
	s_and_b32 s92, vcc_lo, exec_lo
; %bb.7264:
	s_or_b32 exec_lo, exec_lo, s30
	s_delay_alu instid0(SALU_CYCLE_1)
	s_and_not1_b32 vcc_lo, s90, exec_lo
	s_and_b32 s95, s95, exec_lo
	s_and_b32 s0, s92, exec_lo
	s_or_b32 s92, vcc_lo, s95
	s_or_not1_b32 vcc_hi, vcc_hi, exec_lo
.LBB14_7265:
	s_or_b32 exec_lo, exec_lo, s93
	s_mov_b32 s95, 0
	s_mov_b32 vcc_lo, 0
                                        ; implicit-def: $vgpr8
                                        ; implicit-def: $vgpr7
                                        ; implicit-def: $vgpr38_vgpr39
	s_and_saveexec_b32 s93, vcc_hi
	s_cbranch_execz .LBB14_7737
; %bb.7266:
	s_mov_b32 s31, -1
	s_mov_b32 vcc_hi, 0
	s_mov_b32 s94, s92
	s_and_saveexec_b32 s95, s0
	s_cbranch_execz .LBB14_7394
; %bb.7267:
	v_dual_add_nc_u32 v7, s2, v13 :: v_dual_mov_b32 v9, 0
	s_wait_loadcnt 0x1
	v_mul_f32_e32 v10, v14, v15
	v_cmp_lt_f32_e32 vcc_lo, 0, v15
	s_mov_b32 s0, 0
	v_mul_lo_u32 v8, v7, v12
	v_and_b32_e32 v7, 0xff, v11
	s_mov_b32 s30, s92
	v_cndmask_b32_e32 v14, v10, v15, vcc_lo
	s_mov_b32 s94, exec_lo
	s_delay_alu instid0(VALU_DEP_3)
	v_add_nc_u64_e32 v[8:9], v[0:1], v[8:9]
	v_cmpx_lt_i16_e32 10, v7
	s_xor_b32 s94, exec_lo, s94
	s_cbranch_execz .LBB14_7349
; %bb.7268:
	s_mov_b32 s30, s92
	s_mov_b32 s31, exec_lo
	v_cmpx_lt_i16_e32 25, v7
	s_xor_b32 s31, exec_lo, s31
	s_cbranch_execz .LBB14_7304
; %bb.7269:
	s_mov_b32 s34, s92
	s_mov_b32 s30, exec_lo
	;; [unrolled: 6-line block ×3, first 2 shown]
	v_cmpx_lt_i16_e32 43, v7
	s_xor_b32 s34, exec_lo, s34
	s_cbranch_execz .LBB14_7282
; %bb.7271:
	s_mov_b32 s35, 0
	s_mov_b32 s36, s92
	s_mov_b32 s0, exec_lo
	v_cmpx_lt_i16_e32 45, v7
	s_xor_b32 s0, exec_lo, s0
	s_cbranch_execz .LBB14_7275
; %bb.7272:
	s_mov_b32 s37, -1
	s_mov_b32 s36, exec_lo
	v_cmpx_eq_u16_e32 46, v7
	s_cbranch_execz .LBB14_7274
; %bb.7273:
	v_bfe_u32 v7, v14, 16, 1
	v_cmp_o_f32_e32 vcc_lo, v14, v14
	s_mov_b32 s35, exec_lo
	s_xor_b32 s37, exec_lo, -1
	s_delay_alu instid0(VALU_DEP_2) | instskip(NEXT) | instid1(VALU_DEP_1)
	v_add3_u32 v7, v14, v7, 0x7fff
	v_lshrrev_b32_e32 v7, 16, v7
	s_delay_alu instid0(VALU_DEP_1)
	v_cndmask_b32_e32 v7, 0x7fc0, v7, vcc_lo
	flat_store_b32 v[8:9], v7
.LBB14_7274:
	s_wait_xcnt 0x0
	s_or_b32 exec_lo, exec_lo, s36
	s_delay_alu instid0(SALU_CYCLE_1)
	s_and_not1_b32 vcc_lo, s92, exec_lo
	s_and_b32 s36, s37, exec_lo
	s_and_b32 s35, s35, exec_lo
	s_or_b32 s36, vcc_lo, s36
                                        ; implicit-def: $vgpr7
                                        ; implicit-def: $vgpr8_vgpr9
                                        ; implicit-def: $vgpr14
.LBB14_7275:
	s_and_not1_saveexec_b32 s37, s0
	s_cbranch_execz .LBB14_7281
; %bb.7276:
	s_mov_b32 s39, -1
	s_mov_b32 s0, s35
	s_mov_b32 s38, exec_lo
	v_cmpx_eq_u16_e32 44, v7
	s_cbranch_execz .LBB14_7280
; %bb.7277:
	v_bfe_u32 v10, v14, 23, 8
	v_mov_b32_e32 v7, 0xff
	s_mov_b32 s39, exec_lo
	s_delay_alu instid0(VALU_DEP_2)
	v_cmpx_ne_u32_e32 0xff, v10
	s_cbranch_execz .LBB14_7279
; %bb.7278:
	v_and_b32_e32 v7, 0x400000, v14
	v_and_or_b32 v10, 0x3fffff, v14, v10
	s_delay_alu instid0(VALU_DEP_2) | instskip(NEXT) | instid1(VALU_DEP_2)
	v_cmp_ne_u32_e32 vcc_lo, 0, v7
	v_cmp_ne_u32_e64 s0, 0, v10
	v_lshrrev_b32_e32 v7, 23, v14
	s_and_b32 s0, vcc_lo, s0
	s_delay_alu instid0(SALU_CYCLE_1) | instskip(NEXT) | instid1(VALU_DEP_1)
	v_cndmask_b32_e64 v10, 0, 1, s0
	v_add_nc_u32_e32 v7, v7, v10
.LBB14_7279:
	s_or_b32 exec_lo, exec_lo, s39
	s_delay_alu instid0(SALU_CYCLE_1)
	s_xor_b32 s39, exec_lo, -1
	s_or_b32 s0, s35, exec_lo
	flat_store_b8 v[8:9], v7
.LBB14_7280:
	s_wait_xcnt 0x0
	s_or_b32 exec_lo, exec_lo, s38
	s_delay_alu instid0(SALU_CYCLE_1)
	s_and_not1_b32 vcc_lo, s36, exec_lo
	s_and_b32 s36, s39, exec_lo
	s_and_not1_b32 s35, s35, exec_lo
	s_and_b32 s0, s0, exec_lo
	s_or_b32 s36, vcc_lo, s36
	s_or_b32 s35, s35, s0
.LBB14_7281:
	s_or_b32 exec_lo, exec_lo, s37
	s_delay_alu instid0(SALU_CYCLE_1) | instskip(SKIP_1) | instid1(SALU_CYCLE_1)
	s_and_not1_b32 s0, s92, exec_lo
	s_and_b32 vcc_lo, s36, exec_lo
                                        ; implicit-def: $vgpr7
                                        ; implicit-def: $vgpr14
                                        ; implicit-def: $vgpr8_vgpr9
	s_or_b32 s36, s0, vcc_lo
	s_and_b32 s0, s35, exec_lo
.LBB14_7282:
	s_and_not1_saveexec_b32 s34, s34
	s_cbranch_execz .LBB14_7286
; %bb.7283:
	s_mov_b32 s38, -1
	s_mov_b32 s37, s0
	s_mov_b32 s35, exec_lo
	v_cmpx_eq_u16_e32 29, v7
	s_cbranch_execz .LBB14_7285
; %bb.7284:
	v_trunc_f32_e32 v7, v14
	s_xor_b32 s38, exec_lo, -1
	s_or_b32 s37, s0, exec_lo
	s_delay_alu instid0(VALU_DEP_1) | instskip(NEXT) | instid1(VALU_DEP_1)
	v_mul_f32_e32 v10, 0x2f800000, v7
	v_floor_f32_e32 v10, v10
	s_delay_alu instid0(VALU_DEP_1) | instskip(SKIP_1) | instid1(VALU_DEP_2)
	v_fmamk_f32 v7, v10, 0xcf800000, v7
	v_cvt_u32_f32_e32 v15, v10
	v_cvt_u32_f32_e32 v14, v7
	flat_store_b64 v[8:9], v[14:15]
.LBB14_7285:
	s_wait_xcnt 0x0
	s_or_b32 exec_lo, exec_lo, s35
	s_delay_alu instid0(SALU_CYCLE_1)
	s_and_not1_b32 vcc_lo, s36, exec_lo
	s_and_b32 s35, s38, exec_lo
	s_and_not1_b32 s0, s0, exec_lo
	s_and_b32 s37, s37, exec_lo
	s_or_b32 s36, vcc_lo, s35
	s_or_b32 s0, s0, s37
.LBB14_7286:
	s_or_b32 exec_lo, exec_lo, s34
	s_delay_alu instid0(SALU_CYCLE_1)
	s_and_not1_b32 vcc_lo, s92, exec_lo
	s_and_b32 s34, s36, exec_lo
	s_and_b32 s0, s0, exec_lo
	s_or_b32 s34, vcc_lo, s34
                                        ; implicit-def: $vgpr8_vgpr9
                                        ; implicit-def: $vgpr7
                                        ; implicit-def: $vgpr14
.LBB14_7287:
	s_and_not1_saveexec_b32 s30, s30
	s_cbranch_execz .LBB14_7303
; %bb.7288:
	s_mov_b32 s35, exec_lo
	v_cmpx_lt_i16_e32 26, v7
	s_xor_b32 s35, exec_lo, s35
	s_cbranch_execz .LBB14_7294
; %bb.7289:
	v_cmp_lt_i16_e32 vcc_lo, 27, v7
	v_cvt_u32_f32_e32 v7, v14
	s_and_saveexec_b32 s36, vcc_lo
	s_delay_alu instid0(SALU_CYCLE_1)
	s_xor_b32 vcc_lo, exec_lo, s36
	s_cbranch_execz .LBB14_7291
; %bb.7290:
	flat_store_b32 v[8:9], v7
                                        ; implicit-def: $vgpr8_vgpr9
                                        ; implicit-def: $vgpr7
.LBB14_7291:
	s_wait_xcnt 0x0
	s_and_not1_saveexec_b32 vcc_lo, vcc_lo
	s_cbranch_execz .LBB14_7293
; %bb.7292:
	flat_store_b16 v[8:9], v7
.LBB14_7293:
	s_wait_xcnt 0x0
	s_or_b32 exec_lo, exec_lo, vcc_lo
                                        ; implicit-def: $vgpr8_vgpr9
                                        ; implicit-def: $vgpr14
.LBB14_7294:
	s_and_not1_saveexec_b32 s35, s35
	s_cbranch_execz .LBB14_7302
; %bb.7295:
	v_and_b32_e32 v7, 0x7fffffff, v14
	v_mov_b32_e32 v10, 0x80
	s_mov_b32 s36, exec_lo
	s_delay_alu instid0(VALU_DEP_2)
	v_cmpx_gt_u32_e32 0x43800000, v7
	s_cbranch_execz .LBB14_7301
; %bb.7296:
	v_cmp_lt_u32_e32 vcc_lo, 0x3bffffff, v7
	s_mov_b32 s37, 0
                                        ; implicit-def: $vgpr7
	s_and_saveexec_b32 s38, vcc_lo
	s_delay_alu instid0(SALU_CYCLE_1)
	s_xor_b32 vcc_lo, exec_lo, s38
	s_cbranch_execnz .LBB14_7927
; %bb.7297:
	s_and_not1_saveexec_b32 s38, vcc_lo
	s_cbranch_execnz .LBB14_7928
.LBB14_7298:
	s_or_b32 exec_lo, exec_lo, s38
	v_mov_b32_e32 v10, 0
	s_and_saveexec_b32 vcc_lo, s37
.LBB14_7299:
	v_lshrrev_b32_e32 v10, 24, v14
	s_delay_alu instid0(VALU_DEP_1)
	v_and_or_b32 v10, 0x80, v10, v7
.LBB14_7300:
	s_or_b32 exec_lo, exec_lo, vcc_lo
.LBB14_7301:
	s_delay_alu instid0(SALU_CYCLE_1)
	s_or_b32 exec_lo, exec_lo, s36
	flat_store_b8 v[8:9], v10
.LBB14_7302:
	s_wait_xcnt 0x0
	s_or_b32 exec_lo, exec_lo, s35
	s_delay_alu instid0(SALU_CYCLE_1)
	s_or_b32 s0, s0, exec_lo
.LBB14_7303:
	s_or_b32 exec_lo, exec_lo, s30
	s_delay_alu instid0(SALU_CYCLE_1)
	s_and_not1_b32 vcc_lo, s92, exec_lo
	s_and_b32 s30, s34, exec_lo
	s_and_b32 s0, s0, exec_lo
	s_or_b32 s30, vcc_lo, s30
                                        ; implicit-def: $vgpr7
                                        ; implicit-def: $vgpr14
                                        ; implicit-def: $vgpr8_vgpr9
.LBB14_7304:
	s_and_not1_saveexec_b32 s31, s31
	s_cbranch_execz .LBB14_7348
; %bb.7305:
	s_mov_b32 s35, s0
	s_mov_b32 s34, exec_lo
	v_cmpx_lt_i16_e32 22, v7
	s_xor_b32 s34, exec_lo, s34
	s_cbranch_execz .LBB14_7337
; %bb.7306:
	s_mov_b32 s35, exec_lo
	v_cmpx_lt_i16_e32 23, v7
	s_xor_b32 s35, exec_lo, s35
	s_cbranch_execz .LBB14_7326
; %bb.7307:
	s_mov_b32 s36, exec_lo
	v_cmpx_lt_i16_e32 24, v7
	s_xor_b32 s36, exec_lo, s36
	s_cbranch_execz .LBB14_7315
; %bb.7308:
	v_and_b32_e32 v7, 0x7fffffff, v14
	v_mov_b32_e32 v10, 0x80
	s_mov_b32 s37, exec_lo
	s_delay_alu instid0(VALU_DEP_2)
	v_cmpx_gt_u32_e32 0x47800000, v7
	s_cbranch_execz .LBB14_7314
; %bb.7309:
	v_cmp_lt_u32_e32 vcc_lo, 0x37ffffff, v7
	s_mov_b32 s38, 0
                                        ; implicit-def: $vgpr7
	s_and_saveexec_b32 s39, vcc_lo
	s_delay_alu instid0(SALU_CYCLE_1)
	s_xor_b32 vcc_lo, exec_lo, s39
	s_cbranch_execnz .LBB14_7929
; %bb.7310:
	s_and_not1_saveexec_b32 s39, vcc_lo
	s_cbranch_execnz .LBB14_7930
.LBB14_7311:
	s_or_b32 exec_lo, exec_lo, s39
	v_mov_b32_e32 v10, 0
	s_and_saveexec_b32 vcc_lo, s38
.LBB14_7312:
	v_lshrrev_b32_e32 v10, 24, v14
	s_delay_alu instid0(VALU_DEP_1)
	v_and_or_b32 v10, 0x80, v10, v7
.LBB14_7313:
	s_or_b32 exec_lo, exec_lo, vcc_lo
.LBB14_7314:
	s_delay_alu instid0(SALU_CYCLE_1)
	s_or_b32 exec_lo, exec_lo, s37
	flat_store_b8 v[8:9], v10
                                        ; implicit-def: $vgpr14
                                        ; implicit-def: $vgpr8_vgpr9
.LBB14_7315:
	s_wait_xcnt 0x0
	s_and_not1_saveexec_b32 s36, s36
	s_cbranch_execz .LBB14_7325
; %bb.7316:
	v_and_b32_e32 v10, 0x7fffffff, v14
	s_mov_b32 s37, exec_lo
                                        ; implicit-def: $vgpr7
	s_delay_alu instid0(VALU_DEP_1)
	v_cmpx_gt_u32_e32 0x43f00000, v10
	s_xor_b32 s37, exec_lo, s37
	s_cbranch_execz .LBB14_7322
; %bb.7317:
	s_mov_b32 s38, exec_lo
                                        ; implicit-def: $vgpr7
	v_cmpx_lt_u32_e32 0x3c7fffff, v10
	s_xor_b32 s38, exec_lo, s38
; %bb.7318:
	v_bfe_u32 v7, v14, 20, 1
	s_delay_alu instid0(VALU_DEP_1) | instskip(NEXT) | instid1(VALU_DEP_1)
	v_add3_u32 v7, v14, v7, 0x407ffff
	v_and_b32_e32 v10, 0xff00000, v7
	v_lshrrev_b32_e32 v7, 20, v7
	s_delay_alu instid0(VALU_DEP_2) | instskip(NEXT) | instid1(VALU_DEP_2)
	v_cmp_ne_u32_e32 vcc_lo, 0x7f00000, v10
	v_cndmask_b32_e32 v7, 0x7e, v7, vcc_lo
; %bb.7319:
	s_and_not1_saveexec_b32 vcc_lo, s38
; %bb.7320:
	v_add_f32_e64 v7, 0x46800000, |v14|
; %bb.7321:
	s_or_b32 exec_lo, exec_lo, vcc_lo
                                        ; implicit-def: $vgpr10
.LBB14_7322:
	s_and_not1_saveexec_b32 s37, s37
; %bb.7323:
	v_mov_b32_e32 v7, 0x7f
	v_cmp_lt_u32_e32 vcc_lo, 0x7f800000, v10
	s_delay_alu instid0(VALU_DEP_2)
	v_cndmask_b32_e32 v7, 0x7e, v7, vcc_lo
; %bb.7324:
	s_or_b32 exec_lo, exec_lo, s37
	v_lshrrev_b32_e32 v10, 24, v14
	s_delay_alu instid0(VALU_DEP_1)
	v_and_or_b32 v7, 0x80, v10, v7
	flat_store_b8 v[8:9], v7
.LBB14_7325:
	s_wait_xcnt 0x0
	s_or_b32 exec_lo, exec_lo, s36
                                        ; implicit-def: $vgpr14
                                        ; implicit-def: $vgpr8_vgpr9
.LBB14_7326:
	s_and_not1_saveexec_b32 s35, s35
	s_cbranch_execz .LBB14_7336
; %bb.7327:
	v_and_b32_e32 v10, 0x7fffffff, v14
	s_mov_b32 s36, exec_lo
                                        ; implicit-def: $vgpr7
	s_delay_alu instid0(VALU_DEP_1)
	v_cmpx_gt_u32_e32 0x47800000, v10
	s_xor_b32 s36, exec_lo, s36
	s_cbranch_execz .LBB14_7333
; %bb.7328:
	v_cmp_lt_u32_e32 vcc_lo, 0x387fffff, v10
                                        ; implicit-def: $vgpr7
	s_and_saveexec_b32 s37, vcc_lo
	s_delay_alu instid0(SALU_CYCLE_1)
	s_xor_b32 vcc_lo, exec_lo, s37
; %bb.7329:
	v_bfe_u32 v7, v14, 21, 1
	s_delay_alu instid0(VALU_DEP_1) | instskip(NEXT) | instid1(VALU_DEP_1)
	v_add3_u32 v7, v14, v7, 0x80fffff
	v_lshrrev_b32_e32 v7, 21, v7
; %bb.7330:
	s_and_not1_saveexec_b32 vcc_lo, vcc_lo
; %bb.7331:
	v_add_f32_e64 v7, 0x43000000, |v14|
; %bb.7332:
	s_or_b32 exec_lo, exec_lo, vcc_lo
                                        ; implicit-def: $vgpr10
.LBB14_7333:
	s_and_not1_saveexec_b32 s36, s36
; %bb.7334:
	v_mov_b32_e32 v7, 0x7f
	v_cmp_lt_u32_e32 vcc_lo, 0x7f800000, v10
	s_delay_alu instid0(VALU_DEP_2)
	v_cndmask_b32_e32 v7, 0x7c, v7, vcc_lo
; %bb.7335:
	s_or_b32 exec_lo, exec_lo, s36
	v_lshrrev_b32_e32 v10, 24, v14
	s_delay_alu instid0(VALU_DEP_1)
	v_and_or_b32 v7, 0x80, v10, v7
	flat_store_b8 v[8:9], v7
.LBB14_7336:
	s_wait_xcnt 0x0
	s_or_b32 exec_lo, exec_lo, s35
	s_delay_alu instid0(SALU_CYCLE_1)
	s_or_b32 s35, s0, exec_lo
                                        ; implicit-def: $vgpr7
                                        ; implicit-def: $vgpr14
                                        ; implicit-def: $vgpr8_vgpr9
.LBB14_7337:
	s_or_saveexec_b32 s34, s34
	s_mov_b32 vcc_lo, s30
	s_xor_b32 exec_lo, exec_lo, s34
	s_cbranch_execz .LBB14_7347
; %bb.7338:
	s_mov_b32 s36, s35
	s_mov_b32 s37, s30
	s_mov_b32 s38, exec_lo
	v_cmpx_lt_i16_e32 14, v7
	s_xor_b32 s38, exec_lo, s38
	s_cbranch_execz .LBB14_7342
; %bb.7339:
	s_mov_b32 s39, -1
	s_mov_b32 s36, s35
	s_mov_b32 s37, exec_lo
	v_cmpx_eq_u16_e32 15, v7
	s_cbranch_execz .LBB14_7341
; %bb.7340:
	v_bfe_u32 v7, v14, 16, 1
	v_cmp_o_f32_e32 vcc_lo, v14, v14
	s_xor_b32 s39, exec_lo, -1
	s_or_b32 s36, s35, exec_lo
	s_delay_alu instid0(VALU_DEP_2) | instskip(NEXT) | instid1(VALU_DEP_1)
	v_add3_u32 v7, v14, v7, 0x7fff
	v_lshrrev_b32_e32 v7, 16, v7
	s_delay_alu instid0(VALU_DEP_1)
	v_cndmask_b32_e32 v7, 0x7fc0, v7, vcc_lo
	flat_store_b16 v[8:9], v7
.LBB14_7341:
	s_wait_xcnt 0x0
	s_or_b32 exec_lo, exec_lo, s37
	s_delay_alu instid0(SALU_CYCLE_1)
	s_and_not1_b32 vcc_lo, s30, exec_lo
	s_and_b32 s37, s39, exec_lo
	s_and_not1_b32 s39, s35, exec_lo
	s_and_b32 s36, s36, exec_lo
	s_or_b32 s37, vcc_lo, s37
	s_or_b32 s36, s39, s36
                                        ; implicit-def: $vgpr7
                                        ; implicit-def: $vgpr14
                                        ; implicit-def: $vgpr8_vgpr9
.LBB14_7342:
	s_and_not1_saveexec_b32 s38, s38
	s_cbranch_execz .LBB14_7346
; %bb.7343:
	s_mov_b32 s48, -1
	s_mov_b32 s39, s36
	s_mov_b32 s49, exec_lo
	v_cmpx_eq_u16_e32 11, v7
	s_cbranch_execz .LBB14_7345
; %bb.7344:
	v_cmp_neq_f32_e32 vcc_lo, 0, v14
	s_xor_b32 s48, exec_lo, -1
	s_or_b32 s39, s36, exec_lo
	v_cndmask_b32_e64 v7, 0, 1, vcc_lo
	flat_store_b8 v[8:9], v7
.LBB14_7345:
	s_wait_xcnt 0x0
	s_or_b32 exec_lo, exec_lo, s49
	s_delay_alu instid0(SALU_CYCLE_1)
	s_and_not1_b32 vcc_lo, s37, exec_lo
	s_and_b32 s37, s48, exec_lo
	s_and_not1_b32 s36, s36, exec_lo
	s_and_b32 s39, s39, exec_lo
	s_or_b32 s37, vcc_lo, s37
	s_or_b32 s36, s36, s39
.LBB14_7346:
	s_or_b32 exec_lo, exec_lo, s38
	s_delay_alu instid0(SALU_CYCLE_1)
	s_and_not1_b32 vcc_lo, s30, exec_lo
	s_and_b32 s37, s37, exec_lo
	s_and_not1_b32 s35, s35, exec_lo
	s_and_b32 s36, s36, exec_lo
	s_or_b32 vcc_lo, vcc_lo, s37
	s_or_b32 s35, s35, s36
.LBB14_7347:
	s_or_b32 exec_lo, exec_lo, s34
	s_delay_alu instid0(SALU_CYCLE_1)
	s_and_not1_b32 s30, s30, exec_lo
	s_and_b32 vcc_lo, vcc_lo, exec_lo
	s_and_not1_b32 s0, s0, exec_lo
	s_and_b32 s34, s35, exec_lo
	s_or_b32 s30, s30, vcc_lo
	s_or_b32 s0, s0, s34
.LBB14_7348:
	s_or_b32 exec_lo, exec_lo, s31
	s_delay_alu instid0(SALU_CYCLE_1)
	s_and_not1_b32 vcc_lo, s92, exec_lo
	s_and_b32 s30, s30, exec_lo
	s_and_b32 s0, s0, exec_lo
	s_or_b32 s30, vcc_lo, s30
                                        ; implicit-def: $vgpr7
                                        ; implicit-def: $vgpr14
                                        ; implicit-def: $vgpr8_vgpr9
.LBB14_7349:
	s_and_not1_saveexec_b32 s94, s94
	s_cbranch_execz .LBB14_7391
; %bb.7350:
	s_mov_b32 s31, exec_lo
	v_cmpx_lt_i16_e32 4, v7
	s_xor_b32 s31, exec_lo, s31
	s_cbranch_execz .LBB14_7372
; %bb.7351:
	s_mov_b32 s34, exec_lo
	v_cmpx_lt_i16_e32 7, v7
	s_xor_b32 s34, exec_lo, s34
	;; [unrolled: 5-line block ×3, first 2 shown]
	s_cbranch_execz .LBB14_7358
; %bb.7353:
	v_cmp_lt_i16_e32 vcc_lo, 9, v7
	s_and_saveexec_b32 s36, vcc_lo
	s_delay_alu instid0(SALU_CYCLE_1)
	s_xor_b32 vcc_lo, exec_lo, s36
	s_cbranch_execz .LBB14_7355
; %bb.7354:
	v_cvt_f64_f32_e32 v[18:19], v14
	v_mov_b32_e32 v20, 0
                                        ; implicit-def: $vgpr14
	s_delay_alu instid0(VALU_DEP_1)
	v_mov_b32_e32 v21, v20
	flat_store_b128 v[8:9], v[18:21]
                                        ; implicit-def: $vgpr8_vgpr9
.LBB14_7355:
	s_wait_xcnt 0x0
	s_and_not1_saveexec_b32 vcc_lo, vcc_lo
	s_cbranch_execz .LBB14_7357
; %bb.7356:
	v_mov_b32_e32 v15, 0
	flat_store_b64 v[8:9], v[14:15]
.LBB14_7357:
	s_wait_xcnt 0x0
	s_or_b32 exec_lo, exec_lo, vcc_lo
                                        ; implicit-def: $vgpr14
                                        ; implicit-def: $vgpr8_vgpr9
.LBB14_7358:
	s_and_not1_saveexec_b32 vcc_lo, s35
	s_cbranch_execz .LBB14_7360
; %bb.7359:
	v_cvt_f16_f32_e32 v7, v14
	s_delay_alu instid0(VALU_DEP_1)
	v_and_b32_e32 v7, 0xffff, v7
	flat_store_b32 v[8:9], v7
.LBB14_7360:
	s_wait_xcnt 0x0
	s_or_b32 exec_lo, exec_lo, vcc_lo
                                        ; implicit-def: $vgpr14
                                        ; implicit-def: $vgpr8_vgpr9
                                        ; implicit-def: $vgpr7
.LBB14_7361:
	s_and_not1_saveexec_b32 s34, s34
	s_cbranch_execz .LBB14_7371
; %bb.7362:
	s_mov_b32 s35, exec_lo
	v_cmpx_lt_i16_e32 5, v7
	s_xor_b32 s35, exec_lo, s35
	s_cbranch_execz .LBB14_7368
; %bb.7363:
	v_cmp_lt_i16_e32 vcc_lo, 6, v7
	s_and_saveexec_b32 s36, vcc_lo
	s_delay_alu instid0(SALU_CYCLE_1)
	s_xor_b32 vcc_lo, exec_lo, s36
	s_cbranch_execz .LBB14_7365
; %bb.7364:
	v_cvt_f64_f32_e32 v[14:15], v14
	flat_store_b64 v[8:9], v[14:15]
                                        ; implicit-def: $vgpr8_vgpr9
                                        ; implicit-def: $vgpr14
.LBB14_7365:
	s_wait_xcnt 0x0
	s_and_not1_saveexec_b32 vcc_lo, vcc_lo
	s_cbranch_execz .LBB14_7367
; %bb.7366:
	flat_store_b32 v[8:9], v14
.LBB14_7367:
	s_wait_xcnt 0x0
	s_or_b32 exec_lo, exec_lo, vcc_lo
                                        ; implicit-def: $vgpr14
                                        ; implicit-def: $vgpr8_vgpr9
.LBB14_7368:
	s_and_not1_saveexec_b32 vcc_lo, s35
	s_cbranch_execz .LBB14_7370
; %bb.7369:
	v_cvt_f16_f32_e32 v7, v14
	flat_store_b16 v[8:9], v7
.LBB14_7370:
	s_wait_xcnt 0x0
	s_or_b32 exec_lo, exec_lo, vcc_lo
.LBB14_7371:
	s_delay_alu instid0(SALU_CYCLE_1)
	s_or_b32 exec_lo, exec_lo, s34
                                        ; implicit-def: $vgpr7
                                        ; implicit-def: $vgpr14
                                        ; implicit-def: $vgpr8_vgpr9
.LBB14_7372:
	s_and_not1_saveexec_b32 s31, s31
	s_cbranch_execz .LBB14_7390
; %bb.7373:
	s_mov_b32 s34, exec_lo
	v_cmpx_lt_i16_e32 1, v7
	s_xor_b32 s34, exec_lo, s34
	s_cbranch_execz .LBB14_7383
; %bb.7374:
	s_mov_b32 s35, exec_lo
	v_cmpx_lt_i16_e32 2, v7
	s_xor_b32 s35, exec_lo, s35
	s_cbranch_execz .LBB14_7380
; %bb.7375:
	v_cmp_lt_i16_e32 vcc_lo, 3, v7
	s_and_saveexec_b32 s36, vcc_lo
	s_delay_alu instid0(SALU_CYCLE_1)
	s_xor_b32 vcc_lo, exec_lo, s36
	s_cbranch_execz .LBB14_7377
; %bb.7376:
	v_trunc_f32_e32 v7, v14
	s_delay_alu instid0(VALU_DEP_1) | instskip(SKIP_1) | instid1(VALU_DEP_2)
	v_mul_f32_e64 v10, 0x2f800000, |v7|
	v_ashrrev_i32_e32 v14, 31, v7
	v_floor_f32_e32 v10, v10
	s_delay_alu instid0(VALU_DEP_1) | instskip(SKIP_1) | instid1(VALU_DEP_2)
	v_fma_f32 v15, 0xcf800000, v10, |v7|
	v_cvt_u32_f32_e32 v7, v10
	v_cvt_u32_f32_e32 v10, v15
	s_delay_alu instid0(VALU_DEP_2) | instskip(NEXT) | instid1(VALU_DEP_2)
	v_dual_mov_b32 v15, v14 :: v_dual_bitop2_b32 v19, v7, v14 bitop3:0x14
	v_xor_b32_e32 v18, v10, v14
	s_delay_alu instid0(VALU_DEP_1)
	v_sub_nc_u64_e32 v[14:15], v[18:19], v[14:15]
	flat_store_b64 v[8:9], v[14:15]
                                        ; implicit-def: $vgpr14
                                        ; implicit-def: $vgpr8_vgpr9
.LBB14_7377:
	s_wait_xcnt 0x0
	s_and_not1_saveexec_b32 vcc_lo, vcc_lo
	s_cbranch_execz .LBB14_7379
; %bb.7378:
	v_cvt_i32_f32_e32 v7, v14
	flat_store_b32 v[8:9], v7
.LBB14_7379:
	s_wait_xcnt 0x0
	s_or_b32 exec_lo, exec_lo, vcc_lo
                                        ; implicit-def: $vgpr14
                                        ; implicit-def: $vgpr8_vgpr9
.LBB14_7380:
	s_and_not1_saveexec_b32 vcc_lo, s35
	s_cbranch_execz .LBB14_7382
; %bb.7381:
	v_cvt_i32_f32_e32 v7, v14
	flat_store_b16 v[8:9], v7
.LBB14_7382:
	s_wait_xcnt 0x0
	s_or_b32 exec_lo, exec_lo, vcc_lo
                                        ; implicit-def: $vgpr14
                                        ; implicit-def: $vgpr8_vgpr9
                                        ; implicit-def: $vgpr7
.LBB14_7383:
	s_and_not1_saveexec_b32 s34, s34
	s_cbranch_execz .LBB14_7389
; %bb.7384:
	v_cmp_lt_i16_e32 vcc_lo, 0, v7
	s_and_saveexec_b32 s35, vcc_lo
	s_delay_alu instid0(SALU_CYCLE_1)
	s_xor_b32 vcc_lo, exec_lo, s35
	s_cbranch_execz .LBB14_7386
; %bb.7385:
	v_cvt_i32_f32_e32 v7, v14
                                        ; implicit-def: $vgpr14
	flat_store_b8 v[8:9], v7
                                        ; implicit-def: $vgpr8_vgpr9
.LBB14_7386:
	s_wait_xcnt 0x0
	s_and_not1_saveexec_b32 vcc_lo, vcc_lo
	s_cbranch_execz .LBB14_7388
; %bb.7387:
	v_trunc_f32_e32 v7, v14
	s_delay_alu instid0(VALU_DEP_1) | instskip(NEXT) | instid1(VALU_DEP_1)
	v_mul_f32_e64 v10, 0x2f800000, |v7|
	v_floor_f32_e32 v10, v10
	s_delay_alu instid0(VALU_DEP_1) | instskip(SKIP_1) | instid1(VALU_DEP_2)
	v_fma_f32 v10, 0xcf800000, v10, |v7|
	v_ashrrev_i32_e32 v7, 31, v7
	v_cvt_u32_f32_e32 v10, v10
	s_delay_alu instid0(VALU_DEP_1) | instskip(NEXT) | instid1(VALU_DEP_1)
	v_xor_b32_e32 v10, v10, v7
	v_sub_nc_u32_e32 v7, v10, v7
	flat_store_b8 v[8:9], v7
.LBB14_7388:
	s_wait_xcnt 0x0
	s_or_b32 exec_lo, exec_lo, vcc_lo
.LBB14_7389:
	s_delay_alu instid0(SALU_CYCLE_1)
	s_or_b32 exec_lo, exec_lo, s34
.LBB14_7390:
	s_delay_alu instid0(SALU_CYCLE_1) | instskip(NEXT) | instid1(SALU_CYCLE_1)
	s_or_b32 exec_lo, exec_lo, s31
	s_or_b32 s0, s0, exec_lo
.LBB14_7391:
	s_or_b32 exec_lo, exec_lo, s94
	s_mov_b32 s31, 0
	s_mov_b32 s94, 0
	s_and_saveexec_b32 s34, s0
; %bb.7392:
	v_add_nc_u32_e32 v13, 0x200, v13
	s_mov_b32 s31, exec_lo
	s_delay_alu instid0(VALU_DEP_1)
	v_cmp_lt_i32_e32 vcc_lo, v13, v6
	s_and_b32 s94, vcc_lo, exec_lo
; %bb.7393:
	s_or_b32 exec_lo, exec_lo, s34
	s_delay_alu instid0(SALU_CYCLE_1)
	s_and_not1_b32 s0, s92, exec_lo
	s_and_b32 s30, s30, exec_lo
	s_and_b32 vcc_lo, s94, exec_lo
	s_or_b32 s94, s0, s30
	s_or_not1_b32 s31, s31, exec_lo
.LBB14_7394:
	s_or_b32 exec_lo, exec_lo, s95
	s_mov_b32 s0, 0
	s_mov_b32 s30, 0
                                        ; implicit-def: $vgpr8
                                        ; implicit-def: $vgpr7
                                        ; implicit-def: $vgpr38_vgpr39
	s_and_saveexec_b32 s95, s31
	s_cbranch_execz .LBB14_7736
; %bb.7395:
	s_mov_b32 s36, -1
	s_mov_b32 s31, 0
	s_mov_b32 vcc_hi, s94
	s_and_saveexec_b32 s30, vcc_lo
	s_cbranch_execz .LBB14_7523
; %bb.7396:
	v_dual_add_nc_u32 v7, s2, v13 :: v_dual_mov_b32 v9, 0
	s_wait_loadcnt 0x1
	v_mul_f32_e32 v10, v16, v17
	v_cmp_lt_f32_e32 vcc_lo, 0, v17
	s_mov_b32 s34, s94
	v_mul_lo_u32 v8, v7, v12
	v_and_b32_e32 v7, 0xff, v11
	s_mov_b32 vcc_hi, exec_lo
	v_cndmask_b32_e32 v14, v10, v17, vcc_lo
	s_delay_alu instid0(VALU_DEP_3) | instskip(NEXT) | instid1(VALU_DEP_3)
	v_add_nc_u64_e32 v[8:9], v[0:1], v[8:9]
	v_cmpx_lt_i16_e32 10, v7
	s_xor_b32 vcc_hi, exec_lo, vcc_hi
	s_cbranch_execz .LBB14_7478
; %bb.7397:
	s_mov_b32 s34, s94
	s_mov_b32 s35, exec_lo
	v_cmpx_lt_i16_e32 25, v7
	s_xor_b32 s35, exec_lo, s35
	s_cbranch_execz .LBB14_7433
; %bb.7398:
	s_mov_b32 s36, s94
	s_mov_b32 s34, exec_lo
	v_cmpx_lt_i16_e32 28, v7
	s_xor_b32 s34, exec_lo, s34
	;; [unrolled: 6-line block ×3, first 2 shown]
	s_cbranch_execz .LBB14_7411
; %bb.7400:
	s_mov_b32 s37, 0
	s_mov_b32 s38, s94
	s_mov_b32 s0, exec_lo
	v_cmpx_lt_i16_e32 45, v7
	s_xor_b32 s0, exec_lo, s0
	s_cbranch_execz .LBB14_7404
; %bb.7401:
	s_mov_b32 s39, -1
	s_mov_b32 s38, exec_lo
	v_cmpx_eq_u16_e32 46, v7
	s_cbranch_execz .LBB14_7403
; %bb.7402:
	v_bfe_u32 v7, v14, 16, 1
	v_cmp_o_f32_e32 vcc_lo, v14, v14
	s_mov_b32 s37, exec_lo
	s_xor_b32 s39, exec_lo, -1
	s_delay_alu instid0(VALU_DEP_2) | instskip(NEXT) | instid1(VALU_DEP_1)
	v_add3_u32 v7, v14, v7, 0x7fff
	v_lshrrev_b32_e32 v7, 16, v7
	s_delay_alu instid0(VALU_DEP_1)
	v_cndmask_b32_e32 v7, 0x7fc0, v7, vcc_lo
	flat_store_b32 v[8:9], v7
.LBB14_7403:
	s_wait_xcnt 0x0
	s_or_b32 exec_lo, exec_lo, s38
	s_delay_alu instid0(SALU_CYCLE_1)
	s_and_not1_b32 vcc_lo, s94, exec_lo
	s_and_b32 s38, s39, exec_lo
	s_and_b32 s37, s37, exec_lo
	s_or_b32 s38, vcc_lo, s38
                                        ; implicit-def: $vgpr7
                                        ; implicit-def: $vgpr8_vgpr9
                                        ; implicit-def: $vgpr14
.LBB14_7404:
	s_and_not1_saveexec_b32 s39, s0
	s_cbranch_execz .LBB14_7410
; %bb.7405:
	s_mov_b32 s49, -1
	s_mov_b32 s0, s37
	s_mov_b32 s48, exec_lo
	v_cmpx_eq_u16_e32 44, v7
	s_cbranch_execz .LBB14_7409
; %bb.7406:
	v_bfe_u32 v10, v14, 23, 8
	v_mov_b32_e32 v7, 0xff
	s_mov_b32 s49, exec_lo
	s_delay_alu instid0(VALU_DEP_2)
	v_cmpx_ne_u32_e32 0xff, v10
	s_cbranch_execz .LBB14_7408
; %bb.7407:
	v_and_b32_e32 v7, 0x400000, v14
	v_and_or_b32 v10, 0x3fffff, v14, v10
	s_delay_alu instid0(VALU_DEP_2) | instskip(NEXT) | instid1(VALU_DEP_2)
	v_cmp_ne_u32_e32 vcc_lo, 0, v7
	v_cmp_ne_u32_e64 s0, 0, v10
	v_lshrrev_b32_e32 v7, 23, v14
	s_and_b32 s0, vcc_lo, s0
	s_delay_alu instid0(SALU_CYCLE_1) | instskip(NEXT) | instid1(VALU_DEP_1)
	v_cndmask_b32_e64 v10, 0, 1, s0
	v_add_nc_u32_e32 v7, v7, v10
.LBB14_7408:
	s_or_b32 exec_lo, exec_lo, s49
	s_delay_alu instid0(SALU_CYCLE_1)
	s_xor_b32 s49, exec_lo, -1
	s_or_b32 s0, s37, exec_lo
	flat_store_b8 v[8:9], v7
.LBB14_7409:
	s_wait_xcnt 0x0
	s_or_b32 exec_lo, exec_lo, s48
	s_delay_alu instid0(SALU_CYCLE_1)
	s_and_not1_b32 vcc_lo, s38, exec_lo
	s_and_b32 s38, s49, exec_lo
	s_and_not1_b32 s37, s37, exec_lo
	s_and_b32 s0, s0, exec_lo
	s_or_b32 s38, vcc_lo, s38
	s_or_b32 s37, s37, s0
.LBB14_7410:
	s_or_b32 exec_lo, exec_lo, s39
	s_delay_alu instid0(SALU_CYCLE_1) | instskip(SKIP_1) | instid1(SALU_CYCLE_1)
	s_and_not1_b32 s0, s94, exec_lo
	s_and_b32 vcc_lo, s38, exec_lo
                                        ; implicit-def: $vgpr7
                                        ; implicit-def: $vgpr14
                                        ; implicit-def: $vgpr8_vgpr9
	s_or_b32 s38, s0, vcc_lo
	s_and_b32 s0, s37, exec_lo
.LBB14_7411:
	s_and_not1_saveexec_b32 s36, s36
	s_cbranch_execz .LBB14_7415
; %bb.7412:
	s_mov_b32 s48, -1
	s_mov_b32 s39, s0
	s_mov_b32 s37, exec_lo
	v_cmpx_eq_u16_e32 29, v7
	s_cbranch_execz .LBB14_7414
; %bb.7413:
	v_trunc_f32_e32 v7, v14
	s_xor_b32 s48, exec_lo, -1
	s_or_b32 s39, s0, exec_lo
	s_delay_alu instid0(VALU_DEP_1) | instskip(NEXT) | instid1(VALU_DEP_1)
	v_mul_f32_e32 v10, 0x2f800000, v7
	v_floor_f32_e32 v10, v10
	s_delay_alu instid0(VALU_DEP_1) | instskip(SKIP_1) | instid1(VALU_DEP_2)
	v_fmamk_f32 v7, v10, 0xcf800000, v7
	v_cvt_u32_f32_e32 v15, v10
	v_cvt_u32_f32_e32 v14, v7
	flat_store_b64 v[8:9], v[14:15]
.LBB14_7414:
	s_wait_xcnt 0x0
	s_or_b32 exec_lo, exec_lo, s37
	s_delay_alu instid0(SALU_CYCLE_1)
	s_and_not1_b32 vcc_lo, s38, exec_lo
	s_and_b32 s37, s48, exec_lo
	s_and_not1_b32 s0, s0, exec_lo
	s_and_b32 s39, s39, exec_lo
	s_or_b32 s38, vcc_lo, s37
	s_or_b32 s0, s0, s39
.LBB14_7415:
	s_or_b32 exec_lo, exec_lo, s36
	s_delay_alu instid0(SALU_CYCLE_1)
	s_and_not1_b32 vcc_lo, s94, exec_lo
	s_and_b32 s36, s38, exec_lo
	s_and_b32 s0, s0, exec_lo
	s_or_b32 s36, vcc_lo, s36
                                        ; implicit-def: $vgpr8_vgpr9
                                        ; implicit-def: $vgpr7
                                        ; implicit-def: $vgpr14
.LBB14_7416:
	s_and_not1_saveexec_b32 s34, s34
	s_cbranch_execz .LBB14_7432
; %bb.7417:
	s_mov_b32 s37, exec_lo
	v_cmpx_lt_i16_e32 26, v7
	s_xor_b32 s37, exec_lo, s37
	s_cbranch_execz .LBB14_7423
; %bb.7418:
	v_cmp_lt_i16_e32 vcc_lo, 27, v7
	v_cvt_u32_f32_e32 v7, v14
	s_and_saveexec_b32 s38, vcc_lo
	s_delay_alu instid0(SALU_CYCLE_1)
	s_xor_b32 vcc_lo, exec_lo, s38
	s_cbranch_execz .LBB14_7420
; %bb.7419:
	flat_store_b32 v[8:9], v7
                                        ; implicit-def: $vgpr8_vgpr9
                                        ; implicit-def: $vgpr7
.LBB14_7420:
	s_wait_xcnt 0x0
	s_and_not1_saveexec_b32 vcc_lo, vcc_lo
	s_cbranch_execz .LBB14_7422
; %bb.7421:
	flat_store_b16 v[8:9], v7
.LBB14_7422:
	s_wait_xcnt 0x0
	s_or_b32 exec_lo, exec_lo, vcc_lo
                                        ; implicit-def: $vgpr8_vgpr9
                                        ; implicit-def: $vgpr14
.LBB14_7423:
	s_and_not1_saveexec_b32 s37, s37
	s_cbranch_execz .LBB14_7431
; %bb.7424:
	v_and_b32_e32 v7, 0x7fffffff, v14
	v_mov_b32_e32 v10, 0x80
	s_mov_b32 s38, exec_lo
	s_delay_alu instid0(VALU_DEP_2)
	v_cmpx_gt_u32_e32 0x43800000, v7
	s_cbranch_execz .LBB14_7430
; %bb.7425:
	v_cmp_lt_u32_e32 vcc_lo, 0x3bffffff, v7
	s_mov_b32 s39, 0
                                        ; implicit-def: $vgpr7
	s_and_saveexec_b32 s48, vcc_lo
	s_delay_alu instid0(SALU_CYCLE_1)
	s_xor_b32 vcc_lo, exec_lo, s48
	s_cbranch_execnz .LBB14_7931
; %bb.7426:
	s_and_not1_saveexec_b32 s48, vcc_lo
	s_cbranch_execnz .LBB14_7932
.LBB14_7427:
	s_or_b32 exec_lo, exec_lo, s48
	v_mov_b32_e32 v10, 0
	s_and_saveexec_b32 vcc_lo, s39
.LBB14_7428:
	v_lshrrev_b32_e32 v10, 24, v14
	s_delay_alu instid0(VALU_DEP_1)
	v_and_or_b32 v10, 0x80, v10, v7
.LBB14_7429:
	s_or_b32 exec_lo, exec_lo, vcc_lo
.LBB14_7430:
	s_delay_alu instid0(SALU_CYCLE_1)
	s_or_b32 exec_lo, exec_lo, s38
	flat_store_b8 v[8:9], v10
.LBB14_7431:
	s_wait_xcnt 0x0
	s_or_b32 exec_lo, exec_lo, s37
	s_delay_alu instid0(SALU_CYCLE_1)
	s_or_b32 s0, s0, exec_lo
.LBB14_7432:
	s_or_b32 exec_lo, exec_lo, s34
	s_delay_alu instid0(SALU_CYCLE_1)
	s_and_not1_b32 vcc_lo, s94, exec_lo
	s_and_b32 s34, s36, exec_lo
	s_and_b32 s0, s0, exec_lo
	s_or_b32 s34, vcc_lo, s34
                                        ; implicit-def: $vgpr7
                                        ; implicit-def: $vgpr14
                                        ; implicit-def: $vgpr8_vgpr9
.LBB14_7433:
	s_and_not1_saveexec_b32 s35, s35
	s_cbranch_execz .LBB14_7477
; %bb.7434:
	s_mov_b32 s37, s0
	s_mov_b32 s36, exec_lo
	v_cmpx_lt_i16_e32 22, v7
	s_xor_b32 s36, exec_lo, s36
	s_cbranch_execz .LBB14_7466
; %bb.7435:
	s_mov_b32 s37, exec_lo
	v_cmpx_lt_i16_e32 23, v7
	s_xor_b32 s37, exec_lo, s37
	s_cbranch_execz .LBB14_7455
; %bb.7436:
	;; [unrolled: 5-line block ×3, first 2 shown]
	v_and_b32_e32 v7, 0x7fffffff, v14
	v_mov_b32_e32 v10, 0x80
	s_mov_b32 s39, exec_lo
	s_delay_alu instid0(VALU_DEP_2)
	v_cmpx_gt_u32_e32 0x47800000, v7
	s_cbranch_execz .LBB14_7443
; %bb.7438:
	v_cmp_lt_u32_e32 vcc_lo, 0x37ffffff, v7
	s_mov_b32 s48, 0
                                        ; implicit-def: $vgpr7
	s_and_saveexec_b32 s49, vcc_lo
	s_delay_alu instid0(SALU_CYCLE_1)
	s_xor_b32 vcc_lo, exec_lo, s49
	s_cbranch_execnz .LBB14_7933
; %bb.7439:
	s_and_not1_saveexec_b32 s49, vcc_lo
	s_cbranch_execnz .LBB14_7934
.LBB14_7440:
	s_or_b32 exec_lo, exec_lo, s49
	v_mov_b32_e32 v10, 0
	s_and_saveexec_b32 vcc_lo, s48
.LBB14_7441:
	v_lshrrev_b32_e32 v10, 24, v14
	s_delay_alu instid0(VALU_DEP_1)
	v_and_or_b32 v10, 0x80, v10, v7
.LBB14_7442:
	s_or_b32 exec_lo, exec_lo, vcc_lo
.LBB14_7443:
	s_delay_alu instid0(SALU_CYCLE_1)
	s_or_b32 exec_lo, exec_lo, s39
	flat_store_b8 v[8:9], v10
                                        ; implicit-def: $vgpr14
                                        ; implicit-def: $vgpr8_vgpr9
.LBB14_7444:
	s_wait_xcnt 0x0
	s_and_not1_saveexec_b32 s38, s38
	s_cbranch_execz .LBB14_7454
; %bb.7445:
	v_and_b32_e32 v10, 0x7fffffff, v14
	s_mov_b32 s39, exec_lo
                                        ; implicit-def: $vgpr7
	s_delay_alu instid0(VALU_DEP_1)
	v_cmpx_gt_u32_e32 0x43f00000, v10
	s_xor_b32 s39, exec_lo, s39
	s_cbranch_execz .LBB14_7451
; %bb.7446:
	s_mov_b32 s48, exec_lo
                                        ; implicit-def: $vgpr7
	v_cmpx_lt_u32_e32 0x3c7fffff, v10
	s_xor_b32 s48, exec_lo, s48
; %bb.7447:
	v_bfe_u32 v7, v14, 20, 1
	s_delay_alu instid0(VALU_DEP_1) | instskip(NEXT) | instid1(VALU_DEP_1)
	v_add3_u32 v7, v14, v7, 0x407ffff
	v_and_b32_e32 v10, 0xff00000, v7
	v_lshrrev_b32_e32 v7, 20, v7
	s_delay_alu instid0(VALU_DEP_2) | instskip(NEXT) | instid1(VALU_DEP_2)
	v_cmp_ne_u32_e32 vcc_lo, 0x7f00000, v10
	v_cndmask_b32_e32 v7, 0x7e, v7, vcc_lo
; %bb.7448:
	s_and_not1_saveexec_b32 vcc_lo, s48
; %bb.7449:
	v_add_f32_e64 v7, 0x46800000, |v14|
; %bb.7450:
	s_or_b32 exec_lo, exec_lo, vcc_lo
                                        ; implicit-def: $vgpr10
.LBB14_7451:
	s_and_not1_saveexec_b32 s39, s39
; %bb.7452:
	v_mov_b32_e32 v7, 0x7f
	v_cmp_lt_u32_e32 vcc_lo, 0x7f800000, v10
	s_delay_alu instid0(VALU_DEP_2)
	v_cndmask_b32_e32 v7, 0x7e, v7, vcc_lo
; %bb.7453:
	s_or_b32 exec_lo, exec_lo, s39
	v_lshrrev_b32_e32 v10, 24, v14
	s_delay_alu instid0(VALU_DEP_1)
	v_and_or_b32 v7, 0x80, v10, v7
	flat_store_b8 v[8:9], v7
.LBB14_7454:
	s_wait_xcnt 0x0
	s_or_b32 exec_lo, exec_lo, s38
                                        ; implicit-def: $vgpr14
                                        ; implicit-def: $vgpr8_vgpr9
.LBB14_7455:
	s_and_not1_saveexec_b32 s37, s37
	s_cbranch_execz .LBB14_7465
; %bb.7456:
	v_and_b32_e32 v10, 0x7fffffff, v14
	s_mov_b32 s38, exec_lo
                                        ; implicit-def: $vgpr7
	s_delay_alu instid0(VALU_DEP_1)
	v_cmpx_gt_u32_e32 0x47800000, v10
	s_xor_b32 s38, exec_lo, s38
	s_cbranch_execz .LBB14_7462
; %bb.7457:
	v_cmp_lt_u32_e32 vcc_lo, 0x387fffff, v10
                                        ; implicit-def: $vgpr7
	s_and_saveexec_b32 s39, vcc_lo
	s_delay_alu instid0(SALU_CYCLE_1)
	s_xor_b32 vcc_lo, exec_lo, s39
; %bb.7458:
	v_bfe_u32 v7, v14, 21, 1
	s_delay_alu instid0(VALU_DEP_1) | instskip(NEXT) | instid1(VALU_DEP_1)
	v_add3_u32 v7, v14, v7, 0x80fffff
	v_lshrrev_b32_e32 v7, 21, v7
; %bb.7459:
	s_and_not1_saveexec_b32 vcc_lo, vcc_lo
; %bb.7460:
	v_add_f32_e64 v7, 0x43000000, |v14|
; %bb.7461:
	s_or_b32 exec_lo, exec_lo, vcc_lo
                                        ; implicit-def: $vgpr10
.LBB14_7462:
	s_and_not1_saveexec_b32 s38, s38
; %bb.7463:
	v_mov_b32_e32 v7, 0x7f
	v_cmp_lt_u32_e32 vcc_lo, 0x7f800000, v10
	s_delay_alu instid0(VALU_DEP_2)
	v_cndmask_b32_e32 v7, 0x7c, v7, vcc_lo
; %bb.7464:
	s_or_b32 exec_lo, exec_lo, s38
	v_lshrrev_b32_e32 v10, 24, v14
	s_delay_alu instid0(VALU_DEP_1)
	v_and_or_b32 v7, 0x80, v10, v7
	flat_store_b8 v[8:9], v7
.LBB14_7465:
	s_wait_xcnt 0x0
	s_or_b32 exec_lo, exec_lo, s37
	s_delay_alu instid0(SALU_CYCLE_1)
	s_or_b32 s37, s0, exec_lo
                                        ; implicit-def: $vgpr7
                                        ; implicit-def: $vgpr14
                                        ; implicit-def: $vgpr8_vgpr9
.LBB14_7466:
	s_or_saveexec_b32 s36, s36
	s_mov_b32 vcc_lo, s34
	s_xor_b32 exec_lo, exec_lo, s36
	s_cbranch_execz .LBB14_7476
; %bb.7467:
	s_mov_b32 s38, s37
	s_mov_b32 s39, s34
	s_mov_b32 s48, exec_lo
	v_cmpx_lt_i16_e32 14, v7
	s_xor_b32 s48, exec_lo, s48
	s_cbranch_execz .LBB14_7471
; %bb.7468:
	s_mov_b32 s49, -1
	s_mov_b32 s38, s37
	s_mov_b32 s39, exec_lo
	v_cmpx_eq_u16_e32 15, v7
	s_cbranch_execz .LBB14_7470
; %bb.7469:
	v_bfe_u32 v7, v14, 16, 1
	v_cmp_o_f32_e32 vcc_lo, v14, v14
	s_xor_b32 s49, exec_lo, -1
	s_or_b32 s38, s37, exec_lo
	s_delay_alu instid0(VALU_DEP_2) | instskip(NEXT) | instid1(VALU_DEP_1)
	v_add3_u32 v7, v14, v7, 0x7fff
	v_lshrrev_b32_e32 v7, 16, v7
	s_delay_alu instid0(VALU_DEP_1)
	v_cndmask_b32_e32 v7, 0x7fc0, v7, vcc_lo
	flat_store_b16 v[8:9], v7
.LBB14_7470:
	s_wait_xcnt 0x0
	s_or_b32 exec_lo, exec_lo, s39
	s_delay_alu instid0(SALU_CYCLE_1)
	s_and_not1_b32 vcc_lo, s34, exec_lo
	s_and_b32 s39, s49, exec_lo
	s_and_not1_b32 s49, s37, exec_lo
	s_and_b32 s38, s38, exec_lo
	s_or_b32 s39, vcc_lo, s39
	s_or_b32 s38, s49, s38
                                        ; implicit-def: $vgpr7
                                        ; implicit-def: $vgpr14
                                        ; implicit-def: $vgpr8_vgpr9
.LBB14_7471:
	s_and_not1_saveexec_b32 s48, s48
	s_cbranch_execz .LBB14_7475
; %bb.7472:
	s_mov_b32 s50, -1
	s_mov_b32 s49, s38
	s_mov_b32 s51, exec_lo
	v_cmpx_eq_u16_e32 11, v7
	s_cbranch_execz .LBB14_7474
; %bb.7473:
	v_cmp_neq_f32_e32 vcc_lo, 0, v14
	s_xor_b32 s50, exec_lo, -1
	s_or_b32 s49, s38, exec_lo
	v_cndmask_b32_e64 v7, 0, 1, vcc_lo
	flat_store_b8 v[8:9], v7
.LBB14_7474:
	s_wait_xcnt 0x0
	s_or_b32 exec_lo, exec_lo, s51
	s_delay_alu instid0(SALU_CYCLE_1)
	s_and_not1_b32 vcc_lo, s39, exec_lo
	s_and_b32 s39, s50, exec_lo
	s_and_not1_b32 s38, s38, exec_lo
	s_and_b32 s49, s49, exec_lo
	s_or_b32 s39, vcc_lo, s39
	s_or_b32 s38, s38, s49
.LBB14_7475:
	s_or_b32 exec_lo, exec_lo, s48
	s_delay_alu instid0(SALU_CYCLE_1)
	s_and_not1_b32 vcc_lo, s34, exec_lo
	s_and_b32 s39, s39, exec_lo
	s_and_not1_b32 s37, s37, exec_lo
	s_and_b32 s38, s38, exec_lo
	s_or_b32 vcc_lo, vcc_lo, s39
	s_or_b32 s37, s37, s38
.LBB14_7476:
	s_or_b32 exec_lo, exec_lo, s36
	s_delay_alu instid0(SALU_CYCLE_1)
	s_and_not1_b32 s34, s34, exec_lo
	s_and_b32 vcc_lo, vcc_lo, exec_lo
	s_and_not1_b32 s0, s0, exec_lo
	s_and_b32 s36, s37, exec_lo
	s_or_b32 s34, s34, vcc_lo
	s_or_b32 s0, s0, s36
.LBB14_7477:
	s_or_b32 exec_lo, exec_lo, s35
	s_delay_alu instid0(SALU_CYCLE_1)
	s_and_not1_b32 vcc_lo, s94, exec_lo
	s_and_b32 s34, s34, exec_lo
	s_and_b32 s0, s0, exec_lo
	s_or_b32 s34, vcc_lo, s34
                                        ; implicit-def: $vgpr7
                                        ; implicit-def: $vgpr14
                                        ; implicit-def: $vgpr8_vgpr9
.LBB14_7478:
	s_and_not1_saveexec_b32 vcc_hi, vcc_hi
	s_cbranch_execz .LBB14_7520
; %bb.7479:
	s_mov_b32 s35, exec_lo
	v_cmpx_lt_i16_e32 4, v7
	s_xor_b32 s35, exec_lo, s35
	s_cbranch_execz .LBB14_7501
; %bb.7480:
	s_mov_b32 s36, exec_lo
	v_cmpx_lt_i16_e32 7, v7
	s_xor_b32 s36, exec_lo, s36
	;; [unrolled: 5-line block ×3, first 2 shown]
	s_cbranch_execz .LBB14_7487
; %bb.7482:
	v_cmp_lt_i16_e32 vcc_lo, 9, v7
	s_and_saveexec_b32 s38, vcc_lo
	s_delay_alu instid0(SALU_CYCLE_1)
	s_xor_b32 vcc_lo, exec_lo, s38
	s_cbranch_execz .LBB14_7484
; %bb.7483:
	v_cvt_f64_f32_e32 v[14:15], v14
	v_mov_b32_e32 v16, 0
	s_delay_alu instid0(VALU_DEP_1)
	v_mov_b32_e32 v17, v16
	flat_store_b128 v[8:9], v[14:17]
                                        ; implicit-def: $vgpr14
                                        ; implicit-def: $vgpr8_vgpr9
.LBB14_7484:
	s_wait_xcnt 0x0
	s_and_not1_saveexec_b32 vcc_lo, vcc_lo
	s_cbranch_execz .LBB14_7486
; %bb.7485:
	v_mov_b32_e32 v15, 0
	flat_store_b64 v[8:9], v[14:15]
.LBB14_7486:
	s_wait_xcnt 0x0
	s_or_b32 exec_lo, exec_lo, vcc_lo
                                        ; implicit-def: $vgpr14
                                        ; implicit-def: $vgpr8_vgpr9
.LBB14_7487:
	s_and_not1_saveexec_b32 vcc_lo, s37
	s_cbranch_execz .LBB14_7489
; %bb.7488:
	v_cvt_f16_f32_e32 v7, v14
	s_delay_alu instid0(VALU_DEP_1)
	v_and_b32_e32 v7, 0xffff, v7
	flat_store_b32 v[8:9], v7
.LBB14_7489:
	s_wait_xcnt 0x0
	s_or_b32 exec_lo, exec_lo, vcc_lo
                                        ; implicit-def: $vgpr14
                                        ; implicit-def: $vgpr8_vgpr9
                                        ; implicit-def: $vgpr7
.LBB14_7490:
	s_and_not1_saveexec_b32 s36, s36
	s_cbranch_execz .LBB14_7500
; %bb.7491:
	s_mov_b32 s37, exec_lo
	v_cmpx_lt_i16_e32 5, v7
	s_xor_b32 s37, exec_lo, s37
	s_cbranch_execz .LBB14_7497
; %bb.7492:
	v_cmp_lt_i16_e32 vcc_lo, 6, v7
	s_and_saveexec_b32 s38, vcc_lo
	s_delay_alu instid0(SALU_CYCLE_1)
	s_xor_b32 vcc_lo, exec_lo, s38
	s_cbranch_execz .LBB14_7494
; %bb.7493:
	v_cvt_f64_f32_e32 v[14:15], v14
	flat_store_b64 v[8:9], v[14:15]
                                        ; implicit-def: $vgpr8_vgpr9
                                        ; implicit-def: $vgpr14
.LBB14_7494:
	s_wait_xcnt 0x0
	s_and_not1_saveexec_b32 vcc_lo, vcc_lo
	s_cbranch_execz .LBB14_7496
; %bb.7495:
	flat_store_b32 v[8:9], v14
.LBB14_7496:
	s_wait_xcnt 0x0
	s_or_b32 exec_lo, exec_lo, vcc_lo
                                        ; implicit-def: $vgpr14
                                        ; implicit-def: $vgpr8_vgpr9
.LBB14_7497:
	s_and_not1_saveexec_b32 vcc_lo, s37
	s_cbranch_execz .LBB14_7499
; %bb.7498:
	v_cvt_f16_f32_e32 v7, v14
	flat_store_b16 v[8:9], v7
.LBB14_7499:
	s_wait_xcnt 0x0
	s_or_b32 exec_lo, exec_lo, vcc_lo
.LBB14_7500:
	s_delay_alu instid0(SALU_CYCLE_1)
	s_or_b32 exec_lo, exec_lo, s36
                                        ; implicit-def: $vgpr7
                                        ; implicit-def: $vgpr14
                                        ; implicit-def: $vgpr8_vgpr9
.LBB14_7501:
	s_and_not1_saveexec_b32 s35, s35
	s_cbranch_execz .LBB14_7519
; %bb.7502:
	s_mov_b32 s36, exec_lo
	v_cmpx_lt_i16_e32 1, v7
	s_xor_b32 s36, exec_lo, s36
	s_cbranch_execz .LBB14_7512
; %bb.7503:
	s_mov_b32 s37, exec_lo
	v_cmpx_lt_i16_e32 2, v7
	s_xor_b32 s37, exec_lo, s37
	s_cbranch_execz .LBB14_7509
; %bb.7504:
	v_cmp_lt_i16_e32 vcc_lo, 3, v7
	s_and_saveexec_b32 s38, vcc_lo
	s_delay_alu instid0(SALU_CYCLE_1)
	s_xor_b32 vcc_lo, exec_lo, s38
	s_cbranch_execz .LBB14_7506
; %bb.7505:
	v_trunc_f32_e32 v7, v14
	s_delay_alu instid0(VALU_DEP_1) | instskip(SKIP_1) | instid1(VALU_DEP_2)
	v_mul_f32_e64 v10, 0x2f800000, |v7|
	v_ashrrev_i32_e32 v14, 31, v7
	v_floor_f32_e32 v10, v10
	s_delay_alu instid0(VALU_DEP_1) | instskip(SKIP_1) | instid1(VALU_DEP_2)
	v_fma_f32 v15, 0xcf800000, v10, |v7|
	v_cvt_u32_f32_e32 v7, v10
	v_cvt_u32_f32_e32 v10, v15
	s_delay_alu instid0(VALU_DEP_2) | instskip(NEXT) | instid1(VALU_DEP_2)
	v_dual_mov_b32 v15, v14 :: v_dual_bitop2_b32 v17, v7, v14 bitop3:0x14
	v_xor_b32_e32 v16, v10, v14
	s_delay_alu instid0(VALU_DEP_1)
	v_sub_nc_u64_e32 v[14:15], v[16:17], v[14:15]
	flat_store_b64 v[8:9], v[14:15]
                                        ; implicit-def: $vgpr14
                                        ; implicit-def: $vgpr8_vgpr9
.LBB14_7506:
	s_wait_xcnt 0x0
	s_and_not1_saveexec_b32 vcc_lo, vcc_lo
	s_cbranch_execz .LBB14_7508
; %bb.7507:
	v_cvt_i32_f32_e32 v7, v14
	flat_store_b32 v[8:9], v7
.LBB14_7508:
	s_wait_xcnt 0x0
	s_or_b32 exec_lo, exec_lo, vcc_lo
                                        ; implicit-def: $vgpr14
                                        ; implicit-def: $vgpr8_vgpr9
.LBB14_7509:
	s_and_not1_saveexec_b32 vcc_lo, s37
	s_cbranch_execz .LBB14_7511
; %bb.7510:
	v_cvt_i32_f32_e32 v7, v14
	flat_store_b16 v[8:9], v7
.LBB14_7511:
	s_wait_xcnt 0x0
	s_or_b32 exec_lo, exec_lo, vcc_lo
                                        ; implicit-def: $vgpr14
                                        ; implicit-def: $vgpr8_vgpr9
                                        ; implicit-def: $vgpr7
.LBB14_7512:
	s_and_not1_saveexec_b32 s36, s36
	s_cbranch_execz .LBB14_7518
; %bb.7513:
	v_cmp_lt_i16_e32 vcc_lo, 0, v7
	s_and_saveexec_b32 s37, vcc_lo
	s_delay_alu instid0(SALU_CYCLE_1)
	s_xor_b32 vcc_lo, exec_lo, s37
	s_cbranch_execz .LBB14_7515
; %bb.7514:
	v_cvt_i32_f32_e32 v7, v14
                                        ; implicit-def: $vgpr14
	flat_store_b8 v[8:9], v7
                                        ; implicit-def: $vgpr8_vgpr9
.LBB14_7515:
	s_wait_xcnt 0x0
	s_and_not1_saveexec_b32 vcc_lo, vcc_lo
	s_cbranch_execz .LBB14_7517
; %bb.7516:
	v_trunc_f32_e32 v7, v14
	s_delay_alu instid0(VALU_DEP_1) | instskip(NEXT) | instid1(VALU_DEP_1)
	v_mul_f32_e64 v10, 0x2f800000, |v7|
	v_floor_f32_e32 v10, v10
	s_delay_alu instid0(VALU_DEP_1) | instskip(SKIP_1) | instid1(VALU_DEP_2)
	v_fma_f32 v10, 0xcf800000, v10, |v7|
	v_ashrrev_i32_e32 v7, 31, v7
	v_cvt_u32_f32_e32 v10, v10
	s_delay_alu instid0(VALU_DEP_1) | instskip(NEXT) | instid1(VALU_DEP_1)
	v_xor_b32_e32 v10, v10, v7
	v_sub_nc_u32_e32 v7, v10, v7
	flat_store_b8 v[8:9], v7
.LBB14_7517:
	s_wait_xcnt 0x0
	s_or_b32 exec_lo, exec_lo, vcc_lo
.LBB14_7518:
	s_delay_alu instid0(SALU_CYCLE_1)
	s_or_b32 exec_lo, exec_lo, s36
.LBB14_7519:
	s_delay_alu instid0(SALU_CYCLE_1) | instskip(NEXT) | instid1(SALU_CYCLE_1)
	s_or_b32 exec_lo, exec_lo, s35
	s_or_b32 s0, s0, exec_lo
.LBB14_7520:
	s_or_b32 exec_lo, exec_lo, vcc_hi
	s_mov_b32 s35, 0
	s_mov_b32 vcc_lo, 0
	s_and_saveexec_b32 vcc_hi, s0
; %bb.7521:
	v_add_nc_u32_e32 v13, 0x200, v13
	s_mov_b32 s35, exec_lo
	s_delay_alu instid0(VALU_DEP_1)
	v_cmp_lt_i32_e32 vcc_lo, v13, v6
	s_and_b32 vcc_lo, vcc_lo, exec_lo
; %bb.7522:
	s_or_b32 exec_lo, exec_lo, vcc_hi
	s_delay_alu instid0(SALU_CYCLE_1)
	s_and_not1_b32 vcc_hi, s94, exec_lo
	s_and_b32 s34, s34, exec_lo
	s_and_b32 s0, vcc_lo, exec_lo
	s_or_b32 vcc_hi, vcc_hi, s34
	s_or_not1_b32 s36, s35, exec_lo
.LBB14_7523:
	s_or_b32 exec_lo, exec_lo, s30
	s_mov_b32 s34, 0
	s_mov_b32 s35, 0
                                        ; implicit-def: $vgpr8
                                        ; implicit-def: $vgpr7
                                        ; implicit-def: $vgpr38_vgpr39
	s_and_saveexec_b32 s30, s36
	s_cbranch_execz .LBB14_7735
; %bb.7524:
	s_mov_b32 vcc_lo, 0
	s_mov_b32 s35, -1
	s_mov_b32 s36, vcc_hi
	s_mov_b32 s37, 0
                                        ; implicit-def: $vgpr8
                                        ; implicit-def: $vgpr7
                                        ; implicit-def: $vgpr38_vgpr39
	s_and_saveexec_b32 s31, s0
	s_cbranch_execz .LBB14_7734
; %bb.7525:
	v_dual_add_nc_u32 v7, s2, v13 :: v_dual_mov_b32 v9, 0
	s_wait_loadcnt 0x0
	v_mul_f32_e32 v2, v2, v3
	v_cmp_lt_f32_e32 vcc_lo, 0, v3
	s_mov_b32 s0, 0
	v_mul_lo_u32 v8, v7, v12
	v_and_b32_e32 v7, 0xff, v11
	s_mov_b32 s34, vcc_hi
	v_cndmask_b32_e32 v2, v2, v3, vcc_lo
	s_mov_b32 s35, exec_lo
	s_delay_alu instid0(VALU_DEP_3)
	v_add_nc_u64_e32 v[8:9], v[0:1], v[8:9]
	v_cmpx_lt_i16_e32 10, v7
	s_xor_b32 s35, exec_lo, s35
	s_cbranch_execz .LBB14_7607
; %bb.7526:
	s_mov_b32 s34, vcc_hi
	s_mov_b32 s36, exec_lo
	v_cmpx_lt_i16_e32 25, v7
	s_xor_b32 s36, exec_lo, s36
	s_cbranch_execz .LBB14_7562
; %bb.7527:
	s_mov_b32 s37, vcc_hi
	s_mov_b32 s34, exec_lo
	;; [unrolled: 6-line block ×3, first 2 shown]
	v_cmpx_lt_i16_e32 43, v7
	s_xor_b32 s37, exec_lo, s37
	s_cbranch_execz .LBB14_7540
; %bb.7529:
	s_mov_b32 s38, 0
	s_mov_b32 s39, vcc_hi
	s_mov_b32 s0, exec_lo
	v_cmpx_lt_i16_e32 45, v7
	s_xor_b32 s0, exec_lo, s0
	s_cbranch_execz .LBB14_7533
; %bb.7530:
	s_mov_b32 s48, -1
	s_mov_b32 s39, exec_lo
	v_cmpx_eq_u16_e32 46, v7
	s_cbranch_execz .LBB14_7532
; %bb.7531:
	v_bfe_u32 v3, v2, 16, 1
	v_cmp_o_f32_e32 vcc_lo, v2, v2
	s_mov_b32 s38, exec_lo
	s_xor_b32 s48, exec_lo, -1
	s_delay_alu instid0(VALU_DEP_2) | instskip(NEXT) | instid1(VALU_DEP_1)
	v_add3_u32 v3, v2, v3, 0x7fff
	v_lshrrev_b32_e32 v3, 16, v3
	s_delay_alu instid0(VALU_DEP_1)
	v_cndmask_b32_e32 v2, 0x7fc0, v3, vcc_lo
	flat_store_b32 v[8:9], v2
.LBB14_7532:
	s_wait_xcnt 0x0
	s_or_b32 exec_lo, exec_lo, s39
	s_delay_alu instid0(SALU_CYCLE_1)
	s_and_not1_b32 vcc_lo, vcc_hi, exec_lo
	s_and_b32 s39, s48, exec_lo
	s_and_b32 s38, s38, exec_lo
	s_or_b32 s39, vcc_lo, s39
                                        ; implicit-def: $vgpr8_vgpr9
                                        ; implicit-def: $vgpr2
.LBB14_7533:
	s_and_not1_saveexec_b32 s48, s0
	s_cbranch_execz .LBB14_7539
; %bb.7534:
	s_mov_b32 s50, -1
	s_mov_b32 s0, s38
	s_mov_b32 s49, exec_lo
	v_cmpx_eq_u16_e32 44, v7
	s_cbranch_execz .LBB14_7538
; %bb.7535:
	v_bfe_u32 v10, v2, 23, 8
	v_mov_b32_e32 v3, 0xff
	s_mov_b32 s50, exec_lo
	s_delay_alu instid0(VALU_DEP_2)
	v_cmpx_ne_u32_e32 0xff, v10
	s_cbranch_execz .LBB14_7537
; %bb.7536:
	v_and_b32_e32 v3, 0x400000, v2
	v_and_or_b32 v10, 0x3fffff, v2, v10
	v_lshrrev_b32_e32 v2, 23, v2
	s_delay_alu instid0(VALU_DEP_3) | instskip(NEXT) | instid1(VALU_DEP_3)
	v_cmp_ne_u32_e32 vcc_lo, 0, v3
	v_cmp_ne_u32_e64 s0, 0, v10
	s_and_b32 s0, vcc_lo, s0
	s_delay_alu instid0(SALU_CYCLE_1) | instskip(NEXT) | instid1(VALU_DEP_1)
	v_cndmask_b32_e64 v3, 0, 1, s0
	v_add_nc_u32_e32 v3, v2, v3
.LBB14_7537:
	s_or_b32 exec_lo, exec_lo, s50
	s_delay_alu instid0(SALU_CYCLE_1)
	s_xor_b32 s50, exec_lo, -1
	s_or_b32 s0, s38, exec_lo
	flat_store_b8 v[8:9], v3
.LBB14_7538:
	s_wait_xcnt 0x0
	s_or_b32 exec_lo, exec_lo, s49
	s_delay_alu instid0(SALU_CYCLE_1)
	s_and_not1_b32 vcc_lo, s39, exec_lo
	s_and_b32 s39, s50, exec_lo
	s_and_not1_b32 s38, s38, exec_lo
	s_and_b32 s0, s0, exec_lo
	s_or_b32 s39, vcc_lo, s39
	s_or_b32 s38, s38, s0
.LBB14_7539:
	s_or_b32 exec_lo, exec_lo, s48
	s_delay_alu instid0(SALU_CYCLE_1) | instskip(SKIP_1) | instid1(SALU_CYCLE_1)
	s_and_not1_b32 s0, vcc_hi, exec_lo
	s_and_b32 vcc_lo, s39, exec_lo
                                        ; implicit-def: $vgpr2
                                        ; implicit-def: $vgpr8_vgpr9
	s_or_b32 s39, s0, vcc_lo
	s_and_b32 s0, s38, exec_lo
.LBB14_7540:
	s_and_not1_saveexec_b32 s37, s37
	s_cbranch_execz .LBB14_7544
; %bb.7541:
	s_mov_b32 s49, -1
	s_mov_b32 s48, s0
	s_mov_b32 s38, exec_lo
	v_cmpx_eq_u16_e32 29, v7
	s_cbranch_execz .LBB14_7543
; %bb.7542:
	v_trunc_f32_e32 v2, v2
	s_xor_b32 s49, exec_lo, -1
	s_or_b32 s48, s0, exec_lo
	s_delay_alu instid0(VALU_DEP_1) | instskip(NEXT) | instid1(VALU_DEP_1)
	v_mul_f32_e32 v3, 0x2f800000, v2
	v_floor_f32_e32 v3, v3
	s_delay_alu instid0(VALU_DEP_1) | instskip(SKIP_1) | instid1(VALU_DEP_2)
	v_fmamk_f32 v2, v3, 0xcf800000, v2
	v_cvt_u32_f32_e32 v3, v3
	v_cvt_u32_f32_e32 v2, v2
	flat_store_b64 v[8:9], v[2:3]
.LBB14_7543:
	s_wait_xcnt 0x0
	s_or_b32 exec_lo, exec_lo, s38
	s_delay_alu instid0(SALU_CYCLE_1)
	s_and_not1_b32 vcc_lo, s39, exec_lo
	s_and_b32 s38, s49, exec_lo
	s_and_not1_b32 s0, s0, exec_lo
	s_and_b32 s48, s48, exec_lo
	s_or_b32 s39, vcc_lo, s38
	s_or_b32 s0, s0, s48
.LBB14_7544:
	s_or_b32 exec_lo, exec_lo, s37
	s_delay_alu instid0(SALU_CYCLE_1)
	s_and_not1_b32 vcc_lo, vcc_hi, exec_lo
	s_and_b32 s37, s39, exec_lo
	s_and_b32 s0, s0, exec_lo
	s_or_b32 s37, vcc_lo, s37
                                        ; implicit-def: $vgpr8_vgpr9
                                        ; implicit-def: $vgpr2
.LBB14_7545:
	s_and_not1_saveexec_b32 s34, s34
	s_cbranch_execz .LBB14_7561
; %bb.7546:
	s_mov_b32 s38, exec_lo
	v_cmpx_lt_i16_e32 26, v7
	s_xor_b32 s38, exec_lo, s38
	s_cbranch_execz .LBB14_7552
; %bb.7547:
	v_cmp_lt_i16_e32 vcc_lo, 27, v7
	v_cvt_u32_f32_e32 v2, v2
	s_and_saveexec_b32 s39, vcc_lo
	s_delay_alu instid0(SALU_CYCLE_1)
	s_xor_b32 vcc_lo, exec_lo, s39
	s_cbranch_execz .LBB14_7549
; %bb.7548:
	flat_store_b32 v[8:9], v2
                                        ; implicit-def: $vgpr8_vgpr9
                                        ; implicit-def: $vgpr2
.LBB14_7549:
	s_wait_xcnt 0x0
	s_and_not1_saveexec_b32 vcc_lo, vcc_lo
	s_cbranch_execz .LBB14_7551
; %bb.7550:
	flat_store_b16 v[8:9], v2
.LBB14_7551:
	s_wait_xcnt 0x0
	s_or_b32 exec_lo, exec_lo, vcc_lo
                                        ; implicit-def: $vgpr8_vgpr9
                                        ; implicit-def: $vgpr2
.LBB14_7552:
	s_and_not1_saveexec_b32 s38, s38
	s_cbranch_execz .LBB14_7560
; %bb.7553:
	v_and_b32_e32 v3, 0x7fffffff, v2
	v_mov_b32_e32 v10, 0x80
	s_mov_b32 s39, exec_lo
	s_delay_alu instid0(VALU_DEP_2)
	v_cmpx_gt_u32_e32 0x43800000, v3
	s_cbranch_execz .LBB14_7559
; %bb.7554:
	v_cmp_lt_u32_e32 vcc_lo, 0x3bffffff, v3
	s_mov_b32 s48, 0
                                        ; implicit-def: $vgpr3
	s_and_saveexec_b32 s49, vcc_lo
	s_delay_alu instid0(SALU_CYCLE_1)
	s_xor_b32 vcc_lo, exec_lo, s49
	s_cbranch_execnz .LBB14_7935
; %bb.7555:
	s_and_not1_saveexec_b32 s49, vcc_lo
	s_cbranch_execnz .LBB14_7936
.LBB14_7556:
	s_or_b32 exec_lo, exec_lo, s49
	v_mov_b32_e32 v10, 0
	s_and_saveexec_b32 vcc_lo, s48
.LBB14_7557:
	v_lshrrev_b32_e32 v2, 24, v2
	s_delay_alu instid0(VALU_DEP_1)
	v_and_or_b32 v10, 0x80, v2, v3
.LBB14_7558:
	s_or_b32 exec_lo, exec_lo, vcc_lo
.LBB14_7559:
	s_delay_alu instid0(SALU_CYCLE_1)
	s_or_b32 exec_lo, exec_lo, s39
	flat_store_b8 v[8:9], v10
.LBB14_7560:
	s_wait_xcnt 0x0
	s_or_b32 exec_lo, exec_lo, s38
	s_delay_alu instid0(SALU_CYCLE_1)
	s_or_b32 s0, s0, exec_lo
.LBB14_7561:
	s_or_b32 exec_lo, exec_lo, s34
	s_delay_alu instid0(SALU_CYCLE_1)
	s_and_not1_b32 vcc_lo, vcc_hi, exec_lo
	s_and_b32 s34, s37, exec_lo
	s_and_b32 s0, s0, exec_lo
	s_or_b32 s34, vcc_lo, s34
                                        ; implicit-def: $vgpr2
                                        ; implicit-def: $vgpr8_vgpr9
.LBB14_7562:
	s_and_not1_saveexec_b32 s36, s36
	s_cbranch_execz .LBB14_7606
; %bb.7563:
	s_mov_b32 s38, s0
	s_mov_b32 s37, exec_lo
	v_cmpx_lt_i16_e32 22, v7
	s_xor_b32 s37, exec_lo, s37
	s_cbranch_execz .LBB14_7595
; %bb.7564:
	s_mov_b32 s38, exec_lo
	v_cmpx_lt_i16_e32 23, v7
	s_xor_b32 s38, exec_lo, s38
	s_cbranch_execz .LBB14_7584
; %bb.7565:
	s_mov_b32 s39, exec_lo
	v_cmpx_lt_i16_e32 24, v7
	s_xor_b32 s39, exec_lo, s39
	s_cbranch_execz .LBB14_7573
; %bb.7566:
	v_and_b32_e32 v3, 0x7fffffff, v2
	v_mov_b32_e32 v10, 0x80
	s_mov_b32 s48, exec_lo
	s_delay_alu instid0(VALU_DEP_2)
	v_cmpx_gt_u32_e32 0x47800000, v3
	s_cbranch_execz .LBB14_7572
; %bb.7567:
	v_cmp_lt_u32_e32 vcc_lo, 0x37ffffff, v3
	s_mov_b32 s49, 0
                                        ; implicit-def: $vgpr3
	s_and_saveexec_b32 s50, vcc_lo
	s_delay_alu instid0(SALU_CYCLE_1)
	s_xor_b32 vcc_lo, exec_lo, s50
	s_cbranch_execnz .LBB14_7937
; %bb.7568:
	s_and_not1_saveexec_b32 s50, vcc_lo
	s_cbranch_execnz .LBB14_7938
.LBB14_7569:
	s_or_b32 exec_lo, exec_lo, s50
	v_mov_b32_e32 v10, 0
	s_and_saveexec_b32 vcc_lo, s49
.LBB14_7570:
	v_lshrrev_b32_e32 v2, 24, v2
	s_delay_alu instid0(VALU_DEP_1)
	v_and_or_b32 v10, 0x80, v2, v3
.LBB14_7571:
	s_or_b32 exec_lo, exec_lo, vcc_lo
.LBB14_7572:
	s_delay_alu instid0(SALU_CYCLE_1)
	s_or_b32 exec_lo, exec_lo, s48
	flat_store_b8 v[8:9], v10
                                        ; implicit-def: $vgpr2
                                        ; implicit-def: $vgpr8_vgpr9
.LBB14_7573:
	s_wait_xcnt 0x0
	s_and_not1_saveexec_b32 s39, s39
	s_cbranch_execz .LBB14_7583
; %bb.7574:
	v_and_b32_e32 v10, 0x7fffffff, v2
	s_mov_b32 s48, exec_lo
                                        ; implicit-def: $vgpr3
	s_delay_alu instid0(VALU_DEP_1)
	v_cmpx_gt_u32_e32 0x43f00000, v10
	s_xor_b32 s48, exec_lo, s48
	s_cbranch_execz .LBB14_7580
; %bb.7575:
	s_mov_b32 s49, exec_lo
                                        ; implicit-def: $vgpr3
	v_cmpx_lt_u32_e32 0x3c7fffff, v10
	s_xor_b32 s49, exec_lo, s49
; %bb.7576:
	v_bfe_u32 v3, v2, 20, 1
	s_delay_alu instid0(VALU_DEP_1) | instskip(NEXT) | instid1(VALU_DEP_1)
	v_add3_u32 v3, v2, v3, 0x407ffff
	v_and_b32_e32 v10, 0xff00000, v3
	v_lshrrev_b32_e32 v3, 20, v3
	s_delay_alu instid0(VALU_DEP_2) | instskip(NEXT) | instid1(VALU_DEP_2)
	v_cmp_ne_u32_e32 vcc_lo, 0x7f00000, v10
	v_cndmask_b32_e32 v3, 0x7e, v3, vcc_lo
; %bb.7577:
	s_and_not1_saveexec_b32 vcc_lo, s49
; %bb.7578:
	v_add_f32_e64 v3, 0x46800000, |v2|
; %bb.7579:
	s_or_b32 exec_lo, exec_lo, vcc_lo
                                        ; implicit-def: $vgpr10
.LBB14_7580:
	s_and_not1_saveexec_b32 s48, s48
; %bb.7581:
	v_mov_b32_e32 v3, 0x7f
	v_cmp_lt_u32_e32 vcc_lo, 0x7f800000, v10
	s_delay_alu instid0(VALU_DEP_2)
	v_cndmask_b32_e32 v3, 0x7e, v3, vcc_lo
; %bb.7582:
	s_or_b32 exec_lo, exec_lo, s48
	v_lshrrev_b32_e32 v2, 24, v2
	s_delay_alu instid0(VALU_DEP_1)
	v_and_or_b32 v2, 0x80, v2, v3
	flat_store_b8 v[8:9], v2
.LBB14_7583:
	s_wait_xcnt 0x0
	s_or_b32 exec_lo, exec_lo, s39
                                        ; implicit-def: $vgpr2
                                        ; implicit-def: $vgpr8_vgpr9
.LBB14_7584:
	s_and_not1_saveexec_b32 s38, s38
	s_cbranch_execz .LBB14_7594
; %bb.7585:
	v_and_b32_e32 v10, 0x7fffffff, v2
	s_mov_b32 s39, exec_lo
                                        ; implicit-def: $vgpr3
	s_delay_alu instid0(VALU_DEP_1)
	v_cmpx_gt_u32_e32 0x47800000, v10
	s_xor_b32 s39, exec_lo, s39
	s_cbranch_execz .LBB14_7591
; %bb.7586:
	v_cmp_lt_u32_e32 vcc_lo, 0x387fffff, v10
                                        ; implicit-def: $vgpr3
	s_and_saveexec_b32 s48, vcc_lo
	s_delay_alu instid0(SALU_CYCLE_1)
	s_xor_b32 vcc_lo, exec_lo, s48
; %bb.7587:
	v_bfe_u32 v3, v2, 21, 1
	s_delay_alu instid0(VALU_DEP_1) | instskip(NEXT) | instid1(VALU_DEP_1)
	v_add3_u32 v3, v2, v3, 0x80fffff
	v_lshrrev_b32_e32 v3, 21, v3
; %bb.7588:
	s_and_not1_saveexec_b32 vcc_lo, vcc_lo
; %bb.7589:
	v_add_f32_e64 v3, 0x43000000, |v2|
; %bb.7590:
	s_or_b32 exec_lo, exec_lo, vcc_lo
                                        ; implicit-def: $vgpr10
.LBB14_7591:
	s_and_not1_saveexec_b32 s39, s39
; %bb.7592:
	v_mov_b32_e32 v3, 0x7f
	v_cmp_lt_u32_e32 vcc_lo, 0x7f800000, v10
	s_delay_alu instid0(VALU_DEP_2)
	v_cndmask_b32_e32 v3, 0x7c, v3, vcc_lo
; %bb.7593:
	s_or_b32 exec_lo, exec_lo, s39
	v_lshrrev_b32_e32 v2, 24, v2
	s_delay_alu instid0(VALU_DEP_1)
	v_and_or_b32 v2, 0x80, v2, v3
	flat_store_b8 v[8:9], v2
.LBB14_7594:
	s_wait_xcnt 0x0
	s_or_b32 exec_lo, exec_lo, s38
	s_delay_alu instid0(SALU_CYCLE_1)
	s_or_b32 s38, s0, exec_lo
                                        ; implicit-def: $vgpr2
                                        ; implicit-def: $vgpr8_vgpr9
.LBB14_7595:
	s_or_saveexec_b32 s37, s37
	s_mov_b32 vcc_lo, s34
	s_xor_b32 exec_lo, exec_lo, s37
	s_cbranch_execz .LBB14_7605
; %bb.7596:
	s_mov_b32 s39, s38
	s_mov_b32 s48, s34
	s_mov_b32 s49, exec_lo
	v_cmpx_lt_i16_e32 14, v7
	s_xor_b32 s49, exec_lo, s49
	s_cbranch_execz .LBB14_7600
; %bb.7597:
	s_mov_b32 s50, -1
	s_mov_b32 s39, s38
	s_mov_b32 s48, exec_lo
	v_cmpx_eq_u16_e32 15, v7
	s_cbranch_execz .LBB14_7599
; %bb.7598:
	v_bfe_u32 v3, v2, 16, 1
	v_cmp_o_f32_e32 vcc_lo, v2, v2
	s_xor_b32 s50, exec_lo, -1
	s_or_b32 s39, s38, exec_lo
	s_delay_alu instid0(VALU_DEP_2) | instskip(NEXT) | instid1(VALU_DEP_1)
	v_add3_u32 v3, v2, v3, 0x7fff
	v_lshrrev_b32_e32 v3, 16, v3
	s_delay_alu instid0(VALU_DEP_1)
	v_cndmask_b32_e32 v2, 0x7fc0, v3, vcc_lo
	flat_store_b16 v[8:9], v2
.LBB14_7599:
	s_wait_xcnt 0x0
	s_or_b32 exec_lo, exec_lo, s48
	s_delay_alu instid0(SALU_CYCLE_1)
	s_and_not1_b32 vcc_lo, s34, exec_lo
	s_and_b32 s48, s50, exec_lo
	s_and_not1_b32 s50, s38, exec_lo
	s_and_b32 s39, s39, exec_lo
	s_or_b32 s48, vcc_lo, s48
	s_or_b32 s39, s50, s39
                                        ; implicit-def: $vgpr2
                                        ; implicit-def: $vgpr8_vgpr9
.LBB14_7600:
	s_and_not1_saveexec_b32 s49, s49
	s_cbranch_execz .LBB14_7604
; %bb.7601:
	s_mov_b32 s51, -1
	s_mov_b32 s50, s39
	s_mov_b32 s52, exec_lo
	v_cmpx_eq_u16_e32 11, v7
	s_cbranch_execz .LBB14_7603
; %bb.7602:
	v_cmp_neq_f32_e32 vcc_lo, 0, v2
	s_xor_b32 s51, exec_lo, -1
	s_or_b32 s50, s39, exec_lo
	v_cndmask_b32_e64 v2, 0, 1, vcc_lo
	flat_store_b8 v[8:9], v2
.LBB14_7603:
	s_wait_xcnt 0x0
	s_or_b32 exec_lo, exec_lo, s52
	s_delay_alu instid0(SALU_CYCLE_1)
	s_and_not1_b32 vcc_lo, s48, exec_lo
	s_and_b32 s48, s51, exec_lo
	s_and_not1_b32 s39, s39, exec_lo
	s_and_b32 s50, s50, exec_lo
	s_or_b32 s48, vcc_lo, s48
	s_or_b32 s39, s39, s50
.LBB14_7604:
	s_or_b32 exec_lo, exec_lo, s49
	s_delay_alu instid0(SALU_CYCLE_1)
	s_and_not1_b32 vcc_lo, s34, exec_lo
	s_and_b32 s48, s48, exec_lo
	s_and_not1_b32 s38, s38, exec_lo
	s_and_b32 s39, s39, exec_lo
	s_or_b32 vcc_lo, vcc_lo, s48
	s_or_b32 s38, s38, s39
.LBB14_7605:
	s_or_b32 exec_lo, exec_lo, s37
	s_delay_alu instid0(SALU_CYCLE_1)
	s_and_not1_b32 s34, s34, exec_lo
	s_and_b32 vcc_lo, vcc_lo, exec_lo
	s_and_not1_b32 s0, s0, exec_lo
	s_and_b32 s37, s38, exec_lo
	s_or_b32 s34, s34, vcc_lo
	s_or_b32 s0, s0, s37
.LBB14_7606:
	s_or_b32 exec_lo, exec_lo, s36
	s_delay_alu instid0(SALU_CYCLE_1)
	s_and_not1_b32 vcc_lo, vcc_hi, exec_lo
	s_and_b32 s34, s34, exec_lo
	s_and_b32 s0, s0, exec_lo
	s_or_b32 s34, vcc_lo, s34
                                        ; implicit-def: $vgpr2
                                        ; implicit-def: $vgpr8_vgpr9
.LBB14_7607:
	s_and_not1_saveexec_b32 s35, s35
	s_cbranch_execz .LBB14_7649
; %bb.7608:
	s_mov_b32 s36, exec_lo
	v_cmpx_lt_i16_e32 4, v7
	s_xor_b32 s36, exec_lo, s36
	s_cbranch_execz .LBB14_7630
; %bb.7609:
	s_mov_b32 s37, exec_lo
	v_cmpx_lt_i16_e32 7, v7
	s_xor_b32 s37, exec_lo, s37
	;; [unrolled: 5-line block ×3, first 2 shown]
	s_cbranch_execz .LBB14_7616
; %bb.7611:
	v_cmp_lt_i16_e32 vcc_lo, 9, v7
	s_and_saveexec_b32 s39, vcc_lo
	s_delay_alu instid0(SALU_CYCLE_1)
	s_xor_b32 vcc_lo, exec_lo, s39
	s_cbranch_execz .LBB14_7613
; %bb.7612:
	v_cvt_f64_f32_e32 v[14:15], v2
	v_mov_b32_e32 v16, 0
                                        ; implicit-def: $vgpr2
	s_delay_alu instid0(VALU_DEP_1)
	v_mov_b32_e32 v17, v16
	flat_store_b128 v[8:9], v[14:17]
                                        ; implicit-def: $vgpr8_vgpr9
.LBB14_7613:
	s_wait_xcnt 0x0
	s_and_not1_saveexec_b32 vcc_lo, vcc_lo
	s_cbranch_execz .LBB14_7615
; %bb.7614:
	v_mov_b32_e32 v3, 0
	flat_store_b64 v[8:9], v[2:3]
.LBB14_7615:
	s_wait_xcnt 0x0
	s_or_b32 exec_lo, exec_lo, vcc_lo
                                        ; implicit-def: $vgpr2
                                        ; implicit-def: $vgpr8_vgpr9
.LBB14_7616:
	s_and_not1_saveexec_b32 vcc_lo, s38
	s_cbranch_execz .LBB14_7618
; %bb.7617:
	v_cvt_f16_f32_e32 v2, v2
	s_delay_alu instid0(VALU_DEP_1)
	v_and_b32_e32 v2, 0xffff, v2
	flat_store_b32 v[8:9], v2
.LBB14_7618:
	s_wait_xcnt 0x0
	s_or_b32 exec_lo, exec_lo, vcc_lo
                                        ; implicit-def: $vgpr2
                                        ; implicit-def: $vgpr8_vgpr9
.LBB14_7619:
	s_and_not1_saveexec_b32 s37, s37
	s_cbranch_execz .LBB14_7629
; %bb.7620:
	s_mov_b32 s38, exec_lo
	v_cmpx_lt_i16_e32 5, v7
	s_xor_b32 s38, exec_lo, s38
	s_cbranch_execz .LBB14_7626
; %bb.7621:
	v_cmp_lt_i16_e32 vcc_lo, 6, v7
	s_and_saveexec_b32 s39, vcc_lo
	s_delay_alu instid0(SALU_CYCLE_1)
	s_xor_b32 vcc_lo, exec_lo, s39
	s_cbranch_execz .LBB14_7623
; %bb.7622:
	v_cvt_f64_f32_e32 v[2:3], v2
	flat_store_b64 v[8:9], v[2:3]
                                        ; implicit-def: $vgpr8_vgpr9
                                        ; implicit-def: $vgpr2
.LBB14_7623:
	s_wait_xcnt 0x0
	s_and_not1_saveexec_b32 vcc_lo, vcc_lo
	s_cbranch_execz .LBB14_7625
; %bb.7624:
	flat_store_b32 v[8:9], v2
.LBB14_7625:
	s_wait_xcnt 0x0
	s_or_b32 exec_lo, exec_lo, vcc_lo
                                        ; implicit-def: $vgpr2
                                        ; implicit-def: $vgpr8_vgpr9
.LBB14_7626:
	s_and_not1_saveexec_b32 vcc_lo, s38
	s_cbranch_execz .LBB14_7628
; %bb.7627:
	v_cvt_f16_f32_e32 v2, v2
	flat_store_b16 v[8:9], v2
.LBB14_7628:
	s_wait_xcnt 0x0
	s_or_b32 exec_lo, exec_lo, vcc_lo
.LBB14_7629:
	s_delay_alu instid0(SALU_CYCLE_1)
	s_or_b32 exec_lo, exec_lo, s37
                                        ; implicit-def: $vgpr2
                                        ; implicit-def: $vgpr8_vgpr9
.LBB14_7630:
	s_and_not1_saveexec_b32 s36, s36
	s_cbranch_execz .LBB14_7648
; %bb.7631:
	s_mov_b32 s37, exec_lo
	v_cmpx_lt_i16_e32 1, v7
	s_xor_b32 s37, exec_lo, s37
	s_cbranch_execz .LBB14_7641
; %bb.7632:
	s_mov_b32 s38, exec_lo
	v_cmpx_lt_i16_e32 2, v7
	s_xor_b32 s38, exec_lo, s38
	s_cbranch_execz .LBB14_7638
; %bb.7633:
	v_cmp_lt_i16_e32 vcc_lo, 3, v7
	s_and_saveexec_b32 s39, vcc_lo
	s_delay_alu instid0(SALU_CYCLE_1)
	s_xor_b32 vcc_lo, exec_lo, s39
	s_cbranch_execz .LBB14_7635
; %bb.7634:
	v_trunc_f32_e32 v2, v2
	s_delay_alu instid0(VALU_DEP_1) | instskip(NEXT) | instid1(VALU_DEP_1)
	v_mul_f32_e64 v3, 0x2f800000, |v2|
	v_floor_f32_e32 v3, v3
	s_delay_alu instid0(VALU_DEP_1) | instskip(SKIP_2) | instid1(VALU_DEP_3)
	v_fma_f32 v10, 0xcf800000, v3, |v2|
	v_ashrrev_i32_e32 v2, 31, v2
	v_cvt_u32_f32_e32 v11, v3
	v_cvt_u32_f32_e32 v10, v10
	s_delay_alu instid0(VALU_DEP_2) | instskip(NEXT) | instid1(VALU_DEP_2)
	v_dual_mov_b32 v3, v2 :: v_dual_bitop2_b32 v11, v11, v2 bitop3:0x14
	v_xor_b32_e32 v10, v10, v2
	s_delay_alu instid0(VALU_DEP_1)
	v_sub_nc_u64_e32 v[2:3], v[10:11], v[2:3]
	flat_store_b64 v[8:9], v[2:3]
                                        ; implicit-def: $vgpr2
                                        ; implicit-def: $vgpr8_vgpr9
.LBB14_7635:
	s_wait_xcnt 0x0
	s_and_not1_saveexec_b32 vcc_lo, vcc_lo
	s_cbranch_execz .LBB14_7637
; %bb.7636:
	v_cvt_i32_f32_e32 v2, v2
	flat_store_b32 v[8:9], v2
.LBB14_7637:
	s_wait_xcnt 0x0
	s_or_b32 exec_lo, exec_lo, vcc_lo
                                        ; implicit-def: $vgpr2
                                        ; implicit-def: $vgpr8_vgpr9
.LBB14_7638:
	s_and_not1_saveexec_b32 vcc_lo, s38
	s_cbranch_execz .LBB14_7640
; %bb.7639:
	v_cvt_i32_f32_e32 v2, v2
	flat_store_b16 v[8:9], v2
.LBB14_7640:
	s_wait_xcnt 0x0
	s_or_b32 exec_lo, exec_lo, vcc_lo
                                        ; implicit-def: $vgpr2
                                        ; implicit-def: $vgpr8_vgpr9
.LBB14_7641:
	s_and_not1_saveexec_b32 s37, s37
	s_cbranch_execz .LBB14_7647
; %bb.7642:
	v_cmp_lt_i16_e32 vcc_lo, 0, v7
	s_and_saveexec_b32 s38, vcc_lo
	s_delay_alu instid0(SALU_CYCLE_1)
	s_xor_b32 vcc_lo, exec_lo, s38
	s_cbranch_execz .LBB14_7644
; %bb.7643:
	v_cvt_i32_f32_e32 v2, v2
	flat_store_b8 v[8:9], v2
                                        ; implicit-def: $vgpr2
                                        ; implicit-def: $vgpr8_vgpr9
.LBB14_7644:
	s_wait_xcnt 0x0
	s_and_not1_saveexec_b32 vcc_lo, vcc_lo
	s_cbranch_execz .LBB14_7646
; %bb.7645:
	v_trunc_f32_e32 v2, v2
	s_delay_alu instid0(VALU_DEP_1) | instskip(NEXT) | instid1(VALU_DEP_1)
	v_mul_f32_e64 v3, 0x2f800000, |v2|
	v_floor_f32_e32 v3, v3
	s_delay_alu instid0(VALU_DEP_1) | instskip(SKIP_1) | instid1(VALU_DEP_2)
	v_fma_f32 v3, 0xcf800000, v3, |v2|
	v_ashrrev_i32_e32 v2, 31, v2
	v_cvt_u32_f32_e32 v3, v3
	s_delay_alu instid0(VALU_DEP_1) | instskip(NEXT) | instid1(VALU_DEP_1)
	v_xor_b32_e32 v3, v3, v2
	v_sub_nc_u32_e32 v2, v3, v2
	flat_store_b8 v[8:9], v2
.LBB14_7646:
	s_wait_xcnt 0x0
	s_or_b32 exec_lo, exec_lo, vcc_lo
.LBB14_7647:
	s_delay_alu instid0(SALU_CYCLE_1)
	s_or_b32 exec_lo, exec_lo, s37
.LBB14_7648:
	s_delay_alu instid0(SALU_CYCLE_1) | instskip(NEXT) | instid1(SALU_CYCLE_1)
	s_or_b32 exec_lo, exec_lo, s36
	s_or_b32 s0, s0, exec_lo
.LBB14_7649:
	s_or_b32 exec_lo, exec_lo, s35
	s_mov_b32 vcc_lo, 0
	s_mov_b32 s36, 0
	s_mov_b32 s37, 0
                                        ; implicit-def: $vgpr8
                                        ; implicit-def: $vgpr38_vgpr39
	s_and_saveexec_b32 s35, s0
	s_cbranch_execz .LBB14_7733
; %bb.7650:
	v_add_nc_u32_e32 v2, 0x200, v13
	s_mov_b32 s0, 0
	s_mov_b32 s37, -1
	s_mov_b32 s38, s34
	s_mov_b32 s39, 0
	s_mov_b32 s36, exec_lo
                                        ; implicit-def: $vgpr8
                                        ; implicit-def: $vgpr38_vgpr39
	v_cmpx_lt_i32_e64 v2, v6
	s_cbranch_execz .LBB14_7732
; %bb.7651:
	v_dual_mov_b32 v3, 0 :: v_dual_add_nc_u32 v2, s2, v2
	v_mul_f32_e32 v4, v4, v5
	v_cmp_lt_f32_e32 vcc_lo, 0, v5
	s_mov_b32 s39, -1
	s_delay_alu instid0(VALU_DEP_3) | instskip(SKIP_4) | instid1(VALU_DEP_2)
	v_mul_lo_u32 v2, v2, v12
	s_mov_b32 s38, s34
	s_mov_b32 s37, 0
	v_cndmask_b32_e32 v8, v4, v5, vcc_lo
	s_mov_b32 s2, exec_lo
	v_add_nc_u64_e32 v[38:39], v[0:1], v[2:3]
	v_cmpx_lt_i16_e32 10, v7
	s_cbranch_execz .LBB14_7731
; %bb.7652:
	s_mov_b32 s38, 0
	s_mov_b32 s0, s34
	s_mov_b32 s39, exec_lo
	v_cmpx_lt_i16_e32 25, v7
	s_xor_b32 s39, exec_lo, s39
	s_cbranch_execz .LBB14_7688
; %bb.7653:
	s_mov_b32 s0, 0
	s_mov_b32 s48, s34
	s_mov_b32 s37, exec_lo
	v_cmpx_lt_i16_e32 28, v7
	s_xor_b32 s37, exec_lo, s37
	s_cbranch_execz .LBB14_7671
; %bb.7654:
	s_mov_b32 s49, s34
	s_mov_b32 s48, exec_lo
	v_cmpx_lt_i16_e32 43, v7
	s_xor_b32 s48, exec_lo, s48
	s_cbranch_execz .LBB14_7666
; %bb.7655:
	s_mov_b32 s49, 0
	s_mov_b32 s50, s34
	s_mov_b32 s0, exec_lo
	v_cmpx_lt_i16_e32 45, v7
	s_xor_b32 s0, exec_lo, s0
	s_cbranch_execz .LBB14_7659
; %bb.7656:
	s_mov_b32 s50, -1
	s_mov_b32 s51, exec_lo
	v_cmpx_eq_u16_e32 46, v7
	s_cbranch_execz .LBB14_7658
; %bb.7657:
	v_bfe_u32 v0, v8, 16, 1
	v_cmp_o_f32_e32 vcc_lo, v8, v8
	s_mov_b32 s49, exec_lo
	s_xor_b32 s50, exec_lo, -1
	s_delay_alu instid0(VALU_DEP_2) | instskip(NEXT) | instid1(VALU_DEP_1)
	v_add3_u32 v0, v8, v0, 0x7fff
	v_lshrrev_b32_e32 v0, 16, v0
	s_delay_alu instid0(VALU_DEP_1)
	v_cndmask_b32_e32 v0, 0x7fc0, v0, vcc_lo
	flat_store_b32 v[38:39], v0
.LBB14_7658:
	s_wait_xcnt 0x0
	s_or_b32 exec_lo, exec_lo, s51
	s_delay_alu instid0(SALU_CYCLE_1)
	s_and_not1_b32 vcc_lo, s34, exec_lo
	s_and_b32 s50, s50, exec_lo
	s_and_b32 s49, s49, exec_lo
	s_or_b32 s50, vcc_lo, s50
.LBB14_7659:
	s_and_not1_saveexec_b32 s51, s0
	s_cbranch_execz .LBB14_7665
; %bb.7660:
	s_mov_b32 s0, -1
	s_mov_b32 s53, s49
	s_mov_b32 s52, exec_lo
	v_cmpx_eq_u16_e32 44, v7
	s_cbranch_execz .LBB14_7664
; %bb.7661:
	v_bfe_u32 v1, v8, 23, 8
	v_mov_b32_e32 v0, 0xff
	s_mov_b32 s53, exec_lo
	s_delay_alu instid0(VALU_DEP_2)
	v_cmpx_ne_u32_e32 0xff, v1
	s_cbranch_execz .LBB14_7663
; %bb.7662:
	v_and_b32_e32 v0, 0x400000, v8
	v_and_or_b32 v1, 0x3fffff, v8, v1
	s_delay_alu instid0(VALU_DEP_2) | instskip(NEXT) | instid1(VALU_DEP_2)
	v_cmp_ne_u32_e32 vcc_lo, 0, v0
	v_cmp_ne_u32_e64 s0, 0, v1
	v_lshrrev_b32_e32 v0, 23, v8
	s_and_b32 s0, vcc_lo, s0
	s_delay_alu instid0(SALU_CYCLE_1) | instskip(NEXT) | instid1(VALU_DEP_1)
	v_cndmask_b32_e64 v1, 0, 1, s0
	v_add_nc_u32_e32 v0, v0, v1
.LBB14_7663:
	s_or_b32 exec_lo, exec_lo, s53
	s_delay_alu instid0(SALU_CYCLE_1)
	s_or_b32 s53, s49, exec_lo
	s_xor_b32 s0, exec_lo, -1
	flat_store_b8 v[38:39], v0
.LBB14_7664:
	s_wait_xcnt 0x0
	s_or_b32 exec_lo, exec_lo, s52
	s_delay_alu instid0(SALU_CYCLE_1)
	s_and_not1_b32 vcc_lo, s49, exec_lo
	s_and_b32 s49, s53, exec_lo
	s_and_not1_b32 s50, s50, exec_lo
	s_and_b32 s0, s0, exec_lo
	s_or_b32 s49, vcc_lo, s49
	s_or_b32 s50, s50, s0
.LBB14_7665:
	s_or_b32 exec_lo, exec_lo, s51
	s_delay_alu instid0(SALU_CYCLE_1)
	s_and_not1_b32 vcc_lo, s34, exec_lo
	s_and_b32 s50, s50, exec_lo
	s_and_b32 s0, s49, exec_lo
	s_or_b32 s49, vcc_lo, s50
.LBB14_7666:
	s_and_not1_saveexec_b32 s48, s48
	s_cbranch_execz .LBB14_7670
; %bb.7667:
	s_mov_b32 s51, -1
	s_mov_b32 s52, s0
	s_mov_b32 s50, exec_lo
	v_cmpx_eq_u16_e32 29, v7
	s_cbranch_execz .LBB14_7669
; %bb.7668:
	v_trunc_f32_e32 v0, v8
	s_or_b32 s52, s0, exec_lo
	s_xor_b32 s51, exec_lo, -1
	s_delay_alu instid0(VALU_DEP_1) | instskip(NEXT) | instid1(VALU_DEP_1)
	v_mul_f32_e32 v1, 0x2f800000, v0
	v_floor_f32_e32 v1, v1
	s_delay_alu instid0(VALU_DEP_1) | instskip(SKIP_1) | instid1(VALU_DEP_2)
	v_fmamk_f32 v0, v1, 0xcf800000, v0
	v_cvt_u32_f32_e32 v1, v1
	v_cvt_u32_f32_e32 v0, v0
	flat_store_b64 v[38:39], v[0:1]
.LBB14_7669:
	s_wait_xcnt 0x0
	s_or_b32 exec_lo, exec_lo, s50
	s_delay_alu instid0(SALU_CYCLE_1)
	s_and_not1_b32 s0, s0, exec_lo
	s_and_b32 vcc_lo, s52, exec_lo
	s_and_not1_b32 s49, s49, exec_lo
	s_and_b32 s50, s51, exec_lo
	s_or_b32 s0, s0, vcc_lo
	s_or_b32 s49, s49, s50
.LBB14_7670:
	s_or_b32 exec_lo, exec_lo, s48
	s_delay_alu instid0(SALU_CYCLE_1)
	s_and_not1_b32 vcc_lo, s34, exec_lo
	s_and_b32 s48, s49, exec_lo
	s_and_b32 s0, s0, exec_lo
	s_or_b32 s48, vcc_lo, s48
.LBB14_7671:
	s_and_not1_saveexec_b32 s37, s37
	s_cbranch_execz .LBB14_7687
; %bb.7672:
	s_mov_b32 s49, exec_lo
	v_cmpx_lt_i16_e32 26, v7
	s_xor_b32 s49, exec_lo, s49
	s_cbranch_execz .LBB14_7678
; %bb.7673:
	v_cmp_lt_i16_e32 vcc_lo, 27, v7
	v_cvt_u32_f32_e32 v0, v8
	s_and_saveexec_b32 s50, vcc_lo
	s_delay_alu instid0(SALU_CYCLE_1)
	s_xor_b32 vcc_lo, exec_lo, s50
	s_cbranch_execz .LBB14_7675
; %bb.7674:
	flat_store_b32 v[38:39], v0
                                        ; implicit-def: $vgpr0
.LBB14_7675:
	s_wait_xcnt 0x0
	s_and_not1_saveexec_b32 vcc_lo, vcc_lo
	s_cbranch_execz .LBB14_7677
; %bb.7676:
	flat_store_b16 v[38:39], v0
.LBB14_7677:
	s_wait_xcnt 0x0
	s_or_b32 exec_lo, exec_lo, vcc_lo
.LBB14_7678:
	s_and_not1_saveexec_b32 s49, s49
	s_cbranch_execz .LBB14_7686
; %bb.7679:
	v_and_b32_e32 v0, 0x7fffffff, v8
	v_mov_b32_e32 v1, 0x80
	s_mov_b32 s50, exec_lo
	s_delay_alu instid0(VALU_DEP_2)
	v_cmpx_gt_u32_e32 0x43800000, v0
	s_cbranch_execz .LBB14_7685
; %bb.7680:
	v_cmp_lt_u32_e32 vcc_lo, 0x3bffffff, v0
	s_mov_b32 s51, 0
                                        ; implicit-def: $vgpr0
	s_and_saveexec_b32 s52, vcc_lo
	s_delay_alu instid0(SALU_CYCLE_1)
	s_xor_b32 vcc_lo, exec_lo, s52
	s_cbranch_execnz .LBB14_7939
; %bb.7681:
	s_and_not1_saveexec_b32 s52, vcc_lo
	s_cbranch_execnz .LBB14_7940
.LBB14_7682:
	s_or_b32 exec_lo, exec_lo, s52
	v_mov_b32_e32 v1, 0
	s_and_saveexec_b32 vcc_lo, s51
.LBB14_7683:
	v_lshrrev_b32_e32 v1, 24, v8
	s_delay_alu instid0(VALU_DEP_1)
	v_and_or_b32 v1, 0x80, v1, v0
.LBB14_7684:
	s_or_b32 exec_lo, exec_lo, vcc_lo
.LBB14_7685:
	s_delay_alu instid0(SALU_CYCLE_1)
	s_or_b32 exec_lo, exec_lo, s50
	flat_store_b8 v[38:39], v1
.LBB14_7686:
	s_wait_xcnt 0x0
	s_or_b32 exec_lo, exec_lo, s49
	s_delay_alu instid0(SALU_CYCLE_1)
	s_or_b32 s0, s0, exec_lo
.LBB14_7687:
	s_or_b32 exec_lo, exec_lo, s37
	s_delay_alu instid0(SALU_CYCLE_1)
	s_and_not1_b32 vcc_lo, s34, exec_lo
	s_and_b32 s48, s48, exec_lo
	s_and_b32 s37, s0, exec_lo
	s_or_b32 s0, vcc_lo, s48
.LBB14_7688:
	s_and_not1_saveexec_b32 s39, s39
	s_cbranch_execz .LBB14_7730
; %bb.7689:
	s_mov_b32 s48, s37
	s_mov_b32 s38, exec_lo
	v_cmpx_lt_i16_e32 22, v7
	s_xor_b32 s38, exec_lo, s38
	s_cbranch_execz .LBB14_7721
; %bb.7690:
	s_mov_b32 s48, exec_lo
	v_cmpx_lt_i16_e32 23, v7
	s_xor_b32 s48, exec_lo, s48
	s_cbranch_execz .LBB14_7710
; %bb.7691:
	;; [unrolled: 5-line block ×3, first 2 shown]
	v_and_b32_e32 v0, 0x7fffffff, v8
	v_mov_b32_e32 v1, 0x80
	s_mov_b32 s50, exec_lo
	s_delay_alu instid0(VALU_DEP_2)
	v_cmpx_gt_u32_e32 0x47800000, v0
	s_cbranch_execz .LBB14_7698
; %bb.7693:
	v_cmp_lt_u32_e32 vcc_lo, 0x37ffffff, v0
	s_mov_b32 s51, 0
                                        ; implicit-def: $vgpr0
	s_and_saveexec_b32 s52, vcc_lo
	s_delay_alu instid0(SALU_CYCLE_1)
	s_xor_b32 vcc_lo, exec_lo, s52
	s_cbranch_execnz .LBB14_7941
; %bb.7694:
	s_and_not1_saveexec_b32 s52, vcc_lo
	s_cbranch_execnz .LBB14_7942
.LBB14_7695:
	s_or_b32 exec_lo, exec_lo, s52
	v_mov_b32_e32 v1, 0
	s_and_saveexec_b32 vcc_lo, s51
.LBB14_7696:
	v_lshrrev_b32_e32 v1, 24, v8
	s_delay_alu instid0(VALU_DEP_1)
	v_and_or_b32 v1, 0x80, v1, v0
.LBB14_7697:
	s_or_b32 exec_lo, exec_lo, vcc_lo
.LBB14_7698:
	s_delay_alu instid0(SALU_CYCLE_1)
	s_or_b32 exec_lo, exec_lo, s50
	flat_store_b8 v[38:39], v1
.LBB14_7699:
	s_wait_xcnt 0x0
	s_and_not1_saveexec_b32 s49, s49
	s_cbranch_execz .LBB14_7709
; %bb.7700:
	v_and_b32_e32 v1, 0x7fffffff, v8
	s_mov_b32 s50, exec_lo
                                        ; implicit-def: $vgpr0
	s_delay_alu instid0(VALU_DEP_1)
	v_cmpx_gt_u32_e32 0x43f00000, v1
	s_xor_b32 s50, exec_lo, s50
	s_cbranch_execz .LBB14_7706
; %bb.7701:
	s_mov_b32 s51, exec_lo
                                        ; implicit-def: $vgpr0
	v_cmpx_lt_u32_e32 0x3c7fffff, v1
	s_xor_b32 s51, exec_lo, s51
; %bb.7702:
	v_bfe_u32 v0, v8, 20, 1
	s_delay_alu instid0(VALU_DEP_1) | instskip(NEXT) | instid1(VALU_DEP_1)
	v_add3_u32 v0, v8, v0, 0x407ffff
	v_and_b32_e32 v1, 0xff00000, v0
	v_lshrrev_b32_e32 v0, 20, v0
	s_delay_alu instid0(VALU_DEP_2) | instskip(NEXT) | instid1(VALU_DEP_2)
	v_cmp_ne_u32_e32 vcc_lo, 0x7f00000, v1
	v_cndmask_b32_e32 v0, 0x7e, v0, vcc_lo
; %bb.7703:
	s_and_not1_saveexec_b32 vcc_lo, s51
; %bb.7704:
	v_add_f32_e64 v0, 0x46800000, |v8|
; %bb.7705:
	s_or_b32 exec_lo, exec_lo, vcc_lo
                                        ; implicit-def: $vgpr1
.LBB14_7706:
	s_and_not1_saveexec_b32 s50, s50
; %bb.7707:
	v_mov_b32_e32 v0, 0x7f
	v_cmp_lt_u32_e32 vcc_lo, 0x7f800000, v1
	s_delay_alu instid0(VALU_DEP_2)
	v_cndmask_b32_e32 v0, 0x7e, v0, vcc_lo
; %bb.7708:
	s_or_b32 exec_lo, exec_lo, s50
	v_lshrrev_b32_e32 v1, 24, v8
	s_delay_alu instid0(VALU_DEP_1)
	v_and_or_b32 v0, 0x80, v1, v0
	flat_store_b8 v[38:39], v0
.LBB14_7709:
	s_wait_xcnt 0x0
	s_or_b32 exec_lo, exec_lo, s49
.LBB14_7710:
	s_and_not1_saveexec_b32 s48, s48
	s_cbranch_execz .LBB14_7720
; %bb.7711:
	v_and_b32_e32 v1, 0x7fffffff, v8
	s_mov_b32 s49, exec_lo
                                        ; implicit-def: $vgpr0
	s_delay_alu instid0(VALU_DEP_1)
	v_cmpx_gt_u32_e32 0x47800000, v1
	s_xor_b32 s49, exec_lo, s49
	s_cbranch_execz .LBB14_7717
; %bb.7712:
	v_cmp_lt_u32_e32 vcc_lo, 0x387fffff, v1
                                        ; implicit-def: $vgpr0
	s_and_saveexec_b32 s50, vcc_lo
	s_delay_alu instid0(SALU_CYCLE_1)
	s_xor_b32 vcc_lo, exec_lo, s50
; %bb.7713:
	v_bfe_u32 v0, v8, 21, 1
	s_delay_alu instid0(VALU_DEP_1) | instskip(NEXT) | instid1(VALU_DEP_1)
	v_add3_u32 v0, v8, v0, 0x80fffff
	v_lshrrev_b32_e32 v0, 21, v0
; %bb.7714:
	s_and_not1_saveexec_b32 vcc_lo, vcc_lo
; %bb.7715:
	v_add_f32_e64 v0, 0x43000000, |v8|
; %bb.7716:
	s_or_b32 exec_lo, exec_lo, vcc_lo
                                        ; implicit-def: $vgpr1
.LBB14_7717:
	s_and_not1_saveexec_b32 s49, s49
; %bb.7718:
	v_mov_b32_e32 v0, 0x7f
	v_cmp_lt_u32_e32 vcc_lo, 0x7f800000, v1
	s_delay_alu instid0(VALU_DEP_2)
	v_cndmask_b32_e32 v0, 0x7c, v0, vcc_lo
; %bb.7719:
	s_or_b32 exec_lo, exec_lo, s49
	v_lshrrev_b32_e32 v1, 24, v8
	s_delay_alu instid0(VALU_DEP_1)
	v_and_or_b32 v0, 0x80, v1, v0
	flat_store_b8 v[38:39], v0
.LBB14_7720:
	s_wait_xcnt 0x0
	s_or_b32 exec_lo, exec_lo, s48
	s_delay_alu instid0(SALU_CYCLE_1)
	s_or_b32 s48, s37, exec_lo
.LBB14_7721:
	s_or_saveexec_b32 s38, s38
	s_mov_b32 vcc_lo, 0
	s_mov_b32 s49, s0
	s_xor_b32 exec_lo, exec_lo, s38
	s_cbranch_execz .LBB14_7729
; %bb.7722:
	s_mov_b32 s50, s0
	s_mov_b32 s51, s48
	s_mov_b32 s49, exec_lo
	v_cmpx_lt_i16_e32 14, v7
	s_xor_b32 s49, exec_lo, s49
	s_cbranch_execz .LBB14_7726
; %bb.7723:
	s_mov_b32 s50, -1
	s_mov_b32 s52, s48
	s_mov_b32 s51, exec_lo
	v_cmpx_eq_u16_e32 15, v7
	s_cbranch_execz .LBB14_7725
; %bb.7724:
	v_bfe_u32 v0, v8, 16, 1
	v_cmp_o_f32_e32 vcc_lo, v8, v8
	s_or_b32 s52, s48, exec_lo
	s_xor_b32 s50, exec_lo, -1
	s_delay_alu instid0(VALU_DEP_2) | instskip(NEXT) | instid1(VALU_DEP_1)
	v_add3_u32 v0, v8, v0, 0x7fff
	v_lshrrev_b32_e32 v0, 16, v0
	s_delay_alu instid0(VALU_DEP_1)
	v_cndmask_b32_e32 v0, 0x7fc0, v0, vcc_lo
	flat_store_b16 v[38:39], v0
.LBB14_7725:
	s_wait_xcnt 0x0
	s_or_b32 exec_lo, exec_lo, s51
	s_delay_alu instid0(SALU_CYCLE_1)
	s_and_not1_b32 vcc_lo, s48, exec_lo
	s_and_b32 s51, s52, exec_lo
	s_and_not1_b32 s52, s0, exec_lo
	s_and_b32 s50, s50, exec_lo
	s_or_b32 s51, vcc_lo, s51
	s_or_b32 s50, s52, s50
.LBB14_7726:
	s_or_saveexec_b32 s52, s49
	s_mov_b32 s49, 0
	s_xor_b32 exec_lo, exec_lo, s52
; %bb.7727:
	v_cmp_ne_u16_e32 vcc_lo, 11, v7
	s_and_not1_b32 s50, s50, exec_lo
	s_mov_b32 s49, exec_lo
	s_and_b32 vcc_lo, vcc_lo, exec_lo
	s_delay_alu instid0(SALU_CYCLE_1)
	s_or_b32 s50, s50, vcc_lo
; %bb.7728:
	s_or_b32 exec_lo, exec_lo, s52
	s_delay_alu instid0(SALU_CYCLE_1)
	s_and_not1_b32 vcc_lo, s48, exec_lo
	s_and_b32 s48, s51, exec_lo
	s_and_not1_b32 s51, s0, exec_lo
	s_and_b32 s50, s50, exec_lo
	s_or_b32 s48, vcc_lo, s48
	s_and_b32 vcc_lo, s49, exec_lo
	s_or_b32 s49, s51, s50
.LBB14_7729:
	s_or_b32 exec_lo, exec_lo, s38
	s_delay_alu instid0(SALU_CYCLE_1)
	s_and_not1_b32 s37, s37, exec_lo
	s_and_b32 s38, s48, exec_lo
	s_and_not1_b32 s0, s0, exec_lo
	s_and_b32 s48, s49, exec_lo
	s_or_b32 s37, s37, s38
	s_and_b32 s38, vcc_lo, exec_lo
	s_or_b32 s0, s0, s48
.LBB14_7730:
	s_or_b32 exec_lo, exec_lo, s39
	s_delay_alu instid0(SALU_CYCLE_1)
	s_and_not1_b32 vcc_lo, s34, exec_lo
	s_and_b32 s48, s0, exec_lo
	s_and_b32 s37, s37, exec_lo
	s_xor_b32 s39, exec_lo, -1
	s_and_b32 s0, s38, exec_lo
	s_or_b32 s38, vcc_lo, s48
.LBB14_7731:
	s_or_b32 exec_lo, exec_lo, s2
	s_delay_alu instid0(SALU_CYCLE_1)
	s_and_not1_b32 s2, s34, exec_lo
	s_and_b32 vcc_lo, s38, exec_lo
	s_or_not1_b32 s37, s37, exec_lo
	s_and_b32 s39, s39, exec_lo
	s_and_b32 s0, s0, exec_lo
	s_or_b32 s38, s2, vcc_lo
.LBB14_7732:
	s_or_b32 exec_lo, exec_lo, s36
	s_delay_alu instid0(SALU_CYCLE_1)
	s_and_not1_b32 s2, s34, exec_lo
	s_and_b32 s34, s38, exec_lo
	s_and_b32 s37, s37, exec_lo
	;; [unrolled: 1-line block ×3, first 2 shown]
	s_and_b32 vcc_lo, s0, exec_lo
	s_or_b32 s34, s2, s34
.LBB14_7733:
	s_or_b32 exec_lo, exec_lo, s35
	s_delay_alu instid0(SALU_CYCLE_1)
	s_and_not1_b32 s0, vcc_hi, exec_lo
	s_and_b32 s2, s34, exec_lo
	s_or_not1_b32 s35, s37, exec_lo
	s_and_b32 s37, s36, exec_lo
	s_and_b32 vcc_lo, vcc_lo, exec_lo
	s_or_b32 s36, s0, s2
.LBB14_7734:
	s_or_b32 exec_lo, exec_lo, s31
	s_delay_alu instid0(SALU_CYCLE_1)
	s_and_not1_b32 s0, vcc_hi, exec_lo
	s_and_b32 s2, s36, exec_lo
	s_and_b32 s35, s35, exec_lo
	;; [unrolled: 1-line block ×3, first 2 shown]
	s_and_b32 s31, vcc_lo, exec_lo
	s_or_b32 vcc_hi, s0, s2
.LBB14_7735:
	s_or_b32 exec_lo, exec_lo, s30
	s_delay_alu instid0(SALU_CYCLE_1)
	s_and_not1_b32 s2, s94, exec_lo
	s_and_b32 s94, vcc_hi, exec_lo
	s_and_b32 s30, s35, exec_lo
	s_and_b32 s0, s34, exec_lo
	s_and_b32 vcc_hi, s31, exec_lo
	s_or_b32 s94, s2, s94
.LBB14_7736:
	s_or_b32 exec_lo, exec_lo, s95
	s_delay_alu instid0(SALU_CYCLE_1)
	s_and_b32 s95, s0, exec_lo
	s_and_not1_b32 s0, s92, exec_lo
	s_and_b32 s2, s94, exec_lo
	s_and_b32 vcc_lo, s30, exec_lo
	s_and_b32 s94, vcc_hi, exec_lo
	s_or_b32 s92, s0, s2
.LBB14_7737:
	s_or_b32 exec_lo, exec_lo, s93
	s_delay_alu instid0(SALU_CYCLE_1)
	s_and_not1_b32 s2, s90, exec_lo
	s_and_b32 s90, s92, exec_lo
	s_and_b32 s93, vcc_lo, exec_lo
	s_and_b32 s0, s95, exec_lo
	s_and_b32 s92, s94, exec_lo
	s_or_b32 s90, s2, s90
.LBB14_7738:
	s_or_b32 exec_lo, exec_lo, s91
	s_delay_alu instid0(SALU_CYCLE_1)
	s_and_b32 s91, s0, exec_lo
	s_and_not1_b32 s0, s88, exec_lo
	s_and_b32 s2, s90, exec_lo
	s_and_b32 s93, s93, exec_lo
	;; [unrolled: 1-line block ×3, first 2 shown]
	s_or_b32 s88, s0, s2
.LBB14_7739:
	s_or_b32 exec_lo, exec_lo, s89
	s_delay_alu instid0(SALU_CYCLE_1)
	s_and_not1_b32 s2, s78, exec_lo
	s_and_b32 s78, s88, exec_lo
	s_and_b32 s89, s93, exec_lo
	;; [unrolled: 1-line block ×4, first 2 shown]
	s_or_b32 s78, s2, s78
.LBB14_7740:
	s_or_b32 exec_lo, exec_lo, s79
	s_delay_alu instid0(SALU_CYCLE_1)
	s_and_b32 s79, s0, exec_lo
	s_and_not1_b32 s0, s76, exec_lo
	s_and_b32 s2, s78, exec_lo
	s_and_b32 s89, s89, exec_lo
	;; [unrolled: 1-line block ×3, first 2 shown]
	s_or_b32 s76, s0, s2
.LBB14_7741:
	s_or_b32 exec_lo, exec_lo, s77
	s_delay_alu instid0(SALU_CYCLE_1)
	s_and_not1_b32 s2, s74, exec_lo
	s_and_b32 s74, s76, exec_lo
	s_and_b32 s77, s89, exec_lo
	;; [unrolled: 1-line block ×4, first 2 shown]
	s_or_b32 s74, s2, s74
.LBB14_7742:
	s_or_b32 exec_lo, exec_lo, s75
	s_delay_alu instid0(SALU_CYCLE_1)
	s_and_b32 s75, s0, exec_lo
	s_and_not1_b32 s0, s72, exec_lo
	s_and_b32 s2, s74, exec_lo
	s_and_b32 s77, s77, exec_lo
	;; [unrolled: 1-line block ×3, first 2 shown]
	s_or_b32 s72, s0, s2
.LBB14_7743:
	s_or_b32 exec_lo, exec_lo, s73
	s_delay_alu instid0(SALU_CYCLE_1)
	s_and_not1_b32 s2, s62, exec_lo
	s_and_b32 s62, s72, exec_lo
	s_and_b32 s73, s77, exec_lo
	;; [unrolled: 1-line block ×4, first 2 shown]
	s_or_b32 s62, s2, s62
.LBB14_7744:
	s_or_b32 exec_lo, exec_lo, s63
	s_delay_alu instid0(SALU_CYCLE_1)
	s_and_b32 s63, s0, exec_lo
	s_and_not1_b32 s0, s60, exec_lo
	s_and_b32 s2, s62, exec_lo
	s_and_b32 s73, s73, exec_lo
	;; [unrolled: 1-line block ×3, first 2 shown]
	s_or_b32 s60, s0, s2
.LBB14_7745:
	s_or_b32 exec_lo, exec_lo, s61
	s_delay_alu instid0(SALU_CYCLE_1)
	s_and_not1_b32 s2, s58, exec_lo
	s_and_b32 s58, s60, exec_lo
	s_and_b32 s61, s73, exec_lo
	;; [unrolled: 1-line block ×4, first 2 shown]
	s_or_b32 s58, s2, s58
.LBB14_7746:
	s_or_b32 exec_lo, exec_lo, s59
	s_delay_alu instid0(SALU_CYCLE_1)
	s_and_b32 s59, s0, exec_lo
	s_and_not1_b32 s0, s56, exec_lo
	s_and_b32 s2, s58, exec_lo
	s_and_b32 s61, s61, exec_lo
	;; [unrolled: 1-line block ×3, first 2 shown]
	s_or_b32 s56, s0, s2
.LBB14_7747:
	s_or_b32 exec_lo, exec_lo, s57
	s_delay_alu instid0(SALU_CYCLE_1)
	s_and_not1_b32 s2, s46, exec_lo
	s_and_b32 s46, s56, exec_lo
	s_and_b32 s57, s61, exec_lo
	;; [unrolled: 1-line block ×4, first 2 shown]
	s_or_b32 s46, s2, s46
.LBB14_7748:
	s_or_b32 exec_lo, exec_lo, s47
	s_delay_alu instid0(SALU_CYCLE_1)
	s_and_b32 s47, s0, exec_lo
	s_and_not1_b32 s0, s44, exec_lo
	s_and_b32 s2, s46, exec_lo
	s_and_b32 s57, s57, exec_lo
	;; [unrolled: 1-line block ×3, first 2 shown]
	s_or_b32 s44, s0, s2
.LBB14_7749:
	s_or_b32 exec_lo, exec_lo, s45
	s_delay_alu instid0(SALU_CYCLE_1)
	s_and_not1_b32 s2, s42, exec_lo
	s_and_b32 s42, s44, exec_lo
	s_and_b32 s45, s57, exec_lo
	;; [unrolled: 1-line block ×4, first 2 shown]
	s_or_b32 s42, s2, s42
.LBB14_7750:
	s_or_b32 exec_lo, exec_lo, s43
	s_delay_alu instid0(SALU_CYCLE_1)
	s_and_b32 s43, s0, exec_lo
	s_and_not1_b32 s0, s40, exec_lo
	s_and_b32 s2, s42, exec_lo
	s_and_b32 s45, s45, exec_lo
	;; [unrolled: 1-line block ×3, first 2 shown]
	s_or_b32 s40, s0, s2
.LBB14_7751:
	s_or_b32 exec_lo, exec_lo, s41
	s_delay_alu instid0(SALU_CYCLE_1)
	s_and_not1_b32 s2, s28, exec_lo
	s_and_b32 s28, s40, exec_lo
	s_and_b32 s41, s45, exec_lo
	s_and_b32 s0, s43, exec_lo
	s_and_b32 s40, s42, exec_lo
	s_or_b32 s28, s2, s28
.LBB14_7752:
	s_or_b32 exec_lo, exec_lo, s29
	s_delay_alu instid0(SALU_CYCLE_1)
	s_and_b32 s29, s0, exec_lo
	s_and_not1_b32 s0, s26, exec_lo
	s_and_b32 s2, s28, exec_lo
	s_and_b32 s41, s41, exec_lo
	s_and_b32 s28, s40, exec_lo
	s_or_b32 s26, s0, s2
.LBB14_7753:
	s_or_b32 exec_lo, exec_lo, s27
	s_delay_alu instid0(SALU_CYCLE_1)
	s_and_not1_b32 s2, s24, exec_lo
	s_and_b32 s24, s26, exec_lo
	s_and_b32 s27, s41, exec_lo
	;; [unrolled: 1-line block ×4, first 2 shown]
	s_or_b32 s24, s2, s24
.LBB14_7754:
	s_or_b32 exec_lo, exec_lo, s25
	s_delay_alu instid0(SALU_CYCLE_1)
	s_and_b32 s25, s0, exec_lo
	s_and_not1_b32 s0, s22, exec_lo
	s_and_b32 s2, s24, exec_lo
	s_and_b32 s27, s27, exec_lo
	;; [unrolled: 1-line block ×3, first 2 shown]
	s_or_b32 s22, s0, s2
.LBB14_7755:
	s_or_b32 exec_lo, exec_lo, s23
	s_delay_alu instid0(SALU_CYCLE_1)
	s_and_not1_b32 s2, s20, exec_lo
	s_and_b32 s20, s22, exec_lo
	s_and_b32 s23, s27, exec_lo
	;; [unrolled: 1-line block ×4, first 2 shown]
	s_or_b32 s20, s2, s20
.LBB14_7756:
	s_or_b32 exec_lo, exec_lo, s21
	s_delay_alu instid0(SALU_CYCLE_1)
	s_and_b32 s21, s0, exec_lo
	s_and_not1_b32 s0, s18, exec_lo
	s_and_b32 s2, s20, exec_lo
	s_and_b32 s23, s23, exec_lo
	;; [unrolled: 1-line block ×3, first 2 shown]
	s_or_b32 s18, s0, s2
.LBB14_7757:
	s_or_b32 exec_lo, exec_lo, s19
	s_delay_alu instid0(SALU_CYCLE_1)
	s_and_not1_b32 s2, s16, exec_lo
	s_and_b32 s16, s18, exec_lo
	s_and_b32 s19, s23, exec_lo
	;; [unrolled: 1-line block ×4, first 2 shown]
	s_or_b32 s16, s2, s16
.LBB14_7758:
	s_or_b32 exec_lo, exec_lo, s17
	s_delay_alu instid0(SALU_CYCLE_1)
	s_and_b32 s17, s0, exec_lo
	s_and_not1_b32 s0, s14, exec_lo
	s_and_b32 s2, s16, exec_lo
	s_and_b32 s19, s19, exec_lo
	;; [unrolled: 1-line block ×3, first 2 shown]
	s_or_b32 s14, s0, s2
.LBB14_7759:
	s_or_b32 exec_lo, exec_lo, s15
	s_delay_alu instid0(SALU_CYCLE_1)
	s_and_not1_b32 s2, s12, exec_lo
	s_and_b32 s12, s14, exec_lo
	s_and_b32 s15, s19, exec_lo
	;; [unrolled: 1-line block ×4, first 2 shown]
	s_or_b32 s12, s2, s12
.LBB14_7760:
	s_or_b32 exec_lo, exec_lo, s13
	s_delay_alu instid0(SALU_CYCLE_1)
	s_and_b32 s13, s0, exec_lo
	s_and_not1_b32 s0, s10, exec_lo
	s_and_b32 s2, s12, exec_lo
	s_and_b32 s15, s15, exec_lo
	s_and_b32 s12, s14, exec_lo
	s_or_b32 s10, s0, s2
.LBB14_7761:
	s_or_b32 exec_lo, exec_lo, s11
	s_delay_alu instid0(SALU_CYCLE_1)
	s_and_not1_b32 s2, s8, exec_lo
	s_and_b32 s8, s10, exec_lo
	s_and_b32 s11, s15, exec_lo
	s_and_b32 s0, s13, exec_lo
	s_and_b32 s10, s12, exec_lo
	s_or_b32 s8, s2, s8
.LBB14_7762:
	s_or_b32 exec_lo, exec_lo, s9
	s_delay_alu instid0(SALU_CYCLE_1)
	s_and_b32 s9, s0, exec_lo
	s_and_not1_b32 s0, s6, exec_lo
	s_and_b32 s2, s8, exec_lo
	s_and_b32 s11, s11, exec_lo
	;; [unrolled: 1-line block ×3, first 2 shown]
	s_or_b32 s6, s0, s2
.LBB14_7763:
	s_or_b32 exec_lo, exec_lo, s7
	s_delay_alu instid0(SALU_CYCLE_1)
	s_and_not1_b32 s1, s1, exec_lo
	s_and_b32 s2, s6, exec_lo
	s_and_b32 s0, s11, exec_lo
	;; [unrolled: 1-line block ×4, first 2 shown]
	s_or_b32 s1, s1, s2
.LBB14_7764:
	s_or_b32 exec_lo, exec_lo, s5
	s_mov_b32 s2, 0
	s_and_saveexec_b32 s5, s1
	s_cbranch_execnz .LBB14_7767
; %bb.7765:
	s_or_b32 exec_lo, exec_lo, s5
	s_and_saveexec_b32 s1, s6
	s_delay_alu instid0(SALU_CYCLE_1)
	s_xor_b32 s1, exec_lo, s1
	s_cbranch_execnz .LBB14_7768
.LBB14_7766:
	s_or_b32 exec_lo, exec_lo, s1
	s_and_saveexec_b32 s1, s7
	s_cbranch_execnz .LBB14_7769
	s_branch .LBB14_7810
.LBB14_7767:
	s_mov_b32 s2, exec_lo
	s_and_not1_b32 s6, s6, exec_lo
	s_trap 2
	s_or_b32 exec_lo, exec_lo, s5
	s_and_saveexec_b32 s1, s6
	s_delay_alu instid0(SALU_CYCLE_1)
	s_xor_b32 s1, exec_lo, s1
	s_cbranch_execz .LBB14_7766
.LBB14_7768:
	v_cmp_neq_f32_e32 vcc_lo, 0, v8
	s_or_b32 s0, s0, exec_lo
	v_cndmask_b32_e64 v0, 0, 1, vcc_lo
	flat_store_b8 v[38:39], v0
	s_wait_xcnt 0x0
	s_or_b32 exec_lo, exec_lo, s1
	s_and_saveexec_b32 s1, s7
	s_cbranch_execz .LBB14_7810
.LBB14_7769:
	s_mov_b32 s5, exec_lo
	v_cmpx_lt_i16_e32 4, v7
	s_xor_b32 s5, exec_lo, s5
	s_cbranch_execz .LBB14_7791
; %bb.7770:
	s_mov_b32 s6, exec_lo
	v_cmpx_lt_i16_e32 7, v7
	s_xor_b32 s6, exec_lo, s6
	s_cbranch_execz .LBB14_7780
; %bb.7771:
	;; [unrolled: 5-line block ×4, first 2 shown]
	v_cvt_f64_f32_e32 v[0:1], v8
	s_wait_loadcnt 0x0
	v_mov_b32_e32 v2, 0
	s_delay_alu instid0(VALU_DEP_1)
	v_mov_b32_e32 v3, v2
	flat_store_b128 v[38:39], v[0:3]
.LBB14_7774:
	s_wait_xcnt 0x0
	s_and_not1_saveexec_b32 s8, s8
	s_cbranch_execz .LBB14_7776
; %bb.7775:
	v_mov_b32_e32 v9, 0
	flat_store_b64 v[38:39], v[8:9]
.LBB14_7776:
	s_wait_xcnt 0x0
	s_or_b32 exec_lo, exec_lo, s8
.LBB14_7777:
	s_and_not1_saveexec_b32 s7, s7
	s_cbranch_execz .LBB14_7779
; %bb.7778:
	v_cvt_f16_f32_e32 v0, v8
	s_delay_alu instid0(VALU_DEP_1)
	v_and_b32_e32 v0, 0xffff, v0
	flat_store_b32 v[38:39], v0
.LBB14_7779:
	s_wait_xcnt 0x0
	s_or_b32 exec_lo, exec_lo, s7
.LBB14_7780:
	s_and_not1_saveexec_b32 s6, s6
	s_cbranch_execz .LBB14_7790
; %bb.7781:
	s_mov_b32 s7, exec_lo
	v_cmpx_lt_i16_e32 5, v7
	s_xor_b32 s7, exec_lo, s7
	s_cbranch_execz .LBB14_7787
; %bb.7782:
	s_mov_b32 s8, exec_lo
	v_cmpx_lt_i16_e32 6, v7
	s_xor_b32 s8, exec_lo, s8
	s_cbranch_execz .LBB14_7784
; %bb.7783:
	v_cvt_f64_f32_e32 v[0:1], v8
	flat_store_b64 v[38:39], v[0:1]
.LBB14_7784:
	s_wait_xcnt 0x0
	s_and_not1_saveexec_b32 s8, s8
	s_cbranch_execz .LBB14_7786
; %bb.7785:
	flat_store_b32 v[38:39], v8
.LBB14_7786:
	s_wait_xcnt 0x0
	s_or_b32 exec_lo, exec_lo, s8
.LBB14_7787:
	s_and_not1_saveexec_b32 s7, s7
	s_cbranch_execz .LBB14_7789
; %bb.7788:
	v_cvt_f16_f32_e32 v0, v8
	flat_store_b16 v[38:39], v0
.LBB14_7789:
	s_wait_xcnt 0x0
	s_or_b32 exec_lo, exec_lo, s7
.LBB14_7790:
	s_delay_alu instid0(SALU_CYCLE_1)
	s_or_b32 exec_lo, exec_lo, s6
.LBB14_7791:
	s_and_not1_saveexec_b32 s5, s5
	s_cbranch_execz .LBB14_7809
; %bb.7792:
	s_mov_b32 s6, exec_lo
	v_cmpx_lt_i16_e32 1, v7
	s_xor_b32 s6, exec_lo, s6
	s_cbranch_execz .LBB14_7802
; %bb.7793:
	s_mov_b32 s7, exec_lo
	v_cmpx_lt_i16_e32 2, v7
	s_xor_b32 s7, exec_lo, s7
	;; [unrolled: 5-line block ×3, first 2 shown]
	s_cbranch_execz .LBB14_7796
; %bb.7795:
	v_trunc_f32_e32 v0, v8
	s_delay_alu instid0(VALU_DEP_1) | instskip(NEXT) | instid1(VALU_DEP_1)
	v_mul_f32_e64 v1, 0x2f800000, |v0|
	v_floor_f32_e32 v1, v1
	s_wait_loadcnt 0x0
	s_delay_alu instid0(VALU_DEP_1) | instskip(SKIP_2) | instid1(VALU_DEP_3)
	v_fma_f32 v2, 0xcf800000, v1, |v0|
	v_ashrrev_i32_e32 v0, 31, v0
	v_cvt_u32_f32_e32 v3, v1
	v_cvt_u32_f32_e32 v2, v2
	s_delay_alu instid0(VALU_DEP_2) | instskip(NEXT) | instid1(VALU_DEP_2)
	v_dual_mov_b32 v1, v0 :: v_dual_bitop2_b32 v3, v3, v0 bitop3:0x14
	v_xor_b32_e32 v2, v2, v0
	s_delay_alu instid0(VALU_DEP_1)
	v_sub_nc_u64_e32 v[0:1], v[2:3], v[0:1]
	flat_store_b64 v[38:39], v[0:1]
                                        ; implicit-def: $vgpr38_vgpr39
.LBB14_7796:
	s_wait_xcnt 0x0
	s_and_not1_saveexec_b32 s8, s8
	s_cbranch_execz .LBB14_7798
; %bb.7797:
	v_cvt_i32_f32_e32 v0, v8
	flat_store_b32 v[38:39], v0
.LBB14_7798:
	s_wait_xcnt 0x0
	s_or_b32 exec_lo, exec_lo, s8
                                        ; implicit-def: $vgpr38_vgpr39
.LBB14_7799:
	s_and_not1_saveexec_b32 s7, s7
	s_cbranch_execz .LBB14_7801
; %bb.7800:
	v_cvt_i32_f32_e32 v0, v8
	flat_store_b16 v[38:39], v0
.LBB14_7801:
	s_wait_xcnt 0x0
	s_or_b32 exec_lo, exec_lo, s7
                                        ; implicit-def: $vgpr38_vgpr39
.LBB14_7802:
	s_and_not1_saveexec_b32 s6, s6
	s_cbranch_execz .LBB14_7808
; %bb.7803:
	s_mov_b32 s7, exec_lo
	v_cmpx_lt_i16_e32 0, v7
	s_xor_b32 s7, exec_lo, s7
	s_cbranch_execz .LBB14_7805
; %bb.7804:
	v_cvt_i32_f32_e32 v0, v8
                                        ; implicit-def: $vgpr8
	flat_store_b8 v[38:39], v0
                                        ; implicit-def: $vgpr38_vgpr39
.LBB14_7805:
	s_wait_xcnt 0x0
	s_and_not1_saveexec_b32 s7, s7
	s_cbranch_execz .LBB14_7807
; %bb.7806:
	v_trunc_f32_e32 v0, v8
	s_delay_alu instid0(VALU_DEP_1) | instskip(NEXT) | instid1(VALU_DEP_1)
	v_mul_f32_e64 v1, 0x2f800000, |v0|
	v_floor_f32_e32 v1, v1
	s_delay_alu instid0(VALU_DEP_1) | instskip(SKIP_1) | instid1(VALU_DEP_2)
	v_fma_f32 v1, 0xcf800000, v1, |v0|
	v_ashrrev_i32_e32 v0, 31, v0
	v_cvt_u32_f32_e32 v1, v1
	s_delay_alu instid0(VALU_DEP_1) | instskip(NEXT) | instid1(VALU_DEP_1)
	v_xor_b32_e32 v1, v1, v0
	v_sub_nc_u32_e32 v0, v1, v0
	flat_store_b8 v[38:39], v0
.LBB14_7807:
	s_wait_xcnt 0x0
	s_or_b32 exec_lo, exec_lo, s7
.LBB14_7808:
	s_delay_alu instid0(SALU_CYCLE_1)
	s_or_b32 exec_lo, exec_lo, s6
.LBB14_7809:
	s_delay_alu instid0(SALU_CYCLE_1) | instskip(NEXT) | instid1(SALU_CYCLE_1)
	s_or_b32 exec_lo, exec_lo, s5
	s_or_b32 s0, s0, exec_lo
.LBB14_7810:
	s_or_b32 exec_lo, exec_lo, s1
	s_and_saveexec_b32 s1, s0
	s_delay_alu instid0(SALU_CYCLE_1) | instskip(NEXT) | instid1(SALU_CYCLE_1)
	s_xor_b32 s0, exec_lo, s1
	s_or_b32 exec_lo, exec_lo, s0
	s_delay_alu instid0(SALU_CYCLE_1)
	s_and_b32 s0, s2, exec_lo
.LBB14_7811:
	s_and_not1_saveexec_b32 s1, s4
	s_cbranch_execnz .LBB14_7814
.LBB14_7812:
	s_or_b32 exec_lo, exec_lo, s1
	s_delay_alu instid0(SALU_CYCLE_1)
	s_and_b32 s0, s0, exec_lo
	s_and_not1_saveexec_b32 s1, s3
	s_cbranch_execz .LBB14_3652
.LBB14_7813:
	s_or_b32 s0, s0, exec_lo
	s_trap 2
	s_or_b32 exec_lo, exec_lo, s1
	s_and_saveexec_b32 s1, s0
	s_cbranch_execnz .LBB14_3653
	s_branch .LBB14_3654
.LBB14_7814:
	s_or_b32 s0, s0, exec_lo
	s_trap 2
	s_branch .LBB14_7812
.LBB14_7815:
	v_bfe_u32 v10, v38, 20, 1
	s_mov_b32 s14, exec_lo
	s_delay_alu instid0(VALU_DEP_1) | instskip(NEXT) | instid1(VALU_DEP_1)
	v_add3_u32 v10, v38, v10, 0x487ffff
	v_lshrrev_b32_e32 v10, 20, v10
	s_and_not1_saveexec_b32 s15, s0
	s_cbranch_execz .LBB14_3688
.LBB14_7816:
	v_add_f32_e64 v10, 0x46000000, |v38|
	s_and_not1_b32 s14, s14, exec_lo
	s_delay_alu instid0(VALU_DEP_1) | instskip(NEXT) | instid1(VALU_DEP_1)
	v_and_b32_e32 v10, 0xff, v10
	v_cmp_ne_u32_e64 s0, 0, v10
	s_and_b32 s0, s0, exec_lo
	s_delay_alu instid0(SALU_CYCLE_1)
	s_or_b32 s14, s14, s0
	s_or_b32 exec_lo, exec_lo, s15
	v_mov_b32_e32 v13, 0
	s_and_saveexec_b32 s0, s14
	s_cbranch_execnz .LBB14_3689
	s_branch .LBB14_3690
.LBB14_7817:
	v_bfe_u32 v10, v38, 21, 1
	s_mov_b32 s15, exec_lo
	s_delay_alu instid0(VALU_DEP_1) | instskip(NEXT) | instid1(VALU_DEP_1)
	v_add3_u32 v10, v38, v10, 0x88fffff
	v_lshrrev_b32_e32 v10, 21, v10
	s_and_not1_saveexec_b32 s16, s0
	s_cbranch_execz .LBB14_3701
.LBB14_7818:
	v_add_f32_e64 v10, 0x42800000, |v38|
	s_and_not1_b32 s15, s15, exec_lo
	s_delay_alu instid0(VALU_DEP_1) | instskip(NEXT) | instid1(VALU_DEP_1)
	v_and_b32_e32 v10, 0xff, v10
	v_cmp_ne_u32_e64 s0, 0, v10
	s_and_b32 s0, s0, exec_lo
	s_delay_alu instid0(SALU_CYCLE_1)
	s_or_b32 s15, s15, s0
	s_or_b32 exec_lo, exec_lo, s16
	v_mov_b32_e32 v13, 0
	s_and_saveexec_b32 s0, s15
	s_cbranch_execnz .LBB14_3702
	s_branch .LBB14_3703
.LBB14_7819:
	v_bfe_u32 v7, v38, 20, 1
	s_mov_b32 s14, exec_lo
	s_delay_alu instid0(VALU_DEP_1) | instskip(NEXT) | instid1(VALU_DEP_1)
	v_add3_u32 v7, v38, v7, 0x487ffff
	v_lshrrev_b32_e32 v7, 20, v7
	s_and_not1_saveexec_b32 s15, s15
	s_cbranch_execz .LBB14_3815
.LBB14_7820:
	v_add_f32_e64 v7, 0x46000000, |v38|
	s_and_not1_b32 s14, s14, exec_lo
	s_delay_alu instid0(VALU_DEP_1) | instskip(NEXT) | instid1(VALU_DEP_1)
	v_and_b32_e32 v7, 0xff, v7
	v_cmp_ne_u32_e32 vcc_lo, 0, v7
	s_and_b32 s16, vcc_lo, exec_lo
	s_delay_alu instid0(SALU_CYCLE_1)
	s_or_b32 s14, s14, s16
	s_or_b32 exec_lo, exec_lo, s15
	v_mov_b32_e32 v10, 0
	s_and_saveexec_b32 s15, s14
	s_cbranch_execnz .LBB14_3816
	s_branch .LBB14_3817
.LBB14_7821:
	v_bfe_u32 v7, v38, 21, 1
	s_mov_b32 s15, exec_lo
	s_delay_alu instid0(VALU_DEP_1) | instskip(NEXT) | instid1(VALU_DEP_1)
	v_add3_u32 v7, v38, v7, 0x88fffff
	v_lshrrev_b32_e32 v7, 21, v7
	s_and_not1_saveexec_b32 s16, s16
	s_cbranch_execz .LBB14_3828
.LBB14_7822:
	v_add_f32_e64 v7, 0x42800000, |v38|
	s_and_not1_b32 s15, s15, exec_lo
	s_delay_alu instid0(VALU_DEP_1) | instskip(NEXT) | instid1(VALU_DEP_1)
	v_and_b32_e32 v7, 0xff, v7
	v_cmp_ne_u32_e32 vcc_lo, 0, v7
	s_and_b32 s17, vcc_lo, exec_lo
	s_delay_alu instid0(SALU_CYCLE_1)
	s_or_b32 s15, s15, s17
	s_or_b32 exec_lo, exec_lo, s16
	v_mov_b32_e32 v10, 0
	s_and_saveexec_b32 s16, s15
	s_cbranch_execnz .LBB14_3829
	s_branch .LBB14_3830
.LBB14_7823:
	v_bfe_u32 v7, v38, 20, 1
	s_mov_b32 s16, exec_lo
	s_delay_alu instid0(VALU_DEP_1) | instskip(NEXT) | instid1(VALU_DEP_1)
	v_add3_u32 v7, v38, v7, 0x487ffff
	v_lshrrev_b32_e32 v7, 20, v7
	s_and_not1_saveexec_b32 s17, s17
	s_cbranch_execz .LBB14_3944
.LBB14_7824:
	v_add_f32_e64 v7, 0x46000000, |v38|
	s_and_not1_b32 s16, s16, exec_lo
	s_delay_alu instid0(VALU_DEP_1) | instskip(NEXT) | instid1(VALU_DEP_1)
	v_and_b32_e32 v7, 0xff, v7
	v_cmp_ne_u32_e32 vcc_lo, 0, v7
	s_and_b32 s18, vcc_lo, exec_lo
	s_delay_alu instid0(SALU_CYCLE_1)
	s_or_b32 s16, s16, s18
	s_or_b32 exec_lo, exec_lo, s17
	v_mov_b32_e32 v10, 0
	s_and_saveexec_b32 s17, s16
	s_cbranch_execnz .LBB14_3945
	s_branch .LBB14_3946
.LBB14_7825:
	v_bfe_u32 v7, v38, 21, 1
	s_mov_b32 s17, exec_lo
	s_delay_alu instid0(VALU_DEP_1) | instskip(NEXT) | instid1(VALU_DEP_1)
	v_add3_u32 v7, v38, v7, 0x88fffff
	v_lshrrev_b32_e32 v7, 21, v7
	s_and_not1_saveexec_b32 s18, s18
	s_cbranch_execz .LBB14_3957
.LBB14_7826:
	v_add_f32_e64 v7, 0x42800000, |v38|
	s_and_not1_b32 s17, s17, exec_lo
	s_delay_alu instid0(VALU_DEP_1) | instskip(NEXT) | instid1(VALU_DEP_1)
	v_and_b32_e32 v7, 0xff, v7
	v_cmp_ne_u32_e32 vcc_lo, 0, v7
	s_and_b32 s19, vcc_lo, exec_lo
	s_delay_alu instid0(SALU_CYCLE_1)
	s_or_b32 s17, s17, s19
	s_or_b32 exec_lo, exec_lo, s18
	v_mov_b32_e32 v10, 0
	s_and_saveexec_b32 s18, s17
	s_cbranch_execnz .LBB14_3958
	s_branch .LBB14_3959
.LBB14_7827:
	v_bfe_u32 v7, v38, 20, 1
	s_mov_b32 s18, exec_lo
	s_delay_alu instid0(VALU_DEP_1) | instskip(NEXT) | instid1(VALU_DEP_1)
	v_add3_u32 v7, v38, v7, 0x487ffff
	v_lshrrev_b32_e32 v7, 20, v7
	s_and_not1_saveexec_b32 s19, s19
	s_cbranch_execz .LBB14_4073
.LBB14_7828:
	v_add_f32_e64 v7, 0x46000000, |v38|
	s_and_not1_b32 s18, s18, exec_lo
	s_delay_alu instid0(VALU_DEP_1) | instskip(NEXT) | instid1(VALU_DEP_1)
	v_and_b32_e32 v7, 0xff, v7
	v_cmp_ne_u32_e32 vcc_lo, 0, v7
	s_and_b32 s20, vcc_lo, exec_lo
	s_delay_alu instid0(SALU_CYCLE_1)
	s_or_b32 s18, s18, s20
	s_or_b32 exec_lo, exec_lo, s19
	v_mov_b32_e32 v10, 0
	s_and_saveexec_b32 s19, s18
	s_cbranch_execnz .LBB14_4074
	s_branch .LBB14_4075
.LBB14_7829:
	v_bfe_u32 v7, v38, 21, 1
	s_mov_b32 s19, exec_lo
	s_delay_alu instid0(VALU_DEP_1) | instskip(NEXT) | instid1(VALU_DEP_1)
	v_add3_u32 v7, v38, v7, 0x88fffff
	v_lshrrev_b32_e32 v7, 21, v7
	s_and_not1_saveexec_b32 s20, s20
	s_cbranch_execz .LBB14_4086
.LBB14_7830:
	v_add_f32_e64 v7, 0x42800000, |v38|
	s_and_not1_b32 s19, s19, exec_lo
	s_delay_alu instid0(VALU_DEP_1) | instskip(NEXT) | instid1(VALU_DEP_1)
	v_and_b32_e32 v7, 0xff, v7
	v_cmp_ne_u32_e32 vcc_lo, 0, v7
	s_and_b32 s21, vcc_lo, exec_lo
	s_delay_alu instid0(SALU_CYCLE_1)
	s_or_b32 s19, s19, s21
	s_or_b32 exec_lo, exec_lo, s20
	v_mov_b32_e32 v10, 0
	s_and_saveexec_b32 s20, s19
	s_cbranch_execnz .LBB14_4087
	s_branch .LBB14_4088
.LBB14_7831:
	v_bfe_u32 v7, v38, 20, 1
	s_mov_b32 s20, exec_lo
	s_delay_alu instid0(VALU_DEP_1) | instskip(NEXT) | instid1(VALU_DEP_1)
	v_add3_u32 v7, v38, v7, 0x487ffff
	v_lshrrev_b32_e32 v7, 20, v7
	s_and_not1_saveexec_b32 s21, s21
	s_cbranch_execz .LBB14_4202
.LBB14_7832:
	v_add_f32_e64 v7, 0x46000000, |v38|
	s_and_not1_b32 s20, s20, exec_lo
	s_delay_alu instid0(VALU_DEP_1) | instskip(NEXT) | instid1(VALU_DEP_1)
	v_and_b32_e32 v7, 0xff, v7
	v_cmp_ne_u32_e32 vcc_lo, 0, v7
	s_and_b32 s22, vcc_lo, exec_lo
	s_delay_alu instid0(SALU_CYCLE_1)
	s_or_b32 s20, s20, s22
	s_or_b32 exec_lo, exec_lo, s21
	v_mov_b32_e32 v10, 0
	s_and_saveexec_b32 s21, s20
	s_cbranch_execnz .LBB14_4203
	s_branch .LBB14_4204
.LBB14_7833:
	v_bfe_u32 v7, v38, 21, 1
	s_mov_b32 s21, exec_lo
	s_delay_alu instid0(VALU_DEP_1) | instskip(NEXT) | instid1(VALU_DEP_1)
	v_add3_u32 v7, v38, v7, 0x88fffff
	v_lshrrev_b32_e32 v7, 21, v7
	s_and_not1_saveexec_b32 s22, s22
	s_cbranch_execz .LBB14_4215
.LBB14_7834:
	v_add_f32_e64 v7, 0x42800000, |v38|
	s_and_not1_b32 s21, s21, exec_lo
	s_delay_alu instid0(VALU_DEP_1) | instskip(NEXT) | instid1(VALU_DEP_1)
	v_and_b32_e32 v7, 0xff, v7
	v_cmp_ne_u32_e32 vcc_lo, 0, v7
	s_and_b32 s23, vcc_lo, exec_lo
	s_delay_alu instid0(SALU_CYCLE_1)
	s_or_b32 s21, s21, s23
	s_or_b32 exec_lo, exec_lo, s22
	v_mov_b32_e32 v10, 0
	s_and_saveexec_b32 s22, s21
	s_cbranch_execnz .LBB14_4216
	s_branch .LBB14_4217
.LBB14_7835:
	v_bfe_u32 v7, v38, 20, 1
	s_mov_b32 s22, exec_lo
	s_delay_alu instid0(VALU_DEP_1) | instskip(NEXT) | instid1(VALU_DEP_1)
	v_add3_u32 v7, v38, v7, 0x487ffff
	v_lshrrev_b32_e32 v7, 20, v7
	s_and_not1_saveexec_b32 s23, s23
	s_cbranch_execz .LBB14_4331
.LBB14_7836:
	v_add_f32_e64 v7, 0x46000000, |v38|
	s_and_not1_b32 s22, s22, exec_lo
	s_delay_alu instid0(VALU_DEP_1) | instskip(NEXT) | instid1(VALU_DEP_1)
	v_and_b32_e32 v7, 0xff, v7
	v_cmp_ne_u32_e32 vcc_lo, 0, v7
	s_and_b32 s24, vcc_lo, exec_lo
	s_delay_alu instid0(SALU_CYCLE_1)
	s_or_b32 s22, s22, s24
	s_or_b32 exec_lo, exec_lo, s23
	v_mov_b32_e32 v10, 0
	s_and_saveexec_b32 s23, s22
	s_cbranch_execnz .LBB14_4332
	s_branch .LBB14_4333
.LBB14_7837:
	v_bfe_u32 v7, v38, 21, 1
	s_mov_b32 s23, exec_lo
	s_delay_alu instid0(VALU_DEP_1) | instskip(NEXT) | instid1(VALU_DEP_1)
	v_add3_u32 v7, v38, v7, 0x88fffff
	v_lshrrev_b32_e32 v7, 21, v7
	s_and_not1_saveexec_b32 s24, s24
	s_cbranch_execz .LBB14_4344
.LBB14_7838:
	v_add_f32_e64 v7, 0x42800000, |v38|
	s_and_not1_b32 s23, s23, exec_lo
	s_delay_alu instid0(VALU_DEP_1) | instskip(NEXT) | instid1(VALU_DEP_1)
	v_and_b32_e32 v7, 0xff, v7
	v_cmp_ne_u32_e32 vcc_lo, 0, v7
	s_and_b32 s25, vcc_lo, exec_lo
	s_delay_alu instid0(SALU_CYCLE_1)
	s_or_b32 s23, s23, s25
	s_or_b32 exec_lo, exec_lo, s24
	v_mov_b32_e32 v10, 0
	s_and_saveexec_b32 s24, s23
	s_cbranch_execnz .LBB14_4345
	s_branch .LBB14_4346
.LBB14_7839:
	v_bfe_u32 v7, v38, 20, 1
	s_mov_b32 s24, exec_lo
	s_delay_alu instid0(VALU_DEP_1) | instskip(NEXT) | instid1(VALU_DEP_1)
	v_add3_u32 v7, v38, v7, 0x487ffff
	v_lshrrev_b32_e32 v7, 20, v7
	s_and_not1_saveexec_b32 s25, s25
	s_cbranch_execz .LBB14_4460
.LBB14_7840:
	v_add_f32_e64 v7, 0x46000000, |v38|
	s_and_not1_b32 s24, s24, exec_lo
	s_delay_alu instid0(VALU_DEP_1) | instskip(NEXT) | instid1(VALU_DEP_1)
	v_and_b32_e32 v7, 0xff, v7
	v_cmp_ne_u32_e32 vcc_lo, 0, v7
	s_and_b32 s26, vcc_lo, exec_lo
	s_delay_alu instid0(SALU_CYCLE_1)
	s_or_b32 s24, s24, s26
	s_or_b32 exec_lo, exec_lo, s25
	v_mov_b32_e32 v10, 0
	s_and_saveexec_b32 s25, s24
	s_cbranch_execnz .LBB14_4461
	s_branch .LBB14_4462
.LBB14_7841:
	v_bfe_u32 v7, v38, 21, 1
	s_mov_b32 s25, exec_lo
	s_delay_alu instid0(VALU_DEP_1) | instskip(NEXT) | instid1(VALU_DEP_1)
	v_add3_u32 v7, v38, v7, 0x88fffff
	v_lshrrev_b32_e32 v7, 21, v7
	s_and_not1_saveexec_b32 s26, s26
	s_cbranch_execz .LBB14_4473
.LBB14_7842:
	v_add_f32_e64 v7, 0x42800000, |v38|
	s_and_not1_b32 s25, s25, exec_lo
	s_delay_alu instid0(VALU_DEP_1) | instskip(NEXT) | instid1(VALU_DEP_1)
	v_and_b32_e32 v7, 0xff, v7
	v_cmp_ne_u32_e32 vcc_lo, 0, v7
	s_and_b32 s27, vcc_lo, exec_lo
	s_delay_alu instid0(SALU_CYCLE_1)
	s_or_b32 s25, s25, s27
	s_or_b32 exec_lo, exec_lo, s26
	v_mov_b32_e32 v10, 0
	s_and_saveexec_b32 s26, s25
	s_cbranch_execnz .LBB14_4474
	s_branch .LBB14_4475
.LBB14_7843:
	v_bfe_u32 v7, v38, 20, 1
	s_mov_b32 s26, exec_lo
	s_delay_alu instid0(VALU_DEP_1) | instskip(NEXT) | instid1(VALU_DEP_1)
	v_add3_u32 v7, v38, v7, 0x487ffff
	v_lshrrev_b32_e32 v7, 20, v7
	s_and_not1_saveexec_b32 s27, s27
	s_cbranch_execz .LBB14_4589
.LBB14_7844:
	v_add_f32_e64 v7, 0x46000000, |v38|
	s_and_not1_b32 s26, s26, exec_lo
	s_delay_alu instid0(VALU_DEP_1) | instskip(NEXT) | instid1(VALU_DEP_1)
	v_and_b32_e32 v7, 0xff, v7
	v_cmp_ne_u32_e32 vcc_lo, 0, v7
	s_and_b32 s28, vcc_lo, exec_lo
	s_delay_alu instid0(SALU_CYCLE_1)
	s_or_b32 s26, s26, s28
	s_or_b32 exec_lo, exec_lo, s27
	v_mov_b32_e32 v10, 0
	s_and_saveexec_b32 s27, s26
	s_cbranch_execnz .LBB14_4590
	s_branch .LBB14_4591
.LBB14_7845:
	v_bfe_u32 v7, v38, 21, 1
	s_mov_b32 s27, exec_lo
	s_delay_alu instid0(VALU_DEP_1) | instskip(NEXT) | instid1(VALU_DEP_1)
	v_add3_u32 v7, v38, v7, 0x88fffff
	v_lshrrev_b32_e32 v7, 21, v7
	s_and_not1_saveexec_b32 s28, s28
	s_cbranch_execz .LBB14_4602
.LBB14_7846:
	v_add_f32_e64 v7, 0x42800000, |v38|
	s_and_not1_b32 s27, s27, exec_lo
	s_delay_alu instid0(VALU_DEP_1) | instskip(NEXT) | instid1(VALU_DEP_1)
	v_and_b32_e32 v7, 0xff, v7
	v_cmp_ne_u32_e32 vcc_lo, 0, v7
	s_and_b32 s29, vcc_lo, exec_lo
	s_delay_alu instid0(SALU_CYCLE_1)
	s_or_b32 s27, s27, s29
	s_or_b32 exec_lo, exec_lo, s28
	v_mov_b32_e32 v10, 0
	s_and_saveexec_b32 s28, s27
	s_cbranch_execnz .LBB14_4603
	s_branch .LBB14_4604
.LBB14_7847:
	v_bfe_u32 v7, v38, 20, 1
	s_mov_b32 s28, exec_lo
	s_delay_alu instid0(VALU_DEP_1) | instskip(NEXT) | instid1(VALU_DEP_1)
	v_add3_u32 v7, v38, v7, 0x487ffff
	v_lshrrev_b32_e32 v7, 20, v7
	s_and_not1_saveexec_b32 s29, s29
	s_cbranch_execz .LBB14_4718
.LBB14_7848:
	v_add_f32_e64 v7, 0x46000000, |v38|
	s_and_not1_b32 s28, s28, exec_lo
	s_delay_alu instid0(VALU_DEP_1) | instskip(NEXT) | instid1(VALU_DEP_1)
	v_and_b32_e32 v7, 0xff, v7
	v_cmp_ne_u32_e32 vcc_lo, 0, v7
	s_and_b32 s40, vcc_lo, exec_lo
	s_delay_alu instid0(SALU_CYCLE_1)
	s_or_b32 s28, s28, s40
	s_or_b32 exec_lo, exec_lo, s29
	v_mov_b32_e32 v10, 0
	s_and_saveexec_b32 s29, s28
	s_cbranch_execnz .LBB14_4719
	s_branch .LBB14_4720
.LBB14_7849:
	v_bfe_u32 v7, v38, 21, 1
	s_mov_b32 s29, exec_lo
	s_delay_alu instid0(VALU_DEP_1) | instskip(NEXT) | instid1(VALU_DEP_1)
	v_add3_u32 v7, v38, v7, 0x88fffff
	v_lshrrev_b32_e32 v7, 21, v7
	s_and_not1_saveexec_b32 s40, s40
	s_cbranch_execz .LBB14_4731
.LBB14_7850:
	v_add_f32_e64 v7, 0x42800000, |v38|
	s_and_not1_b32 s29, s29, exec_lo
	s_delay_alu instid0(VALU_DEP_1) | instskip(NEXT) | instid1(VALU_DEP_1)
	v_and_b32_e32 v7, 0xff, v7
	v_cmp_ne_u32_e32 vcc_lo, 0, v7
	s_and_b32 s41, vcc_lo, exec_lo
	s_delay_alu instid0(SALU_CYCLE_1)
	s_or_b32 s29, s29, s41
	s_or_b32 exec_lo, exec_lo, s40
	v_mov_b32_e32 v10, 0
	s_and_saveexec_b32 s40, s29
	s_cbranch_execnz .LBB14_4732
	s_branch .LBB14_4733
.LBB14_7851:
	v_bfe_u32 v7, v38, 20, 1
	s_mov_b32 s40, exec_lo
	s_delay_alu instid0(VALU_DEP_1) | instskip(NEXT) | instid1(VALU_DEP_1)
	v_add3_u32 v7, v38, v7, 0x487ffff
	v_lshrrev_b32_e32 v7, 20, v7
	s_and_not1_saveexec_b32 s41, s41
	s_cbranch_execz .LBB14_4847
.LBB14_7852:
	v_add_f32_e64 v7, 0x46000000, |v38|
	s_and_not1_b32 s40, s40, exec_lo
	s_delay_alu instid0(VALU_DEP_1) | instskip(NEXT) | instid1(VALU_DEP_1)
	v_and_b32_e32 v7, 0xff, v7
	v_cmp_ne_u32_e32 vcc_lo, 0, v7
	s_and_b32 s42, vcc_lo, exec_lo
	s_delay_alu instid0(SALU_CYCLE_1)
	s_or_b32 s40, s40, s42
	s_or_b32 exec_lo, exec_lo, s41
	v_mov_b32_e32 v10, 0
	s_and_saveexec_b32 s41, s40
	s_cbranch_execnz .LBB14_4848
	s_branch .LBB14_4849
.LBB14_7853:
	v_bfe_u32 v7, v38, 21, 1
	s_mov_b32 s41, exec_lo
	s_delay_alu instid0(VALU_DEP_1) | instskip(NEXT) | instid1(VALU_DEP_1)
	v_add3_u32 v7, v38, v7, 0x88fffff
	v_lshrrev_b32_e32 v7, 21, v7
	s_and_not1_saveexec_b32 s42, s42
	s_cbranch_execz .LBB14_4860
.LBB14_7854:
	v_add_f32_e64 v7, 0x42800000, |v38|
	s_and_not1_b32 s41, s41, exec_lo
	s_delay_alu instid0(VALU_DEP_1) | instskip(NEXT) | instid1(VALU_DEP_1)
	v_and_b32_e32 v7, 0xff, v7
	v_cmp_ne_u32_e32 vcc_lo, 0, v7
	s_and_b32 s43, vcc_lo, exec_lo
	s_delay_alu instid0(SALU_CYCLE_1)
	s_or_b32 s41, s41, s43
	s_or_b32 exec_lo, exec_lo, s42
	v_mov_b32_e32 v10, 0
	s_and_saveexec_b32 s42, s41
	s_cbranch_execnz .LBB14_4861
	s_branch .LBB14_4862
.LBB14_7855:
	v_bfe_u32 v7, v38, 20, 1
	s_mov_b32 s42, exec_lo
	s_delay_alu instid0(VALU_DEP_1) | instskip(NEXT) | instid1(VALU_DEP_1)
	v_add3_u32 v7, v38, v7, 0x487ffff
	v_lshrrev_b32_e32 v7, 20, v7
	s_and_not1_saveexec_b32 s43, s43
	s_cbranch_execz .LBB14_4976
.LBB14_7856:
	v_add_f32_e64 v7, 0x46000000, |v38|
	s_and_not1_b32 s42, s42, exec_lo
	s_delay_alu instid0(VALU_DEP_1) | instskip(NEXT) | instid1(VALU_DEP_1)
	v_and_b32_e32 v7, 0xff, v7
	v_cmp_ne_u32_e32 vcc_lo, 0, v7
	s_and_b32 s44, vcc_lo, exec_lo
	s_delay_alu instid0(SALU_CYCLE_1)
	s_or_b32 s42, s42, s44
	s_or_b32 exec_lo, exec_lo, s43
	v_mov_b32_e32 v10, 0
	s_and_saveexec_b32 s43, s42
	s_cbranch_execnz .LBB14_4977
	s_branch .LBB14_4978
.LBB14_7857:
	v_bfe_u32 v7, v38, 21, 1
	s_mov_b32 s43, exec_lo
	s_delay_alu instid0(VALU_DEP_1) | instskip(NEXT) | instid1(VALU_DEP_1)
	v_add3_u32 v7, v38, v7, 0x88fffff
	v_lshrrev_b32_e32 v7, 21, v7
	s_and_not1_saveexec_b32 s44, s44
	s_cbranch_execz .LBB14_4989
.LBB14_7858:
	v_add_f32_e64 v7, 0x42800000, |v38|
	s_and_not1_b32 s43, s43, exec_lo
	s_delay_alu instid0(VALU_DEP_1) | instskip(NEXT) | instid1(VALU_DEP_1)
	v_and_b32_e32 v7, 0xff, v7
	v_cmp_ne_u32_e32 vcc_lo, 0, v7
	s_and_b32 s45, vcc_lo, exec_lo
	s_delay_alu instid0(SALU_CYCLE_1)
	s_or_b32 s43, s43, s45
	s_or_b32 exec_lo, exec_lo, s44
	v_mov_b32_e32 v10, 0
	s_and_saveexec_b32 s44, s43
	s_cbranch_execnz .LBB14_4990
	s_branch .LBB14_4991
.LBB14_7859:
	v_bfe_u32 v7, v38, 20, 1
	s_mov_b32 s44, exec_lo
	s_delay_alu instid0(VALU_DEP_1) | instskip(NEXT) | instid1(VALU_DEP_1)
	v_add3_u32 v7, v38, v7, 0x487ffff
	v_lshrrev_b32_e32 v7, 20, v7
	s_and_not1_saveexec_b32 s45, s45
	s_cbranch_execz .LBB14_5105
.LBB14_7860:
	v_add_f32_e64 v7, 0x46000000, |v38|
	s_and_not1_b32 s44, s44, exec_lo
	s_delay_alu instid0(VALU_DEP_1) | instskip(NEXT) | instid1(VALU_DEP_1)
	v_and_b32_e32 v7, 0xff, v7
	v_cmp_ne_u32_e32 vcc_lo, 0, v7
	s_and_b32 s46, vcc_lo, exec_lo
	s_delay_alu instid0(SALU_CYCLE_1)
	s_or_b32 s44, s44, s46
	s_or_b32 exec_lo, exec_lo, s45
	v_mov_b32_e32 v10, 0
	s_and_saveexec_b32 s45, s44
	s_cbranch_execnz .LBB14_5106
	s_branch .LBB14_5107
.LBB14_7861:
	v_bfe_u32 v7, v38, 21, 1
	s_mov_b32 s45, exec_lo
	s_delay_alu instid0(VALU_DEP_1) | instskip(NEXT) | instid1(VALU_DEP_1)
	v_add3_u32 v7, v38, v7, 0x88fffff
	v_lshrrev_b32_e32 v7, 21, v7
	s_and_not1_saveexec_b32 s46, s46
	s_cbranch_execz .LBB14_5118
.LBB14_7862:
	v_add_f32_e64 v7, 0x42800000, |v38|
	s_and_not1_b32 s45, s45, exec_lo
	s_delay_alu instid0(VALU_DEP_1) | instskip(NEXT) | instid1(VALU_DEP_1)
	v_and_b32_e32 v7, 0xff, v7
	v_cmp_ne_u32_e32 vcc_lo, 0, v7
	s_and_b32 s47, vcc_lo, exec_lo
	s_delay_alu instid0(SALU_CYCLE_1)
	s_or_b32 s45, s45, s47
	s_or_b32 exec_lo, exec_lo, s46
	v_mov_b32_e32 v10, 0
	s_and_saveexec_b32 s46, s45
	s_cbranch_execnz .LBB14_5119
	s_branch .LBB14_5120
.LBB14_7863:
	v_bfe_u32 v7, v38, 20, 1
	s_mov_b32 s46, exec_lo
	s_delay_alu instid0(VALU_DEP_1) | instskip(NEXT) | instid1(VALU_DEP_1)
	v_add3_u32 v7, v38, v7, 0x487ffff
	v_lshrrev_b32_e32 v7, 20, v7
	s_and_not1_saveexec_b32 s47, s47
	s_cbranch_execz .LBB14_5234
.LBB14_7864:
	v_add_f32_e64 v7, 0x46000000, |v38|
	s_and_not1_b32 s46, s46, exec_lo
	s_delay_alu instid0(VALU_DEP_1) | instskip(NEXT) | instid1(VALU_DEP_1)
	v_and_b32_e32 v7, 0xff, v7
	v_cmp_ne_u32_e32 vcc_lo, 0, v7
	s_and_b32 s56, vcc_lo, exec_lo
	s_delay_alu instid0(SALU_CYCLE_1)
	s_or_b32 s46, s46, s56
	s_or_b32 exec_lo, exec_lo, s47
	v_mov_b32_e32 v10, 0
	s_and_saveexec_b32 s47, s46
	s_cbranch_execnz .LBB14_5235
	s_branch .LBB14_5236
.LBB14_7865:
	v_bfe_u32 v7, v38, 21, 1
	s_mov_b32 s47, exec_lo
	s_delay_alu instid0(VALU_DEP_1) | instskip(NEXT) | instid1(VALU_DEP_1)
	v_add3_u32 v7, v38, v7, 0x88fffff
	v_lshrrev_b32_e32 v7, 21, v7
	s_and_not1_saveexec_b32 s56, s56
	s_cbranch_execz .LBB14_5247
.LBB14_7866:
	v_add_f32_e64 v7, 0x42800000, |v38|
	s_and_not1_b32 s47, s47, exec_lo
	s_delay_alu instid0(VALU_DEP_1) | instskip(NEXT) | instid1(VALU_DEP_1)
	v_and_b32_e32 v7, 0xff, v7
	v_cmp_ne_u32_e32 vcc_lo, 0, v7
	s_and_b32 s57, vcc_lo, exec_lo
	s_delay_alu instid0(SALU_CYCLE_1)
	s_or_b32 s47, s47, s57
	s_or_b32 exec_lo, exec_lo, s56
	v_mov_b32_e32 v10, 0
	s_and_saveexec_b32 s56, s47
	s_cbranch_execnz .LBB14_5248
	s_branch .LBB14_5249
.LBB14_7867:
	v_bfe_u32 v7, v38, 20, 1
	s_mov_b32 s56, exec_lo
	s_delay_alu instid0(VALU_DEP_1) | instskip(NEXT) | instid1(VALU_DEP_1)
	v_add3_u32 v7, v38, v7, 0x487ffff
	v_lshrrev_b32_e32 v7, 20, v7
	s_and_not1_saveexec_b32 s57, s57
	s_cbranch_execz .LBB14_5363
.LBB14_7868:
	v_add_f32_e64 v7, 0x46000000, |v38|
	s_and_not1_b32 s56, s56, exec_lo
	s_delay_alu instid0(VALU_DEP_1) | instskip(NEXT) | instid1(VALU_DEP_1)
	v_and_b32_e32 v7, 0xff, v7
	v_cmp_ne_u32_e32 vcc_lo, 0, v7
	s_and_b32 s58, vcc_lo, exec_lo
	s_delay_alu instid0(SALU_CYCLE_1)
	s_or_b32 s56, s56, s58
	s_or_b32 exec_lo, exec_lo, s57
	v_mov_b32_e32 v10, 0
	s_and_saveexec_b32 s57, s56
	s_cbranch_execnz .LBB14_5364
	s_branch .LBB14_5365
.LBB14_7869:
	v_bfe_u32 v7, v38, 21, 1
	s_mov_b32 s57, exec_lo
	s_delay_alu instid0(VALU_DEP_1) | instskip(NEXT) | instid1(VALU_DEP_1)
	v_add3_u32 v7, v38, v7, 0x88fffff
	v_lshrrev_b32_e32 v7, 21, v7
	s_and_not1_saveexec_b32 s58, s58
	s_cbranch_execz .LBB14_5376
.LBB14_7870:
	v_add_f32_e64 v7, 0x42800000, |v38|
	s_and_not1_b32 s57, s57, exec_lo
	s_delay_alu instid0(VALU_DEP_1) | instskip(NEXT) | instid1(VALU_DEP_1)
	v_and_b32_e32 v7, 0xff, v7
	v_cmp_ne_u32_e32 vcc_lo, 0, v7
	s_and_b32 s59, vcc_lo, exec_lo
	s_delay_alu instid0(SALU_CYCLE_1)
	s_or_b32 s57, s57, s59
	s_or_b32 exec_lo, exec_lo, s58
	v_mov_b32_e32 v10, 0
	s_and_saveexec_b32 s58, s57
	s_cbranch_execnz .LBB14_5377
	s_branch .LBB14_5378
.LBB14_7871:
	v_bfe_u32 v7, v38, 20, 1
	s_mov_b32 s58, exec_lo
	s_delay_alu instid0(VALU_DEP_1) | instskip(NEXT) | instid1(VALU_DEP_1)
	v_add3_u32 v7, v38, v7, 0x487ffff
	v_lshrrev_b32_e32 v7, 20, v7
	s_and_not1_saveexec_b32 s59, s59
	s_cbranch_execz .LBB14_5492
.LBB14_7872:
	v_add_f32_e64 v7, 0x46000000, |v38|
	s_and_not1_b32 s58, s58, exec_lo
	s_delay_alu instid0(VALU_DEP_1) | instskip(NEXT) | instid1(VALU_DEP_1)
	v_and_b32_e32 v7, 0xff, v7
	v_cmp_ne_u32_e32 vcc_lo, 0, v7
	s_and_b32 s60, vcc_lo, exec_lo
	s_delay_alu instid0(SALU_CYCLE_1)
	s_or_b32 s58, s58, s60
	s_or_b32 exec_lo, exec_lo, s59
	v_mov_b32_e32 v10, 0
	s_and_saveexec_b32 s59, s58
	s_cbranch_execnz .LBB14_5493
	s_branch .LBB14_5494
.LBB14_7873:
	v_bfe_u32 v7, v38, 21, 1
	s_mov_b32 s59, exec_lo
	s_delay_alu instid0(VALU_DEP_1) | instskip(NEXT) | instid1(VALU_DEP_1)
	v_add3_u32 v7, v38, v7, 0x88fffff
	v_lshrrev_b32_e32 v7, 21, v7
	s_and_not1_saveexec_b32 s60, s60
	s_cbranch_execz .LBB14_5505
.LBB14_7874:
	v_add_f32_e64 v7, 0x42800000, |v38|
	s_and_not1_b32 s59, s59, exec_lo
	s_delay_alu instid0(VALU_DEP_1) | instskip(NEXT) | instid1(VALU_DEP_1)
	v_and_b32_e32 v7, 0xff, v7
	v_cmp_ne_u32_e32 vcc_lo, 0, v7
	s_and_b32 s61, vcc_lo, exec_lo
	s_delay_alu instid0(SALU_CYCLE_1)
	s_or_b32 s59, s59, s61
	s_or_b32 exec_lo, exec_lo, s60
	v_mov_b32_e32 v10, 0
	s_and_saveexec_b32 s60, s59
	s_cbranch_execnz .LBB14_5506
	s_branch .LBB14_5507
.LBB14_7875:
	v_bfe_u32 v7, v38, 20, 1
	s_mov_b32 s60, exec_lo
	s_delay_alu instid0(VALU_DEP_1) | instskip(NEXT) | instid1(VALU_DEP_1)
	v_add3_u32 v7, v38, v7, 0x487ffff
	v_lshrrev_b32_e32 v7, 20, v7
	s_and_not1_saveexec_b32 s61, s61
	s_cbranch_execz .LBB14_5621
.LBB14_7876:
	v_add_f32_e64 v7, 0x46000000, |v38|
	s_and_not1_b32 s60, s60, exec_lo
	s_delay_alu instid0(VALU_DEP_1) | instskip(NEXT) | instid1(VALU_DEP_1)
	v_and_b32_e32 v7, 0xff, v7
	v_cmp_ne_u32_e32 vcc_lo, 0, v7
	s_and_b32 s62, vcc_lo, exec_lo
	s_delay_alu instid0(SALU_CYCLE_1)
	s_or_b32 s60, s60, s62
	s_or_b32 exec_lo, exec_lo, s61
	v_mov_b32_e32 v10, 0
	s_and_saveexec_b32 s61, s60
	s_cbranch_execnz .LBB14_5622
	s_branch .LBB14_5623
.LBB14_7877:
	v_bfe_u32 v7, v38, 21, 1
	s_mov_b32 s61, exec_lo
	s_delay_alu instid0(VALU_DEP_1) | instskip(NEXT) | instid1(VALU_DEP_1)
	v_add3_u32 v7, v38, v7, 0x88fffff
	v_lshrrev_b32_e32 v7, 21, v7
	s_and_not1_saveexec_b32 s62, s62
	s_cbranch_execz .LBB14_5634
.LBB14_7878:
	v_add_f32_e64 v7, 0x42800000, |v38|
	s_and_not1_b32 s61, s61, exec_lo
	s_delay_alu instid0(VALU_DEP_1) | instskip(NEXT) | instid1(VALU_DEP_1)
	v_and_b32_e32 v7, 0xff, v7
	v_cmp_ne_u32_e32 vcc_lo, 0, v7
	s_and_b32 s63, vcc_lo, exec_lo
	s_delay_alu instid0(SALU_CYCLE_1)
	s_or_b32 s61, s61, s63
	s_or_b32 exec_lo, exec_lo, s62
	v_mov_b32_e32 v10, 0
	s_and_saveexec_b32 s62, s61
	s_cbranch_execnz .LBB14_5635
	s_branch .LBB14_5636
.LBB14_7879:
	v_bfe_u32 v7, v38, 20, 1
	s_mov_b32 s62, exec_lo
	s_delay_alu instid0(VALU_DEP_1) | instskip(NEXT) | instid1(VALU_DEP_1)
	v_add3_u32 v7, v38, v7, 0x487ffff
	v_lshrrev_b32_e32 v7, 20, v7
	s_and_not1_saveexec_b32 s63, s63
	s_cbranch_execz .LBB14_5750
.LBB14_7880:
	v_add_f32_e64 v7, 0x46000000, |v38|
	s_and_not1_b32 s62, s62, exec_lo
	s_delay_alu instid0(VALU_DEP_1) | instskip(NEXT) | instid1(VALU_DEP_1)
	v_and_b32_e32 v7, 0xff, v7
	v_cmp_ne_u32_e32 vcc_lo, 0, v7
	s_and_b32 s72, vcc_lo, exec_lo
	s_delay_alu instid0(SALU_CYCLE_1)
	s_or_b32 s62, s62, s72
	s_or_b32 exec_lo, exec_lo, s63
	v_mov_b32_e32 v10, 0
	s_and_saveexec_b32 s63, s62
	s_cbranch_execnz .LBB14_5751
	s_branch .LBB14_5752
.LBB14_7881:
	v_bfe_u32 v7, v38, 21, 1
	s_mov_b32 s63, exec_lo
	s_delay_alu instid0(VALU_DEP_1) | instskip(NEXT) | instid1(VALU_DEP_1)
	v_add3_u32 v7, v38, v7, 0x88fffff
	v_lshrrev_b32_e32 v7, 21, v7
	s_and_not1_saveexec_b32 s72, s72
	s_cbranch_execz .LBB14_5763
.LBB14_7882:
	v_add_f32_e64 v7, 0x42800000, |v38|
	s_and_not1_b32 s63, s63, exec_lo
	s_delay_alu instid0(VALU_DEP_1) | instskip(NEXT) | instid1(VALU_DEP_1)
	v_and_b32_e32 v7, 0xff, v7
	v_cmp_ne_u32_e32 vcc_lo, 0, v7
	s_and_b32 s73, vcc_lo, exec_lo
	s_delay_alu instid0(SALU_CYCLE_1)
	s_or_b32 s63, s63, s73
	s_or_b32 exec_lo, exec_lo, s72
	v_mov_b32_e32 v10, 0
	s_and_saveexec_b32 s72, s63
	s_cbranch_execnz .LBB14_5764
	s_branch .LBB14_5765
.LBB14_7883:
	v_bfe_u32 v7, v38, 20, 1
	s_mov_b32 s72, exec_lo
	s_delay_alu instid0(VALU_DEP_1) | instskip(NEXT) | instid1(VALU_DEP_1)
	v_add3_u32 v7, v38, v7, 0x487ffff
	v_lshrrev_b32_e32 v7, 20, v7
	s_and_not1_saveexec_b32 s73, s73
	s_cbranch_execz .LBB14_5879
.LBB14_7884:
	v_add_f32_e64 v7, 0x46000000, |v38|
	s_and_not1_b32 s72, s72, exec_lo
	s_delay_alu instid0(VALU_DEP_1) | instskip(NEXT) | instid1(VALU_DEP_1)
	v_and_b32_e32 v7, 0xff, v7
	v_cmp_ne_u32_e32 vcc_lo, 0, v7
	s_and_b32 s74, vcc_lo, exec_lo
	s_delay_alu instid0(SALU_CYCLE_1)
	s_or_b32 s72, s72, s74
	s_or_b32 exec_lo, exec_lo, s73
	v_mov_b32_e32 v10, 0
	s_and_saveexec_b32 s73, s72
	s_cbranch_execnz .LBB14_5880
	s_branch .LBB14_5881
.LBB14_7885:
	v_bfe_u32 v7, v38, 21, 1
	s_mov_b32 s73, exec_lo
	s_delay_alu instid0(VALU_DEP_1) | instskip(NEXT) | instid1(VALU_DEP_1)
	v_add3_u32 v7, v38, v7, 0x88fffff
	v_lshrrev_b32_e32 v7, 21, v7
	s_and_not1_saveexec_b32 s74, s74
	s_cbranch_execz .LBB14_5892
.LBB14_7886:
	v_add_f32_e64 v7, 0x42800000, |v38|
	s_and_not1_b32 s73, s73, exec_lo
	s_delay_alu instid0(VALU_DEP_1) | instskip(NEXT) | instid1(VALU_DEP_1)
	v_and_b32_e32 v7, 0xff, v7
	v_cmp_ne_u32_e32 vcc_lo, 0, v7
	s_and_b32 s75, vcc_lo, exec_lo
	s_delay_alu instid0(SALU_CYCLE_1)
	s_or_b32 s73, s73, s75
	s_or_b32 exec_lo, exec_lo, s74
	v_mov_b32_e32 v10, 0
	s_and_saveexec_b32 s74, s73
	s_cbranch_execnz .LBB14_5893
	s_branch .LBB14_5894
.LBB14_7887:
	v_bfe_u32 v7, v34, 20, 1
	s_mov_b32 s74, exec_lo
	s_delay_alu instid0(VALU_DEP_1) | instskip(NEXT) | instid1(VALU_DEP_1)
	v_add3_u32 v7, v34, v7, 0x487ffff
	v_lshrrev_b32_e32 v7, 20, v7
	s_and_not1_saveexec_b32 s75, s75
	s_cbranch_execz .LBB14_6008
.LBB14_7888:
	v_add_f32_e64 v7, 0x46000000, |v34|
	s_and_not1_b32 s74, s74, exec_lo
	s_delay_alu instid0(VALU_DEP_1) | instskip(NEXT) | instid1(VALU_DEP_1)
	v_and_b32_e32 v7, 0xff, v7
	v_cmp_ne_u32_e32 vcc_lo, 0, v7
	s_and_b32 s76, vcc_lo, exec_lo
	s_delay_alu instid0(SALU_CYCLE_1)
	s_or_b32 s74, s74, s76
	s_or_b32 exec_lo, exec_lo, s75
	v_mov_b32_e32 v10, 0
	s_and_saveexec_b32 s75, s74
	s_cbranch_execnz .LBB14_6009
	s_branch .LBB14_6010
.LBB14_7889:
	v_bfe_u32 v7, v34, 21, 1
	s_mov_b32 s75, exec_lo
	s_delay_alu instid0(VALU_DEP_1) | instskip(NEXT) | instid1(VALU_DEP_1)
	v_add3_u32 v7, v34, v7, 0x88fffff
	v_lshrrev_b32_e32 v7, 21, v7
	s_and_not1_saveexec_b32 s76, s76
	s_cbranch_execz .LBB14_6021
.LBB14_7890:
	v_add_f32_e64 v7, 0x42800000, |v34|
	s_and_not1_b32 s75, s75, exec_lo
	s_delay_alu instid0(VALU_DEP_1) | instskip(NEXT) | instid1(VALU_DEP_1)
	v_and_b32_e32 v7, 0xff, v7
	v_cmp_ne_u32_e32 vcc_lo, 0, v7
	s_and_b32 s77, vcc_lo, exec_lo
	s_delay_alu instid0(SALU_CYCLE_1)
	s_or_b32 s75, s75, s77
	s_or_b32 exec_lo, exec_lo, s76
	v_mov_b32_e32 v10, 0
	s_and_saveexec_b32 s76, s75
	s_cbranch_execnz .LBB14_6022
	s_branch .LBB14_6023
.LBB14_7891:
	v_bfe_u32 v7, v34, 20, 1
	s_mov_b32 s76, exec_lo
	s_delay_alu instid0(VALU_DEP_1) | instskip(NEXT) | instid1(VALU_DEP_1)
	v_add3_u32 v7, v34, v7, 0x487ffff
	v_lshrrev_b32_e32 v7, 20, v7
	s_and_not1_saveexec_b32 s77, s77
	s_cbranch_execz .LBB14_6137
.LBB14_7892:
	v_add_f32_e64 v7, 0x46000000, |v34|
	s_and_not1_b32 s76, s76, exec_lo
	s_delay_alu instid0(VALU_DEP_1) | instskip(NEXT) | instid1(VALU_DEP_1)
	v_and_b32_e32 v7, 0xff, v7
	v_cmp_ne_u32_e32 vcc_lo, 0, v7
	s_and_b32 s78, vcc_lo, exec_lo
	s_delay_alu instid0(SALU_CYCLE_1)
	s_or_b32 s76, s76, s78
	s_or_b32 exec_lo, exec_lo, s77
	v_mov_b32_e32 v10, 0
	s_and_saveexec_b32 s77, s76
	s_cbranch_execnz .LBB14_6138
	s_branch .LBB14_6139
.LBB14_7893:
	v_bfe_u32 v7, v34, 21, 1
	s_mov_b32 s77, exec_lo
	s_delay_alu instid0(VALU_DEP_1) | instskip(NEXT) | instid1(VALU_DEP_1)
	v_add3_u32 v7, v34, v7, 0x88fffff
	v_lshrrev_b32_e32 v7, 21, v7
	s_and_not1_saveexec_b32 s78, s78
	s_cbranch_execz .LBB14_6150
.LBB14_7894:
	v_add_f32_e64 v7, 0x42800000, |v34|
	s_and_not1_b32 s77, s77, exec_lo
	s_delay_alu instid0(VALU_DEP_1) | instskip(NEXT) | instid1(VALU_DEP_1)
	v_and_b32_e32 v7, 0xff, v7
	v_cmp_ne_u32_e32 vcc_lo, 0, v7
	s_and_b32 s79, vcc_lo, exec_lo
	s_delay_alu instid0(SALU_CYCLE_1)
	s_or_b32 s77, s77, s79
	s_or_b32 exec_lo, exec_lo, s78
	v_mov_b32_e32 v10, 0
	s_and_saveexec_b32 s78, s77
	s_cbranch_execnz .LBB14_6151
	s_branch .LBB14_6152
.LBB14_7895:
	v_bfe_u32 v7, v30, 20, 1
	s_mov_b32 s78, exec_lo
	s_delay_alu instid0(VALU_DEP_1) | instskip(NEXT) | instid1(VALU_DEP_1)
	v_add3_u32 v7, v30, v7, 0x487ffff
	v_lshrrev_b32_e32 v7, 20, v7
	s_and_not1_saveexec_b32 s79, s79
	s_cbranch_execz .LBB14_6266
.LBB14_7896:
	v_add_f32_e64 v7, 0x46000000, |v30|
	s_and_not1_b32 s78, s78, exec_lo
	s_delay_alu instid0(VALU_DEP_1) | instskip(NEXT) | instid1(VALU_DEP_1)
	v_and_b32_e32 v7, 0xff, v7
	v_cmp_ne_u32_e32 vcc_lo, 0, v7
	s_and_b32 s88, vcc_lo, exec_lo
	s_delay_alu instid0(SALU_CYCLE_1)
	s_or_b32 s78, s78, s88
	s_or_b32 exec_lo, exec_lo, s79
	v_mov_b32_e32 v10, 0
	s_and_saveexec_b32 s79, s78
	s_cbranch_execnz .LBB14_6267
	s_branch .LBB14_6268
.LBB14_7897:
	v_bfe_u32 v7, v30, 21, 1
	s_mov_b32 s79, exec_lo
	s_delay_alu instid0(VALU_DEP_1) | instskip(NEXT) | instid1(VALU_DEP_1)
	v_add3_u32 v7, v30, v7, 0x88fffff
	v_lshrrev_b32_e32 v7, 21, v7
	s_and_not1_saveexec_b32 s88, s88
	s_cbranch_execz .LBB14_6279
.LBB14_7898:
	v_add_f32_e64 v7, 0x42800000, |v30|
	s_and_not1_b32 s79, s79, exec_lo
	s_delay_alu instid0(VALU_DEP_1) | instskip(NEXT) | instid1(VALU_DEP_1)
	v_and_b32_e32 v7, 0xff, v7
	v_cmp_ne_u32_e32 vcc_lo, 0, v7
	s_and_b32 s89, vcc_lo, exec_lo
	s_delay_alu instid0(SALU_CYCLE_1)
	s_or_b32 s79, s79, s89
	s_or_b32 exec_lo, exec_lo, s88
	v_mov_b32_e32 v10, 0
	s_and_saveexec_b32 s88, s79
	s_cbranch_execnz .LBB14_6280
	s_branch .LBB14_6281
.LBB14_7899:
	v_bfe_u32 v7, v30, 20, 1
	s_mov_b32 s88, exec_lo
	s_delay_alu instid0(VALU_DEP_1) | instskip(NEXT) | instid1(VALU_DEP_1)
	v_add3_u32 v7, v30, v7, 0x487ffff
	v_lshrrev_b32_e32 v7, 20, v7
	s_and_not1_saveexec_b32 s89, s89
	s_cbranch_execz .LBB14_6395
.LBB14_7900:
	v_add_f32_e64 v7, 0x46000000, |v30|
	s_and_not1_b32 s88, s88, exec_lo
	s_delay_alu instid0(VALU_DEP_1) | instskip(NEXT) | instid1(VALU_DEP_1)
	v_and_b32_e32 v7, 0xff, v7
	v_cmp_ne_u32_e32 vcc_lo, 0, v7
	s_and_b32 s90, vcc_lo, exec_lo
	s_delay_alu instid0(SALU_CYCLE_1)
	s_or_b32 s88, s88, s90
	s_or_b32 exec_lo, exec_lo, s89
	v_mov_b32_e32 v10, 0
	s_and_saveexec_b32 s89, s88
	s_cbranch_execnz .LBB14_6396
	s_branch .LBB14_6397
.LBB14_7901:
	v_bfe_u32 v7, v30, 21, 1
	s_mov_b32 s89, exec_lo
	s_delay_alu instid0(VALU_DEP_1) | instskip(NEXT) | instid1(VALU_DEP_1)
	v_add3_u32 v7, v30, v7, 0x88fffff
	v_lshrrev_b32_e32 v7, 21, v7
	s_and_not1_saveexec_b32 s90, s90
	s_cbranch_execz .LBB14_6408
.LBB14_7902:
	v_add_f32_e64 v7, 0x42800000, |v30|
	s_and_not1_b32 s89, s89, exec_lo
	s_delay_alu instid0(VALU_DEP_1) | instskip(NEXT) | instid1(VALU_DEP_1)
	v_and_b32_e32 v7, 0xff, v7
	v_cmp_ne_u32_e32 vcc_lo, 0, v7
	s_and_b32 s91, vcc_lo, exec_lo
	s_delay_alu instid0(SALU_CYCLE_1)
	s_or_b32 s89, s89, s91
	s_or_b32 exec_lo, exec_lo, s90
	v_mov_b32_e32 v10, 0
	s_and_saveexec_b32 s90, s89
	s_cbranch_execnz .LBB14_6409
	s_branch .LBB14_6410
.LBB14_7903:
	v_bfe_u32 v7, v26, 20, 1
	s_mov_b32 s90, exec_lo
	s_delay_alu instid0(VALU_DEP_1) | instskip(NEXT) | instid1(VALU_DEP_1)
	v_add3_u32 v7, v26, v7, 0x487ffff
	v_lshrrev_b32_e32 v7, 20, v7
	s_and_not1_saveexec_b32 s91, s91
	s_cbranch_execz .LBB14_6524
.LBB14_7904:
	v_add_f32_e64 v7, 0x46000000, |v26|
	s_and_not1_b32 s90, s90, exec_lo
	s_delay_alu instid0(VALU_DEP_1) | instskip(NEXT) | instid1(VALU_DEP_1)
	v_and_b32_e32 v7, 0xff, v7
	v_cmp_ne_u32_e32 vcc_lo, 0, v7
	s_and_b32 s92, vcc_lo, exec_lo
	s_delay_alu instid0(SALU_CYCLE_1)
	s_or_b32 s90, s90, s92
	s_or_b32 exec_lo, exec_lo, s91
	v_mov_b32_e32 v10, 0
	s_and_saveexec_b32 s91, s90
	s_cbranch_execnz .LBB14_6525
	s_branch .LBB14_6526
.LBB14_7905:
	v_bfe_u32 v7, v26, 21, 1
	s_mov_b32 s91, exec_lo
	s_delay_alu instid0(VALU_DEP_1) | instskip(NEXT) | instid1(VALU_DEP_1)
	v_add3_u32 v7, v26, v7, 0x88fffff
	v_lshrrev_b32_e32 v7, 21, v7
	s_and_not1_saveexec_b32 s92, s92
	s_cbranch_execz .LBB14_6537
.LBB14_7906:
	v_add_f32_e64 v7, 0x42800000, |v26|
	s_and_not1_b32 s91, s91, exec_lo
	s_delay_alu instid0(VALU_DEP_1) | instskip(NEXT) | instid1(VALU_DEP_1)
	v_and_b32_e32 v7, 0xff, v7
	v_cmp_ne_u32_e32 vcc_lo, 0, v7
	s_and_b32 s93, vcc_lo, exec_lo
	s_delay_alu instid0(SALU_CYCLE_1)
	s_or_b32 s91, s91, s93
	s_or_b32 exec_lo, exec_lo, s92
	v_mov_b32_e32 v10, 0
	s_and_saveexec_b32 s92, s91
	s_cbranch_execnz .LBB14_6538
	s_branch .LBB14_6539
.LBB14_7907:
	v_bfe_u32 v7, v26, 20, 1
	s_mov_b32 s92, exec_lo
	s_delay_alu instid0(VALU_DEP_1) | instskip(NEXT) | instid1(VALU_DEP_1)
	v_add3_u32 v7, v26, v7, 0x487ffff
	v_lshrrev_b32_e32 v7, 20, v7
	s_and_not1_saveexec_b32 s93, s93
	s_cbranch_execz .LBB14_6653
.LBB14_7908:
	v_add_f32_e64 v7, 0x46000000, |v26|
	s_and_not1_b32 s92, s92, exec_lo
	s_delay_alu instid0(VALU_DEP_1) | instskip(NEXT) | instid1(VALU_DEP_1)
	v_and_b32_e32 v7, 0xff, v7
	v_cmp_ne_u32_e32 vcc_lo, 0, v7
	s_and_b32 s94, vcc_lo, exec_lo
	s_delay_alu instid0(SALU_CYCLE_1)
	s_or_b32 s92, s92, s94
	s_or_b32 exec_lo, exec_lo, s93
	v_mov_b32_e32 v10, 0
	s_and_saveexec_b32 s93, s92
	s_cbranch_execnz .LBB14_6654
	s_branch .LBB14_6655
.LBB14_7909:
	v_bfe_u32 v7, v26, 21, 1
	s_mov_b32 s93, exec_lo
	s_delay_alu instid0(VALU_DEP_1) | instskip(NEXT) | instid1(VALU_DEP_1)
	v_add3_u32 v7, v26, v7, 0x88fffff
	v_lshrrev_b32_e32 v7, 21, v7
	s_and_not1_saveexec_b32 s94, s94
	s_cbranch_execz .LBB14_6666
.LBB14_7910:
	v_add_f32_e64 v7, 0x42800000, |v26|
	s_and_not1_b32 s93, s93, exec_lo
	s_delay_alu instid0(VALU_DEP_1) | instskip(NEXT) | instid1(VALU_DEP_1)
	v_and_b32_e32 v7, 0xff, v7
	v_cmp_ne_u32_e32 vcc_lo, 0, v7
	s_and_b32 s95, vcc_lo, exec_lo
	s_delay_alu instid0(SALU_CYCLE_1)
	s_or_b32 s93, s93, s95
	s_or_b32 exec_lo, exec_lo, s94
	v_mov_b32_e32 v10, 0
	s_and_saveexec_b32 s94, s93
	s_cbranch_execnz .LBB14_6667
	s_branch .LBB14_6668
.LBB14_7911:
	v_bfe_u32 v7, v22, 20, 1
	s_mov_b32 s94, exec_lo
	s_delay_alu instid0(VALU_DEP_1) | instskip(NEXT) | instid1(VALU_DEP_1)
	v_add3_u32 v7, v22, v7, 0x487ffff
	v_lshrrev_b32_e32 v7, 20, v7
	s_and_not1_saveexec_b32 s95, s95
	s_cbranch_execz .LBB14_6782
.LBB14_7912:
	v_add_f32_e64 v7, 0x46000000, |v22|
	s_and_not1_b32 s94, s94, exec_lo
	s_delay_alu instid0(VALU_DEP_1) | instskip(NEXT) | instid1(VALU_DEP_1)
	v_and_b32_e32 v7, 0xff, v7
	v_cmp_ne_u32_e32 vcc_lo, 0, v7
	s_and_b32 vcc_lo, vcc_lo, exec_lo
	s_delay_alu instid0(SALU_CYCLE_1)
	s_or_b32 s94, s94, vcc_lo
	s_or_b32 exec_lo, exec_lo, s95
	v_mov_b32_e32 v10, 0
	s_and_saveexec_b32 s95, s94
	s_cbranch_execnz .LBB14_6783
	s_branch .LBB14_6784
.LBB14_7913:
	v_bfe_u32 v7, v22, 21, 1
	s_mov_b32 s95, exec_lo
	s_delay_alu instid0(VALU_DEP_1) | instskip(NEXT) | instid1(VALU_DEP_1)
	v_add3_u32 v7, v22, v7, 0x88fffff
	v_lshrrev_b32_e32 v7, 21, v7
	s_and_not1_saveexec_b32 vcc_hi, vcc_lo
	s_cbranch_execz .LBB14_6795
.LBB14_7914:
	v_add_f32_e64 v7, 0x42800000, |v22|
	s_and_not1_b32 s95, s95, exec_lo
	s_delay_alu instid0(VALU_DEP_1) | instskip(NEXT) | instid1(VALU_DEP_1)
	v_and_b32_e32 v7, 0xff, v7
	v_cmp_ne_u32_e32 vcc_lo, 0, v7
	s_and_b32 vcc_lo, vcc_lo, exec_lo
	s_delay_alu instid0(SALU_CYCLE_1)
	s_or_b32 s95, s95, vcc_lo
	s_or_b32 exec_lo, exec_lo, vcc_hi
	v_mov_b32_e32 v10, 0
	s_and_saveexec_b32 vcc_lo, s95
	s_cbranch_execnz .LBB14_6796
	s_branch .LBB14_6797
.LBB14_7915:
	v_bfe_u32 v7, v22, 20, 1
	s_mov_b32 vcc_hi, exec_lo
	s_delay_alu instid0(VALU_DEP_1) | instskip(NEXT) | instid1(VALU_DEP_1)
	v_add3_u32 v7, v22, v7, 0x487ffff
	v_lshrrev_b32_e32 v7, 20, v7
	s_and_not1_saveexec_b32 s30, vcc_lo
	s_cbranch_execz .LBB14_6911
.LBB14_7916:
	v_add_f32_e64 v7, 0x46000000, |v22|
	s_and_not1_b32 vcc_hi, vcc_hi, exec_lo
	s_delay_alu instid0(VALU_DEP_1) | instskip(NEXT) | instid1(VALU_DEP_1)
	v_and_b32_e32 v7, 0xff, v7
	v_cmp_ne_u32_e32 vcc_lo, 0, v7
	s_and_b32 vcc_lo, vcc_lo, exec_lo
	s_delay_alu instid0(SALU_CYCLE_1)
	s_or_b32 vcc_hi, vcc_hi, vcc_lo
	s_or_b32 exec_lo, exec_lo, s30
	v_mov_b32_e32 v10, 0
	s_and_saveexec_b32 vcc_lo, vcc_hi
	s_cbranch_execnz .LBB14_6912
	s_branch .LBB14_6913
.LBB14_7917:
	v_bfe_u32 v7, v22, 21, 1
	s_mov_b32 s30, exec_lo
	s_delay_alu instid0(VALU_DEP_1) | instskip(NEXT) | instid1(VALU_DEP_1)
	v_add3_u32 v7, v22, v7, 0x88fffff
	v_lshrrev_b32_e32 v7, 21, v7
	s_and_not1_saveexec_b32 s31, vcc_lo
	s_cbranch_execz .LBB14_6924
.LBB14_7918:
	v_add_f32_e64 v7, 0x42800000, |v22|
	s_and_not1_b32 s30, s30, exec_lo
	s_delay_alu instid0(VALU_DEP_1) | instskip(NEXT) | instid1(VALU_DEP_1)
	v_and_b32_e32 v7, 0xff, v7
	v_cmp_ne_u32_e32 vcc_lo, 0, v7
	s_and_b32 vcc_lo, vcc_lo, exec_lo
	s_delay_alu instid0(SALU_CYCLE_1)
	s_or_b32 s30, s30, vcc_lo
	s_or_b32 exec_lo, exec_lo, s31
	v_mov_b32_e32 v10, 0
	s_and_saveexec_b32 vcc_lo, s30
	s_cbranch_execnz .LBB14_6925
	s_branch .LBB14_6926
.LBB14_7919:
	v_bfe_u32 v7, v18, 20, 1
	s_mov_b32 s31, exec_lo
	s_delay_alu instid0(VALU_DEP_1) | instskip(NEXT) | instid1(VALU_DEP_1)
	v_add3_u32 v7, v18, v7, 0x487ffff
	v_lshrrev_b32_e32 v7, 20, v7
	s_and_not1_saveexec_b32 s34, vcc_lo
	s_cbranch_execz .LBB14_7040
.LBB14_7920:
	v_add_f32_e64 v7, 0x46000000, |v18|
	s_and_not1_b32 s31, s31, exec_lo
	s_delay_alu instid0(VALU_DEP_1) | instskip(NEXT) | instid1(VALU_DEP_1)
	v_and_b32_e32 v7, 0xff, v7
	v_cmp_ne_u32_e32 vcc_lo, 0, v7
	s_and_b32 vcc_lo, vcc_lo, exec_lo
	s_delay_alu instid0(SALU_CYCLE_1)
	s_or_b32 s31, s31, vcc_lo
	s_or_b32 exec_lo, exec_lo, s34
	v_mov_b32_e32 v10, 0
	s_and_saveexec_b32 vcc_lo, s31
	s_cbranch_execnz .LBB14_7041
	s_branch .LBB14_7042
.LBB14_7921:
	v_bfe_u32 v7, v18, 21, 1
	s_mov_b32 s34, exec_lo
	s_delay_alu instid0(VALU_DEP_1) | instskip(NEXT) | instid1(VALU_DEP_1)
	v_add3_u32 v7, v18, v7, 0x88fffff
	v_lshrrev_b32_e32 v7, 21, v7
	s_and_not1_saveexec_b32 s35, vcc_lo
	s_cbranch_execz .LBB14_7053
.LBB14_7922:
	v_add_f32_e64 v7, 0x42800000, |v18|
	s_and_not1_b32 s34, s34, exec_lo
	s_delay_alu instid0(VALU_DEP_1) | instskip(NEXT) | instid1(VALU_DEP_1)
	v_and_b32_e32 v7, 0xff, v7
	v_cmp_ne_u32_e32 vcc_lo, 0, v7
	s_and_b32 vcc_lo, vcc_lo, exec_lo
	s_delay_alu instid0(SALU_CYCLE_1)
	s_or_b32 s34, s34, vcc_lo
	s_or_b32 exec_lo, exec_lo, s35
	v_mov_b32_e32 v10, 0
	s_and_saveexec_b32 vcc_lo, s34
	s_cbranch_execnz .LBB14_7054
	s_branch .LBB14_7055
.LBB14_7923:
	v_bfe_u32 v7, v18, 20, 1
	s_mov_b32 s35, exec_lo
	s_delay_alu instid0(VALU_DEP_1) | instskip(NEXT) | instid1(VALU_DEP_1)
	v_add3_u32 v7, v18, v7, 0x487ffff
	v_lshrrev_b32_e32 v7, 20, v7
	s_and_not1_saveexec_b32 s36, vcc_lo
	s_cbranch_execz .LBB14_7169
.LBB14_7924:
	v_add_f32_e64 v7, 0x46000000, |v18|
	s_and_not1_b32 s35, s35, exec_lo
	s_delay_alu instid0(VALU_DEP_1) | instskip(NEXT) | instid1(VALU_DEP_1)
	v_and_b32_e32 v7, 0xff, v7
	v_cmp_ne_u32_e32 vcc_lo, 0, v7
	s_and_b32 vcc_lo, vcc_lo, exec_lo
	s_delay_alu instid0(SALU_CYCLE_1)
	s_or_b32 s35, s35, vcc_lo
	s_or_b32 exec_lo, exec_lo, s36
	v_mov_b32_e32 v10, 0
	s_and_saveexec_b32 vcc_lo, s35
	s_cbranch_execnz .LBB14_7170
	s_branch .LBB14_7171
.LBB14_7925:
	v_bfe_u32 v7, v18, 21, 1
	s_mov_b32 s36, exec_lo
	s_delay_alu instid0(VALU_DEP_1) | instskip(NEXT) | instid1(VALU_DEP_1)
	v_add3_u32 v7, v18, v7, 0x88fffff
	v_lshrrev_b32_e32 v7, 21, v7
	s_and_not1_saveexec_b32 s37, vcc_lo
	s_cbranch_execz .LBB14_7182
.LBB14_7926:
	v_add_f32_e64 v7, 0x42800000, |v18|
	s_and_not1_b32 s36, s36, exec_lo
	s_delay_alu instid0(VALU_DEP_1) | instskip(NEXT) | instid1(VALU_DEP_1)
	v_and_b32_e32 v7, 0xff, v7
	v_cmp_ne_u32_e32 vcc_lo, 0, v7
	s_and_b32 vcc_lo, vcc_lo, exec_lo
	s_delay_alu instid0(SALU_CYCLE_1)
	s_or_b32 s36, s36, vcc_lo
	s_or_b32 exec_lo, exec_lo, s37
	v_mov_b32_e32 v10, 0
	s_and_saveexec_b32 vcc_lo, s36
	s_cbranch_execnz .LBB14_7183
	s_branch .LBB14_7184
.LBB14_7927:
	v_bfe_u32 v7, v14, 20, 1
	s_mov_b32 s37, exec_lo
	s_delay_alu instid0(VALU_DEP_1) | instskip(NEXT) | instid1(VALU_DEP_1)
	v_add3_u32 v7, v14, v7, 0x487ffff
	v_lshrrev_b32_e32 v7, 20, v7
	s_and_not1_saveexec_b32 s38, vcc_lo
	s_cbranch_execz .LBB14_7298
.LBB14_7928:
	v_add_f32_e64 v7, 0x46000000, |v14|
	s_and_not1_b32 s37, s37, exec_lo
	s_delay_alu instid0(VALU_DEP_1) | instskip(NEXT) | instid1(VALU_DEP_1)
	v_and_b32_e32 v7, 0xff, v7
	v_cmp_ne_u32_e32 vcc_lo, 0, v7
	s_and_b32 vcc_lo, vcc_lo, exec_lo
	s_delay_alu instid0(SALU_CYCLE_1)
	s_or_b32 s37, s37, vcc_lo
	s_or_b32 exec_lo, exec_lo, s38
	v_mov_b32_e32 v10, 0
	s_and_saveexec_b32 vcc_lo, s37
	s_cbranch_execnz .LBB14_7299
	s_branch .LBB14_7300
.LBB14_7929:
	v_bfe_u32 v7, v14, 21, 1
	s_mov_b32 s38, exec_lo
	s_delay_alu instid0(VALU_DEP_1) | instskip(NEXT) | instid1(VALU_DEP_1)
	v_add3_u32 v7, v14, v7, 0x88fffff
	v_lshrrev_b32_e32 v7, 21, v7
	s_and_not1_saveexec_b32 s39, vcc_lo
	s_cbranch_execz .LBB14_7311
.LBB14_7930:
	v_add_f32_e64 v7, 0x42800000, |v14|
	s_and_not1_b32 s38, s38, exec_lo
	s_delay_alu instid0(VALU_DEP_1) | instskip(NEXT) | instid1(VALU_DEP_1)
	v_and_b32_e32 v7, 0xff, v7
	v_cmp_ne_u32_e32 vcc_lo, 0, v7
	s_and_b32 vcc_lo, vcc_lo, exec_lo
	s_delay_alu instid0(SALU_CYCLE_1)
	s_or_b32 s38, s38, vcc_lo
	s_or_b32 exec_lo, exec_lo, s39
	v_mov_b32_e32 v10, 0
	s_and_saveexec_b32 vcc_lo, s38
	s_cbranch_execnz .LBB14_7312
	s_branch .LBB14_7313
.LBB14_7931:
	v_bfe_u32 v7, v14, 20, 1
	s_mov_b32 s39, exec_lo
	s_delay_alu instid0(VALU_DEP_1) | instskip(NEXT) | instid1(VALU_DEP_1)
	v_add3_u32 v7, v14, v7, 0x487ffff
	v_lshrrev_b32_e32 v7, 20, v7
	s_and_not1_saveexec_b32 s48, vcc_lo
	s_cbranch_execz .LBB14_7427
.LBB14_7932:
	v_add_f32_e64 v7, 0x46000000, |v14|
	s_and_not1_b32 s39, s39, exec_lo
	s_delay_alu instid0(VALU_DEP_1) | instskip(NEXT) | instid1(VALU_DEP_1)
	v_and_b32_e32 v7, 0xff, v7
	v_cmp_ne_u32_e32 vcc_lo, 0, v7
	s_and_b32 vcc_lo, vcc_lo, exec_lo
	s_delay_alu instid0(SALU_CYCLE_1)
	s_or_b32 s39, s39, vcc_lo
	s_or_b32 exec_lo, exec_lo, s48
	v_mov_b32_e32 v10, 0
	s_and_saveexec_b32 vcc_lo, s39
	s_cbranch_execnz .LBB14_7428
	s_branch .LBB14_7429
.LBB14_7933:
	v_bfe_u32 v7, v14, 21, 1
	s_mov_b32 s48, exec_lo
	s_delay_alu instid0(VALU_DEP_1) | instskip(NEXT) | instid1(VALU_DEP_1)
	v_add3_u32 v7, v14, v7, 0x88fffff
	v_lshrrev_b32_e32 v7, 21, v7
	s_and_not1_saveexec_b32 s49, vcc_lo
	s_cbranch_execz .LBB14_7440
.LBB14_7934:
	v_add_f32_e64 v7, 0x42800000, |v14|
	s_and_not1_b32 s48, s48, exec_lo
	s_delay_alu instid0(VALU_DEP_1) | instskip(NEXT) | instid1(VALU_DEP_1)
	v_and_b32_e32 v7, 0xff, v7
	v_cmp_ne_u32_e32 vcc_lo, 0, v7
	s_and_b32 vcc_lo, vcc_lo, exec_lo
	s_delay_alu instid0(SALU_CYCLE_1)
	s_or_b32 s48, s48, vcc_lo
	s_or_b32 exec_lo, exec_lo, s49
	v_mov_b32_e32 v10, 0
	s_and_saveexec_b32 vcc_lo, s48
	s_cbranch_execnz .LBB14_7441
	s_branch .LBB14_7442
.LBB14_7935:
	v_bfe_u32 v3, v2, 20, 1
	s_mov_b32 s48, exec_lo
	s_delay_alu instid0(VALU_DEP_1) | instskip(NEXT) | instid1(VALU_DEP_1)
	v_add3_u32 v3, v2, v3, 0x487ffff
	v_lshrrev_b32_e32 v3, 20, v3
	s_and_not1_saveexec_b32 s49, vcc_lo
	s_cbranch_execz .LBB14_7556
.LBB14_7936:
	v_add_f32_e64 v3, 0x46000000, |v2|
	s_and_not1_b32 s48, s48, exec_lo
	s_delay_alu instid0(VALU_DEP_1) | instskip(NEXT) | instid1(VALU_DEP_1)
	v_and_b32_e32 v3, 0xff, v3
	v_cmp_ne_u32_e32 vcc_lo, 0, v3
	s_and_b32 vcc_lo, vcc_lo, exec_lo
	s_delay_alu instid0(SALU_CYCLE_1)
	s_or_b32 s48, s48, vcc_lo
	s_or_b32 exec_lo, exec_lo, s49
	v_mov_b32_e32 v10, 0
	s_and_saveexec_b32 vcc_lo, s48
	s_cbranch_execnz .LBB14_7557
	s_branch .LBB14_7558
.LBB14_7937:
	v_bfe_u32 v3, v2, 21, 1
	s_mov_b32 s49, exec_lo
	s_delay_alu instid0(VALU_DEP_1) | instskip(NEXT) | instid1(VALU_DEP_1)
	v_add3_u32 v3, v2, v3, 0x88fffff
	v_lshrrev_b32_e32 v3, 21, v3
	s_and_not1_saveexec_b32 s50, vcc_lo
	s_cbranch_execz .LBB14_7569
.LBB14_7938:
	v_add_f32_e64 v3, 0x42800000, |v2|
	s_and_not1_b32 s49, s49, exec_lo
	s_delay_alu instid0(VALU_DEP_1) | instskip(NEXT) | instid1(VALU_DEP_1)
	v_and_b32_e32 v3, 0xff, v3
	v_cmp_ne_u32_e32 vcc_lo, 0, v3
	s_and_b32 vcc_lo, vcc_lo, exec_lo
	s_delay_alu instid0(SALU_CYCLE_1)
	s_or_b32 s49, s49, vcc_lo
	s_or_b32 exec_lo, exec_lo, s50
	v_mov_b32_e32 v10, 0
	s_and_saveexec_b32 vcc_lo, s49
	s_cbranch_execnz .LBB14_7570
	s_branch .LBB14_7571
.LBB14_7939:
	v_bfe_u32 v0, v8, 20, 1
	s_mov_b32 s51, exec_lo
	s_delay_alu instid0(VALU_DEP_1) | instskip(NEXT) | instid1(VALU_DEP_1)
	v_add3_u32 v0, v8, v0, 0x487ffff
	v_lshrrev_b32_e32 v0, 20, v0
	s_and_not1_saveexec_b32 s52, vcc_lo
	s_cbranch_execz .LBB14_7682
.LBB14_7940:
	v_add_f32_e64 v0, 0x46000000, |v8|
	s_and_not1_b32 s51, s51, exec_lo
	s_delay_alu instid0(VALU_DEP_1) | instskip(NEXT) | instid1(VALU_DEP_1)
	v_and_b32_e32 v0, 0xff, v0
	v_cmp_ne_u32_e32 vcc_lo, 0, v0
	s_and_b32 vcc_lo, vcc_lo, exec_lo
	s_delay_alu instid0(SALU_CYCLE_1)
	s_or_b32 s51, s51, vcc_lo
	s_or_b32 exec_lo, exec_lo, s52
	v_mov_b32_e32 v1, 0
	s_and_saveexec_b32 vcc_lo, s51
	s_cbranch_execnz .LBB14_7683
	s_branch .LBB14_7684
.LBB14_7941:
	v_bfe_u32 v0, v8, 21, 1
	s_mov_b32 s51, exec_lo
	s_delay_alu instid0(VALU_DEP_1) | instskip(NEXT) | instid1(VALU_DEP_1)
	v_add3_u32 v0, v8, v0, 0x88fffff
	v_lshrrev_b32_e32 v0, 21, v0
	s_and_not1_saveexec_b32 s52, vcc_lo
	s_cbranch_execz .LBB14_7695
.LBB14_7942:
	v_add_f32_e64 v0, 0x42800000, |v8|
	s_and_not1_b32 s51, s51, exec_lo
	s_delay_alu instid0(VALU_DEP_1) | instskip(NEXT) | instid1(VALU_DEP_1)
	v_and_b32_e32 v0, 0xff, v0
	v_cmp_ne_u32_e32 vcc_lo, 0, v0
	s_and_b32 vcc_lo, vcc_lo, exec_lo
	s_delay_alu instid0(SALU_CYCLE_1)
	s_or_b32 s51, s51, vcc_lo
	s_or_b32 exec_lo, exec_lo, s52
	v_mov_b32_e32 v1, 0
	s_and_saveexec_b32 vcc_lo, s51
	s_cbranch_execnz .LBB14_7696
	s_branch .LBB14_7697
.Lfunc_end14:
	.size	_ZN2at6native25elementwise_kernel_helperILb1EZZZNS0_12prelu_kernelERNS_14TensorIteratorEENKUlvE_clEvENKUlvE0_clEvEUlffE_NS0_6memory8policies11unroll_baseILi512ESt5arrayIPcLm3EE23TrivialOffsetCalculatorILi2EjESD_ILi1EjENS7_12LoadWithCastILi2EEENS7_13StoreWithCastILi1EEELi32ELi1EEEEEvT0_T1_, .Lfunc_end14-_ZN2at6native25elementwise_kernel_helperILb1EZZZNS0_12prelu_kernelERNS_14TensorIteratorEENKUlvE_clEvENKUlvE0_clEvEUlffE_NS0_6memory8policies11unroll_baseILi512ESt5arrayIPcLm3EE23TrivialOffsetCalculatorILi2EjESD_ILi1EjENS7_12LoadWithCastILi2EEENS7_13StoreWithCastILi1EEELi32ELi1EEEEEvT0_T1_
                                        ; -- End function
	.set .L_ZN2at6native25elementwise_kernel_helperILb1EZZZNS0_12prelu_kernelERNS_14TensorIteratorEENKUlvE_clEvENKUlvE0_clEvEUlffE_NS0_6memory8policies11unroll_baseILi512ESt5arrayIPcLm3EE23TrivialOffsetCalculatorILi2EjESD_ILi1EjENS7_12LoadWithCastILi2EEENS7_13StoreWithCastILi1EEELi32ELi1EEEEEvT0_T1_.num_vgpr, 120
	.set .L_ZN2at6native25elementwise_kernel_helperILb1EZZZNS0_12prelu_kernelERNS_14TensorIteratorEENKUlvE_clEvENKUlvE0_clEvEUlffE_NS0_6memory8policies11unroll_baseILi512ESt5arrayIPcLm3EE23TrivialOffsetCalculatorILi2EjESD_ILi1EjENS7_12LoadWithCastILi2EEENS7_13StoreWithCastILi1EEELi32ELi1EEEEEvT0_T1_.num_agpr, 0
	.set .L_ZN2at6native25elementwise_kernel_helperILb1EZZZNS0_12prelu_kernelERNS_14TensorIteratorEENKUlvE_clEvENKUlvE0_clEvEUlffE_NS0_6memory8policies11unroll_baseILi512ESt5arrayIPcLm3EE23TrivialOffsetCalculatorILi2EjESD_ILi1EjENS7_12LoadWithCastILi2EEENS7_13StoreWithCastILi1EEELi32ELi1EEEEEvT0_T1_.numbered_sgpr, 96
	.set .L_ZN2at6native25elementwise_kernel_helperILb1EZZZNS0_12prelu_kernelERNS_14TensorIteratorEENKUlvE_clEvENKUlvE0_clEvEUlffE_NS0_6memory8policies11unroll_baseILi512ESt5arrayIPcLm3EE23TrivialOffsetCalculatorILi2EjESD_ILi1EjENS7_12LoadWithCastILi2EEENS7_13StoreWithCastILi1EEELi32ELi1EEEEEvT0_T1_.num_named_barrier, 0
	.set .L_ZN2at6native25elementwise_kernel_helperILb1EZZZNS0_12prelu_kernelERNS_14TensorIteratorEENKUlvE_clEvENKUlvE0_clEvEUlffE_NS0_6memory8policies11unroll_baseILi512ESt5arrayIPcLm3EE23TrivialOffsetCalculatorILi2EjESD_ILi1EjENS7_12LoadWithCastILi2EEENS7_13StoreWithCastILi1EEELi32ELi1EEEEEvT0_T1_.private_seg_size, 272
	.set .L_ZN2at6native25elementwise_kernel_helperILb1EZZZNS0_12prelu_kernelERNS_14TensorIteratorEENKUlvE_clEvENKUlvE0_clEvEUlffE_NS0_6memory8policies11unroll_baseILi512ESt5arrayIPcLm3EE23TrivialOffsetCalculatorILi2EjESD_ILi1EjENS7_12LoadWithCastILi2EEENS7_13StoreWithCastILi1EEELi32ELi1EEEEEvT0_T1_.uses_vcc, 1
	.set .L_ZN2at6native25elementwise_kernel_helperILb1EZZZNS0_12prelu_kernelERNS_14TensorIteratorEENKUlvE_clEvENKUlvE0_clEvEUlffE_NS0_6memory8policies11unroll_baseILi512ESt5arrayIPcLm3EE23TrivialOffsetCalculatorILi2EjESD_ILi1EjENS7_12LoadWithCastILi2EEENS7_13StoreWithCastILi1EEELi32ELi1EEEEEvT0_T1_.uses_flat_scratch, 1
	.set .L_ZN2at6native25elementwise_kernel_helperILb1EZZZNS0_12prelu_kernelERNS_14TensorIteratorEENKUlvE_clEvENKUlvE0_clEvEUlffE_NS0_6memory8policies11unroll_baseILi512ESt5arrayIPcLm3EE23TrivialOffsetCalculatorILi2EjESD_ILi1EjENS7_12LoadWithCastILi2EEENS7_13StoreWithCastILi1EEELi32ELi1EEEEEvT0_T1_.has_dyn_sized_stack, 0
	.set .L_ZN2at6native25elementwise_kernel_helperILb1EZZZNS0_12prelu_kernelERNS_14TensorIteratorEENKUlvE_clEvENKUlvE0_clEvEUlffE_NS0_6memory8policies11unroll_baseILi512ESt5arrayIPcLm3EE23TrivialOffsetCalculatorILi2EjESD_ILi1EjENS7_12LoadWithCastILi2EEENS7_13StoreWithCastILi1EEELi32ELi1EEEEEvT0_T1_.has_recursion, 0
	.set .L_ZN2at6native25elementwise_kernel_helperILb1EZZZNS0_12prelu_kernelERNS_14TensorIteratorEENKUlvE_clEvENKUlvE0_clEvEUlffE_NS0_6memory8policies11unroll_baseILi512ESt5arrayIPcLm3EE23TrivialOffsetCalculatorILi2EjESD_ILi1EjENS7_12LoadWithCastILi2EEENS7_13StoreWithCastILi1EEELi32ELi1EEEEEvT0_T1_.has_indirect_call, 0
	.section	.AMDGPU.csdata,"",@progbits
; Function info:
; codeLenInByte = 171400
; TotalNumSgprs: 98
; NumVgprs: 120
; ScratchSize: 272
; MemoryBound: 1
	.section	.text._ZN2at6native39vectorized_templated_elementwise_kernelILi8EZZZNS0_12prelu_kernelERNS_14TensorIteratorEENKUlvE_clEvENKUlvE0_clEvEUlffE_St5arrayIPcLm3EE23TrivialOffsetCalculatorILi2EjESA_ILi1EjENS0_6memory12LoadWithCastILi2EEENSD_13StoreWithCastILi1EEEfJfN3c108BFloat16EEEEviT0_T1_T2_T3_T4_T5_,"axG",@progbits,_ZN2at6native39vectorized_templated_elementwise_kernelILi8EZZZNS0_12prelu_kernelERNS_14TensorIteratorEENKUlvE_clEvENKUlvE0_clEvEUlffE_St5arrayIPcLm3EE23TrivialOffsetCalculatorILi2EjESA_ILi1EjENS0_6memory12LoadWithCastILi2EEENSD_13StoreWithCastILi1EEEfJfN3c108BFloat16EEEEviT0_T1_T2_T3_T4_T5_,comdat
	.globl	_ZN2at6native39vectorized_templated_elementwise_kernelILi8EZZZNS0_12prelu_kernelERNS_14TensorIteratorEENKUlvE_clEvENKUlvE0_clEvEUlffE_St5arrayIPcLm3EE23TrivialOffsetCalculatorILi2EjESA_ILi1EjENS0_6memory12LoadWithCastILi2EEENSD_13StoreWithCastILi1EEEfJfN3c108BFloat16EEEEviT0_T1_T2_T3_T4_T5_ ; -- Begin function _ZN2at6native39vectorized_templated_elementwise_kernelILi8EZZZNS0_12prelu_kernelERNS_14TensorIteratorEENKUlvE_clEvENKUlvE0_clEvEUlffE_St5arrayIPcLm3EE23TrivialOffsetCalculatorILi2EjESA_ILi1EjENS0_6memory12LoadWithCastILi2EEENSD_13StoreWithCastILi1EEEfJfN3c108BFloat16EEEEviT0_T1_T2_T3_T4_T5_
	.p2align	8
	.type	_ZN2at6native39vectorized_templated_elementwise_kernelILi8EZZZNS0_12prelu_kernelERNS_14TensorIteratorEENKUlvE_clEvENKUlvE0_clEvEUlffE_St5arrayIPcLm3EE23TrivialOffsetCalculatorILi2EjESA_ILi1EjENS0_6memory12LoadWithCastILi2EEENSD_13StoreWithCastILi1EEEfJfN3c108BFloat16EEEEviT0_T1_T2_T3_T4_T5_,@function
_ZN2at6native39vectorized_templated_elementwise_kernelILi8EZZZNS0_12prelu_kernelERNS_14TensorIteratorEENKUlvE_clEvENKUlvE0_clEvEUlffE_St5arrayIPcLm3EE23TrivialOffsetCalculatorILi2EjESA_ILi1EjENS0_6memory12LoadWithCastILi2EEENSD_13StoreWithCastILi1EEEfJfN3c108BFloat16EEEEviT0_T1_T2_T3_T4_T5_: ; @_ZN2at6native39vectorized_templated_elementwise_kernelILi8EZZZNS0_12prelu_kernelERNS_14TensorIteratorEENKUlvE_clEvENKUlvE0_clEvEUlffE_St5arrayIPcLm3EE23TrivialOffsetCalculatorILi2EjESA_ILi1EjENS0_6memory12LoadWithCastILi2EEENSD_13StoreWithCastILi1EEEfJfN3c108BFloat16EEEEviT0_T1_T2_T3_T4_T5_
; %bb.0:
	s_clause 0x2
	s_load_b32 s8, s[0:1], 0x38
	s_load_b32 s9, s[0:1], 0x0
	s_load_b64 s[2:3], s[0:1], 0x18
	s_bfe_u32 s10, ttmp6, 0x4000c
	s_load_b128 s[4:7], s[0:1], 0x8
	s_add_co_i32 s10, s10, 1
	s_and_b32 s11, ttmp6, 15
	s_mul_i32 s10, ttmp9, s10
	s_getreg_b32 s12, hwreg(HW_REG_IB_STS2, 6, 4)
	s_add_co_i32 s11, s11, s10
	s_cmp_eq_u32 s12, 0
	s_mov_b32 s32, 0
	s_cselect_b32 s10, ttmp9, s11
	s_delay_alu instid0(SALU_CYCLE_1) | instskip(SKIP_4) | instid1(SALU_CYCLE_1)
	s_not_b32 s10, s10
	s_wait_kmcnt 0x0
	s_add_co_i32 s8, s8, s10
	s_mov_b32 s10, -1
	s_lshl_b32 s8, s8, 14
	s_sub_co_i32 s12, s9, s8
	s_delay_alu instid0(SALU_CYCLE_1)
	s_cmp_gt_i32 s12, 0x3fff
	s_cbranch_scc1 .LBB15_3
; %bb.1:
	s_and_not1_b32 vcc_lo, exec_lo, s10
	s_cbranch_vccz .LBB15_4
.LBB15_2:
	s_sendmsg sendmsg(MSG_DEALLOC_VGPRS)
	s_endpgm
.LBB15_3:
	s_ashr_i32 s9, s8, 31
	s_delay_alu instid0(SALU_CYCLE_1)
	s_lshl_b64 s[10:11], s[8:9], 1
	s_lshl_b64 s[8:9], s[8:9], 2
	s_add_nc_u64 s[10:11], s[2:3], s[10:11]
	s_clause 0x3
	global_load_b128 v[2:5], v0, s[10:11] scale_offset
	global_load_b128 v[6:9], v0, s[10:11] offset:8192 scale_offset
	global_load_b128 v[10:13], v0, s[10:11] offset:16384 scale_offset
	;; [unrolled: 1-line block ×3, first 2 shown]
	v_lshlrev_b32_e32 v1, 5, v0
	s_wait_xcnt 0x0
	s_add_nc_u64 s[10:11], s[6:7], s[8:9]
	s_add_nc_u64 s[8:9], s[4:5], s[8:9]
	s_wait_loadcnt 0x3
	v_lshlrev_b32_e32 v34, 16, v2
	s_clause 0x3
	global_load_b128 v[18:21], v1, s[10:11]
	global_load_b128 v[22:25], v1, s[10:11] offset:16
	global_load_b128 v[26:29], v1, s[10:11] offset:16384
	;; [unrolled: 1-line block ×3, first 2 shown]
	s_wait_loadcnt 0x6
	v_dual_lshlrev_b32 v40, 16, v5 :: v_dual_lshlrev_b32 v42, 16, v6
	v_and_b32_e32 v43, 0xffff0000, v6
	v_and_b32_e32 v45, 0xffff0000, v7
	v_dual_lshlrev_b32 v44, 16, v7 :: v_dual_lshlrev_b32 v46, 16, v8
	v_and_b32_e32 v47, 0xffff0000, v8
	v_and_b32_e32 v49, 0xffff0000, v9
	s_wait_loadcnt 0x5
	v_dual_lshlrev_b32 v48, 16, v9 :: v_dual_lshlrev_b32 v50, 16, v10
	v_and_b32_e32 v51, 0xffff0000, v10
	v_and_b32_e32 v53, 0xffff0000, v11
	v_dual_lshlrev_b32 v52, 16, v11 :: v_dual_lshlrev_b32 v54, 16, v12
	v_and_b32_e32 v55, 0xffff0000, v12
	v_and_b32_e32 v57, 0xffff0000, v13
	s_wait_loadcnt 0x4
	v_dual_lshlrev_b32 v56, 16, v13 :: v_dual_lshlrev_b32 v58, 16, v14
	s_clause 0x1
	global_load_b128 v[6:9], v1, s[10:11] offset:32784
	global_load_b128 v[10:13], v1, s[10:11] offset:32768
	v_and_b32_e32 v35, 0xffff0000, v2
	v_and_b32_e32 v37, 0xffff0000, v3
	v_dual_lshlrev_b32 v36, 16, v3 :: v_dual_lshlrev_b32 v38, 16, v4
	v_and_b32_e32 v39, 0xffff0000, v4
	v_and_b32_e32 v41, 0xffff0000, v5
	;; [unrolled: 1-line block ×4, first 2 shown]
	v_dual_lshlrev_b32 v60, 16, v15 :: v_dual_lshlrev_b32 v62, 16, v16
	v_and_b32_e32 v63, 0xffff0000, v16
	v_and_b32_e32 v65, 0xffff0000, v17
	s_wait_loadcnt 0x5
	v_pk_mul_f32 v[2:3], v[18:19], v[34:35]
	v_cmp_lt_f32_e32 vcc_lo, 0, v19
	v_lshlrev_b32_e32 v64, 16, v17
	v_pk_mul_f32 v[4:5], v[20:21], v[36:37]
	s_wait_loadcnt 0x4
	v_pk_mul_f32 v[14:15], v[22:23], v[38:39]
	v_pk_mul_f32 v[16:17], v[24:25], v[40:41]
	v_cndmask_b32_e32 v3, v3, v19, vcc_lo
	v_cmp_lt_f32_e32 vcc_lo, 0, v18
	s_wait_loadcnt 0x2
	v_pk_mul_f32 v[38:39], v[32:33], v[48:49]
	global_load_b128 v[34:37], v1, s[10:11] offset:49168
	v_cndmask_b32_e32 v2, v2, v18, vcc_lo
	v_cmp_lt_f32_e32 vcc_lo, 0, v21
	v_cndmask_b32_e32 v5, v5, v21, vcc_lo
	v_cmp_lt_f32_e32 vcc_lo, 0, v20
	s_wait_loadcnt 0x1
	v_pk_mul_f32 v[40:41], v[10:11], v[50:51]
	v_cndmask_b32_e32 v4, v4, v20, vcc_lo
	global_load_b128 v[18:21], v1, s[10:11] offset:49152
	v_cmp_lt_f32_e32 vcc_lo, 0, v23
	s_wait_xcnt 0x0
	v_cndmask_b32_e32 v15, v15, v23, vcc_lo
	v_cmp_lt_f32_e32 vcc_lo, 0, v22
	v_cndmask_b32_e32 v14, v14, v22, vcc_lo
	v_cmp_lt_f32_e32 vcc_lo, 0, v25
	v_pk_mul_f32 v[22:23], v[26:27], v[42:43]
	v_pk_mul_f32 v[42:43], v[12:13], v[52:53]
	v_cndmask_b32_e32 v17, v17, v25, vcc_lo
	v_cmp_lt_f32_e32 vcc_lo, 0, v24
	v_cndmask_b32_e32 v16, v16, v24, vcc_lo
	v_cmp_lt_f32_e32 vcc_lo, 0, v27
	v_pk_mul_f32 v[24:25], v[28:29], v[44:45]
	v_pk_mul_f32 v[44:45], v[6:7], v[54:55]
	v_cndmask_b32_e32 v23, v23, v27, vcc_lo
	v_cmp_lt_f32_e32 vcc_lo, 0, v26
	v_cndmask_b32_e32 v22, v22, v26, vcc_lo
	v_cmp_lt_f32_e32 vcc_lo, 0, v29
	v_pk_mul_f32 v[26:27], v[30:31], v[46:47]
	v_pk_mul_f32 v[46:47], v[8:9], v[56:57]
	v_cndmask_b32_e32 v25, v25, v29, vcc_lo
	v_cmp_lt_f32_e32 vcc_lo, 0, v28
	v_cndmask_b32_e32 v24, v24, v28, vcc_lo
	v_cmp_lt_f32_e32 vcc_lo, 0, v31
	v_cndmask_b32_e32 v27, v27, v31, vcc_lo
	v_cmp_lt_f32_e32 vcc_lo, 0, v30
	v_cndmask_b32_e32 v26, v26, v30, vcc_lo
	v_cmp_lt_f32_e32 vcc_lo, 0, v33
	v_cndmask_b32_e32 v29, v39, v33, vcc_lo
	v_cmp_lt_f32_e32 vcc_lo, 0, v32
	v_cndmask_b32_e32 v28, v38, v32, vcc_lo
	v_cmp_lt_f32_e32 vcc_lo, 0, v11
	v_cndmask_b32_e32 v11, v41, v11, vcc_lo
	v_cmp_lt_f32_e32 vcc_lo, 0, v10
	v_cndmask_b32_e32 v10, v40, v10, vcc_lo
	v_cmp_lt_f32_e32 vcc_lo, 0, v13
	v_cndmask_b32_e32 v13, v43, v13, vcc_lo
	v_cmp_lt_f32_e32 vcc_lo, 0, v12
	v_cndmask_b32_e32 v12, v42, v12, vcc_lo
	v_cmp_lt_f32_e32 vcc_lo, 0, v7
	v_cndmask_b32_e32 v7, v45, v7, vcc_lo
	v_cmp_lt_f32_e32 vcc_lo, 0, v6
	v_cndmask_b32_e32 v6, v44, v6, vcc_lo
	v_cmp_lt_f32_e32 vcc_lo, 0, v9
	v_cndmask_b32_e32 v9, v47, v9, vcc_lo
	v_cmp_lt_f32_e32 vcc_lo, 0, v8
	s_wait_loadcnt 0x1
	v_pk_mul_f32 v[52:53], v[34:35], v[62:63]
	v_pk_mul_f32 v[54:55], v[36:37], v[64:65]
	s_wait_loadcnt 0x0
	v_pk_mul_f32 v[48:49], v[18:19], v[58:59]
	v_cndmask_b32_e32 v8, v46, v8, vcc_lo
	v_cmp_lt_f32_e32 vcc_lo, 0, v19
	v_pk_mul_f32 v[50:51], v[20:21], v[60:61]
	s_delay_alu instid0(VALU_DEP_4)
	v_cndmask_b32_e32 v19, v49, v19, vcc_lo
	v_cmp_lt_f32_e32 vcc_lo, 0, v18
	v_cndmask_b32_e32 v18, v48, v18, vcc_lo
	v_cmp_lt_f32_e32 vcc_lo, 0, v21
	;; [unrolled: 2-line block ×7, first 2 shown]
	v_cndmask_b32_e32 v32, v54, v36, vcc_lo
	s_clause 0x7
	global_store_b128 v1, v[2:5], s[8:9]
	global_store_b128 v1, v[14:17], s[8:9] offset:16
	global_store_b128 v1, v[22:25], s[8:9] offset:16384
	;; [unrolled: 1-line block ×7, first 2 shown]
	s_cbranch_execnz .LBB15_2
.LBB15_4:
	s_clause 0x1
	s_load_b32 s10, s[0:1], 0x24
	s_load_b128 s[16:19], s[0:1], 0x28
	v_dual_mov_b32 v31, v0 :: v_dual_mov_b32 v0, s4
	v_dual_mov_b32 v1, s5 :: v_dual_mov_b32 v2, s6
	;; [unrolled: 1-line block ×4, first 2 shown]
	s_add_nc_u64 s[8:9], s[0:1], 56
	s_wait_xcnt 0x0
	s_get_pc_i64 s[0:1]
	s_add_nc_u64 s[0:1], s[0:1], _ZN2at6native25elementwise_kernel_helperILb1EZZZNS0_12prelu_kernelERNS_14TensorIteratorEENKUlvE_clEvENKUlvE0_clEvEUlffE_NS0_6memory8policies11unroll_baseILi512ESt5arrayIPcLm3EE23TrivialOffsetCalculatorILi2EjESD_ILi1EjENS7_12LoadWithCastILi2EEENS7_13StoreWithCastILi1EEELi32ELi1EEEEEvT0_T1_@rel64+4
	s_wait_kmcnt 0x0
	s_bfe_u32 s11, s10, 0x80008
	v_dual_mov_b32 v7, s10 :: v_dual_mov_b32 v9, s16
	v_dual_mov_b32 v10, s17 :: v_dual_mov_b32 v11, s18
	;; [unrolled: 1-line block ×3, first 2 shown]
	s_swap_pc_i64 s[30:31], s[0:1]
	s_endpgm
	.section	.rodata,"a",@progbits
	.p2align	6, 0x0
	.amdhsa_kernel _ZN2at6native39vectorized_templated_elementwise_kernelILi8EZZZNS0_12prelu_kernelERNS_14TensorIteratorEENKUlvE_clEvENKUlvE0_clEvEUlffE_St5arrayIPcLm3EE23TrivialOffsetCalculatorILi2EjESA_ILi1EjENS0_6memory12LoadWithCastILi2EEENSD_13StoreWithCastILi1EEEfJfN3c108BFloat16EEEEviT0_T1_T2_T3_T4_T5_
		.amdhsa_group_segment_fixed_size 0
		.amdhsa_private_segment_fixed_size 272
		.amdhsa_kernarg_size 312
		.amdhsa_user_sgpr_count 2
		.amdhsa_user_sgpr_dispatch_ptr 0
		.amdhsa_user_sgpr_queue_ptr 0
		.amdhsa_user_sgpr_kernarg_segment_ptr 1
		.amdhsa_user_sgpr_dispatch_id 0
		.amdhsa_user_sgpr_kernarg_preload_length 0
		.amdhsa_user_sgpr_kernarg_preload_offset 0
		.amdhsa_user_sgpr_private_segment_size 0
		.amdhsa_wavefront_size32 1
		.amdhsa_uses_dynamic_stack 0
		.amdhsa_enable_private_segment 1
		.amdhsa_system_sgpr_workgroup_id_x 1
		.amdhsa_system_sgpr_workgroup_id_y 0
		.amdhsa_system_sgpr_workgroup_id_z 0
		.amdhsa_system_sgpr_workgroup_info 0
		.amdhsa_system_vgpr_workitem_id 0
		.amdhsa_next_free_vgpr 120
		.amdhsa_next_free_sgpr 96
		.amdhsa_named_barrier_count 0
		.amdhsa_reserve_vcc 1
		.amdhsa_float_round_mode_32 0
		.amdhsa_float_round_mode_16_64 0
		.amdhsa_float_denorm_mode_32 3
		.amdhsa_float_denorm_mode_16_64 3
		.amdhsa_fp16_overflow 0
		.amdhsa_memory_ordered 1
		.amdhsa_forward_progress 1
		.amdhsa_inst_pref_size 10
		.amdhsa_round_robin_scheduling 0
		.amdhsa_exception_fp_ieee_invalid_op 0
		.amdhsa_exception_fp_denorm_src 0
		.amdhsa_exception_fp_ieee_div_zero 0
		.amdhsa_exception_fp_ieee_overflow 0
		.amdhsa_exception_fp_ieee_underflow 0
		.amdhsa_exception_fp_ieee_inexact 0
		.amdhsa_exception_int_div_zero 0
	.end_amdhsa_kernel
	.section	.text._ZN2at6native39vectorized_templated_elementwise_kernelILi8EZZZNS0_12prelu_kernelERNS_14TensorIteratorEENKUlvE_clEvENKUlvE0_clEvEUlffE_St5arrayIPcLm3EE23TrivialOffsetCalculatorILi2EjESA_ILi1EjENS0_6memory12LoadWithCastILi2EEENSD_13StoreWithCastILi1EEEfJfN3c108BFloat16EEEEviT0_T1_T2_T3_T4_T5_,"axG",@progbits,_ZN2at6native39vectorized_templated_elementwise_kernelILi8EZZZNS0_12prelu_kernelERNS_14TensorIteratorEENKUlvE_clEvENKUlvE0_clEvEUlffE_St5arrayIPcLm3EE23TrivialOffsetCalculatorILi2EjESA_ILi1EjENS0_6memory12LoadWithCastILi2EEENSD_13StoreWithCastILi1EEEfJfN3c108BFloat16EEEEviT0_T1_T2_T3_T4_T5_,comdat
.Lfunc_end15:
	.size	_ZN2at6native39vectorized_templated_elementwise_kernelILi8EZZZNS0_12prelu_kernelERNS_14TensorIteratorEENKUlvE_clEvENKUlvE0_clEvEUlffE_St5arrayIPcLm3EE23TrivialOffsetCalculatorILi2EjESA_ILi1EjENS0_6memory12LoadWithCastILi2EEENSD_13StoreWithCastILi1EEEfJfN3c108BFloat16EEEEviT0_T1_T2_T3_T4_T5_, .Lfunc_end15-_ZN2at6native39vectorized_templated_elementwise_kernelILi8EZZZNS0_12prelu_kernelERNS_14TensorIteratorEENKUlvE_clEvENKUlvE0_clEvEUlffE_St5arrayIPcLm3EE23TrivialOffsetCalculatorILi2EjESA_ILi1EjENS0_6memory12LoadWithCastILi2EEENSD_13StoreWithCastILi1EEEfJfN3c108BFloat16EEEEviT0_T1_T2_T3_T4_T5_
                                        ; -- End function
	.set _ZN2at6native39vectorized_templated_elementwise_kernelILi8EZZZNS0_12prelu_kernelERNS_14TensorIteratorEENKUlvE_clEvENKUlvE0_clEvEUlffE_St5arrayIPcLm3EE23TrivialOffsetCalculatorILi2EjESA_ILi1EjENS0_6memory12LoadWithCastILi2EEENSD_13StoreWithCastILi1EEEfJfN3c108BFloat16EEEEviT0_T1_T2_T3_T4_T5_.num_vgpr, max(66, .L_ZN2at6native25elementwise_kernel_helperILb1EZZZNS0_12prelu_kernelERNS_14TensorIteratorEENKUlvE_clEvENKUlvE0_clEvEUlffE_NS0_6memory8policies11unroll_baseILi512ESt5arrayIPcLm3EE23TrivialOffsetCalculatorILi2EjESD_ILi1EjENS7_12LoadWithCastILi2EEENS7_13StoreWithCastILi1EEELi32ELi1EEEEEvT0_T1_.num_vgpr)
	.set _ZN2at6native39vectorized_templated_elementwise_kernelILi8EZZZNS0_12prelu_kernelERNS_14TensorIteratorEENKUlvE_clEvENKUlvE0_clEvEUlffE_St5arrayIPcLm3EE23TrivialOffsetCalculatorILi2EjESA_ILi1EjENS0_6memory12LoadWithCastILi2EEENSD_13StoreWithCastILi1EEEfJfN3c108BFloat16EEEEviT0_T1_T2_T3_T4_T5_.num_agpr, max(0, .L_ZN2at6native25elementwise_kernel_helperILb1EZZZNS0_12prelu_kernelERNS_14TensorIteratorEENKUlvE_clEvENKUlvE0_clEvEUlffE_NS0_6memory8policies11unroll_baseILi512ESt5arrayIPcLm3EE23TrivialOffsetCalculatorILi2EjESD_ILi1EjENS7_12LoadWithCastILi2EEENS7_13StoreWithCastILi1EEELi32ELi1EEEEEvT0_T1_.num_agpr)
	.set _ZN2at6native39vectorized_templated_elementwise_kernelILi8EZZZNS0_12prelu_kernelERNS_14TensorIteratorEENKUlvE_clEvENKUlvE0_clEvEUlffE_St5arrayIPcLm3EE23TrivialOffsetCalculatorILi2EjESA_ILi1EjENS0_6memory12LoadWithCastILi2EEENSD_13StoreWithCastILi1EEEfJfN3c108BFloat16EEEEviT0_T1_T2_T3_T4_T5_.numbered_sgpr, max(33, .L_ZN2at6native25elementwise_kernel_helperILb1EZZZNS0_12prelu_kernelERNS_14TensorIteratorEENKUlvE_clEvENKUlvE0_clEvEUlffE_NS0_6memory8policies11unroll_baseILi512ESt5arrayIPcLm3EE23TrivialOffsetCalculatorILi2EjESD_ILi1EjENS7_12LoadWithCastILi2EEENS7_13StoreWithCastILi1EEELi32ELi1EEEEEvT0_T1_.numbered_sgpr)
	.set _ZN2at6native39vectorized_templated_elementwise_kernelILi8EZZZNS0_12prelu_kernelERNS_14TensorIteratorEENKUlvE_clEvENKUlvE0_clEvEUlffE_St5arrayIPcLm3EE23TrivialOffsetCalculatorILi2EjESA_ILi1EjENS0_6memory12LoadWithCastILi2EEENSD_13StoreWithCastILi1EEEfJfN3c108BFloat16EEEEviT0_T1_T2_T3_T4_T5_.num_named_barrier, max(0, .L_ZN2at6native25elementwise_kernel_helperILb1EZZZNS0_12prelu_kernelERNS_14TensorIteratorEENKUlvE_clEvENKUlvE0_clEvEUlffE_NS0_6memory8policies11unroll_baseILi512ESt5arrayIPcLm3EE23TrivialOffsetCalculatorILi2EjESD_ILi1EjENS7_12LoadWithCastILi2EEENS7_13StoreWithCastILi1EEELi32ELi1EEEEEvT0_T1_.num_named_barrier)
	.set _ZN2at6native39vectorized_templated_elementwise_kernelILi8EZZZNS0_12prelu_kernelERNS_14TensorIteratorEENKUlvE_clEvENKUlvE0_clEvEUlffE_St5arrayIPcLm3EE23TrivialOffsetCalculatorILi2EjESA_ILi1EjENS0_6memory12LoadWithCastILi2EEENSD_13StoreWithCastILi1EEEfJfN3c108BFloat16EEEEviT0_T1_T2_T3_T4_T5_.private_seg_size, 0+max(.L_ZN2at6native25elementwise_kernel_helperILb1EZZZNS0_12prelu_kernelERNS_14TensorIteratorEENKUlvE_clEvENKUlvE0_clEvEUlffE_NS0_6memory8policies11unroll_baseILi512ESt5arrayIPcLm3EE23TrivialOffsetCalculatorILi2EjESD_ILi1EjENS7_12LoadWithCastILi2EEENS7_13StoreWithCastILi1EEELi32ELi1EEEEEvT0_T1_.private_seg_size)
	.set _ZN2at6native39vectorized_templated_elementwise_kernelILi8EZZZNS0_12prelu_kernelERNS_14TensorIteratorEENKUlvE_clEvENKUlvE0_clEvEUlffE_St5arrayIPcLm3EE23TrivialOffsetCalculatorILi2EjESA_ILi1EjENS0_6memory12LoadWithCastILi2EEENSD_13StoreWithCastILi1EEEfJfN3c108BFloat16EEEEviT0_T1_T2_T3_T4_T5_.uses_vcc, or(1, .L_ZN2at6native25elementwise_kernel_helperILb1EZZZNS0_12prelu_kernelERNS_14TensorIteratorEENKUlvE_clEvENKUlvE0_clEvEUlffE_NS0_6memory8policies11unroll_baseILi512ESt5arrayIPcLm3EE23TrivialOffsetCalculatorILi2EjESD_ILi1EjENS7_12LoadWithCastILi2EEENS7_13StoreWithCastILi1EEELi32ELi1EEEEEvT0_T1_.uses_vcc)
	.set _ZN2at6native39vectorized_templated_elementwise_kernelILi8EZZZNS0_12prelu_kernelERNS_14TensorIteratorEENKUlvE_clEvENKUlvE0_clEvEUlffE_St5arrayIPcLm3EE23TrivialOffsetCalculatorILi2EjESA_ILi1EjENS0_6memory12LoadWithCastILi2EEENSD_13StoreWithCastILi1EEEfJfN3c108BFloat16EEEEviT0_T1_T2_T3_T4_T5_.uses_flat_scratch, or(0, .L_ZN2at6native25elementwise_kernel_helperILb1EZZZNS0_12prelu_kernelERNS_14TensorIteratorEENKUlvE_clEvENKUlvE0_clEvEUlffE_NS0_6memory8policies11unroll_baseILi512ESt5arrayIPcLm3EE23TrivialOffsetCalculatorILi2EjESD_ILi1EjENS7_12LoadWithCastILi2EEENS7_13StoreWithCastILi1EEELi32ELi1EEEEEvT0_T1_.uses_flat_scratch)
	.set _ZN2at6native39vectorized_templated_elementwise_kernelILi8EZZZNS0_12prelu_kernelERNS_14TensorIteratorEENKUlvE_clEvENKUlvE0_clEvEUlffE_St5arrayIPcLm3EE23TrivialOffsetCalculatorILi2EjESA_ILi1EjENS0_6memory12LoadWithCastILi2EEENSD_13StoreWithCastILi1EEEfJfN3c108BFloat16EEEEviT0_T1_T2_T3_T4_T5_.has_dyn_sized_stack, or(0, .L_ZN2at6native25elementwise_kernel_helperILb1EZZZNS0_12prelu_kernelERNS_14TensorIteratorEENKUlvE_clEvENKUlvE0_clEvEUlffE_NS0_6memory8policies11unroll_baseILi512ESt5arrayIPcLm3EE23TrivialOffsetCalculatorILi2EjESD_ILi1EjENS7_12LoadWithCastILi2EEENS7_13StoreWithCastILi1EEELi32ELi1EEEEEvT0_T1_.has_dyn_sized_stack)
	.set _ZN2at6native39vectorized_templated_elementwise_kernelILi8EZZZNS0_12prelu_kernelERNS_14TensorIteratorEENKUlvE_clEvENKUlvE0_clEvEUlffE_St5arrayIPcLm3EE23TrivialOffsetCalculatorILi2EjESA_ILi1EjENS0_6memory12LoadWithCastILi2EEENSD_13StoreWithCastILi1EEEfJfN3c108BFloat16EEEEviT0_T1_T2_T3_T4_T5_.has_recursion, or(0, .L_ZN2at6native25elementwise_kernel_helperILb1EZZZNS0_12prelu_kernelERNS_14TensorIteratorEENKUlvE_clEvENKUlvE0_clEvEUlffE_NS0_6memory8policies11unroll_baseILi512ESt5arrayIPcLm3EE23TrivialOffsetCalculatorILi2EjESD_ILi1EjENS7_12LoadWithCastILi2EEENS7_13StoreWithCastILi1EEELi32ELi1EEEEEvT0_T1_.has_recursion)
	.set _ZN2at6native39vectorized_templated_elementwise_kernelILi8EZZZNS0_12prelu_kernelERNS_14TensorIteratorEENKUlvE_clEvENKUlvE0_clEvEUlffE_St5arrayIPcLm3EE23TrivialOffsetCalculatorILi2EjESA_ILi1EjENS0_6memory12LoadWithCastILi2EEENSD_13StoreWithCastILi1EEEfJfN3c108BFloat16EEEEviT0_T1_T2_T3_T4_T5_.has_indirect_call, or(0, .L_ZN2at6native25elementwise_kernel_helperILb1EZZZNS0_12prelu_kernelERNS_14TensorIteratorEENKUlvE_clEvENKUlvE0_clEvEUlffE_NS0_6memory8policies11unroll_baseILi512ESt5arrayIPcLm3EE23TrivialOffsetCalculatorILi2EjESD_ILi1EjENS7_12LoadWithCastILi2EEENS7_13StoreWithCastILi1EEELi32ELi1EEEEEvT0_T1_.has_indirect_call)
	.section	.AMDGPU.csdata,"",@progbits
; Kernel info:
; codeLenInByte = 1212
; TotalNumSgprs: 98
; NumVgprs: 120
; ScratchSize: 272
; MemoryBound: 0
; FloatMode: 240
; IeeeMode: 1
; LDSByteSize: 0 bytes/workgroup (compile time only)
; SGPRBlocks: 0
; VGPRBlocks: 7
; NumSGPRsForWavesPerEU: 98
; NumVGPRsForWavesPerEU: 120
; NamedBarCnt: 0
; Occupancy: 8
; WaveLimiterHint : 0
; COMPUTE_PGM_RSRC2:SCRATCH_EN: 1
; COMPUTE_PGM_RSRC2:USER_SGPR: 2
; COMPUTE_PGM_RSRC2:TRAP_HANDLER: 0
; COMPUTE_PGM_RSRC2:TGID_X_EN: 1
; COMPUTE_PGM_RSRC2:TGID_Y_EN: 0
; COMPUTE_PGM_RSRC2:TGID_Z_EN: 0
; COMPUTE_PGM_RSRC2:TIDIG_COMP_CNT: 0
	.section	.text._ZN2at6native39vectorized_templated_elementwise_kernelILi4EZZZNS0_12prelu_kernelERNS_14TensorIteratorEENKUlvE_clEvENKUlvE0_clEvEUlffE_St5arrayIPcLm3EE23TrivialOffsetCalculatorILi2EjESA_ILi1EjENS0_6memory12LoadWithCastILi2EEENSD_13StoreWithCastILi1EEEfJfN3c108BFloat16EEEEviT0_T1_T2_T3_T4_T5_,"axG",@progbits,_ZN2at6native39vectorized_templated_elementwise_kernelILi4EZZZNS0_12prelu_kernelERNS_14TensorIteratorEENKUlvE_clEvENKUlvE0_clEvEUlffE_St5arrayIPcLm3EE23TrivialOffsetCalculatorILi2EjESA_ILi1EjENS0_6memory12LoadWithCastILi2EEENSD_13StoreWithCastILi1EEEfJfN3c108BFloat16EEEEviT0_T1_T2_T3_T4_T5_,comdat
	.globl	_ZN2at6native39vectorized_templated_elementwise_kernelILi4EZZZNS0_12prelu_kernelERNS_14TensorIteratorEENKUlvE_clEvENKUlvE0_clEvEUlffE_St5arrayIPcLm3EE23TrivialOffsetCalculatorILi2EjESA_ILi1EjENS0_6memory12LoadWithCastILi2EEENSD_13StoreWithCastILi1EEEfJfN3c108BFloat16EEEEviT0_T1_T2_T3_T4_T5_ ; -- Begin function _ZN2at6native39vectorized_templated_elementwise_kernelILi4EZZZNS0_12prelu_kernelERNS_14TensorIteratorEENKUlvE_clEvENKUlvE0_clEvEUlffE_St5arrayIPcLm3EE23TrivialOffsetCalculatorILi2EjESA_ILi1EjENS0_6memory12LoadWithCastILi2EEENSD_13StoreWithCastILi1EEEfJfN3c108BFloat16EEEEviT0_T1_T2_T3_T4_T5_
	.p2align	8
	.type	_ZN2at6native39vectorized_templated_elementwise_kernelILi4EZZZNS0_12prelu_kernelERNS_14TensorIteratorEENKUlvE_clEvENKUlvE0_clEvEUlffE_St5arrayIPcLm3EE23TrivialOffsetCalculatorILi2EjESA_ILi1EjENS0_6memory12LoadWithCastILi2EEENSD_13StoreWithCastILi1EEEfJfN3c108BFloat16EEEEviT0_T1_T2_T3_T4_T5_,@function
_ZN2at6native39vectorized_templated_elementwise_kernelILi4EZZZNS0_12prelu_kernelERNS_14TensorIteratorEENKUlvE_clEvENKUlvE0_clEvEUlffE_St5arrayIPcLm3EE23TrivialOffsetCalculatorILi2EjESA_ILi1EjENS0_6memory12LoadWithCastILi2EEENSD_13StoreWithCastILi1EEEfJfN3c108BFloat16EEEEviT0_T1_T2_T3_T4_T5_: ; @_ZN2at6native39vectorized_templated_elementwise_kernelILi4EZZZNS0_12prelu_kernelERNS_14TensorIteratorEENKUlvE_clEvENKUlvE0_clEvEUlffE_St5arrayIPcLm3EE23TrivialOffsetCalculatorILi2EjESA_ILi1EjENS0_6memory12LoadWithCastILi2EEENSD_13StoreWithCastILi1EEEfJfN3c108BFloat16EEEEviT0_T1_T2_T3_T4_T5_
; %bb.0:
	s_clause 0x2
	s_load_b32 s8, s[0:1], 0x38
	s_load_b32 s9, s[0:1], 0x0
	s_load_b64 s[2:3], s[0:1], 0x18
	s_bfe_u32 s10, ttmp6, 0x4000c
	s_load_b128 s[4:7], s[0:1], 0x8
	s_add_co_i32 s10, s10, 1
	s_and_b32 s11, ttmp6, 15
	s_mul_i32 s10, ttmp9, s10
	s_getreg_b32 s12, hwreg(HW_REG_IB_STS2, 6, 4)
	s_add_co_i32 s11, s11, s10
	s_cmp_eq_u32 s12, 0
	s_mov_b32 s32, 0
	s_cselect_b32 s10, ttmp9, s11
	s_delay_alu instid0(SALU_CYCLE_1) | instskip(SKIP_4) | instid1(SALU_CYCLE_1)
	s_not_b32 s10, s10
	s_wait_kmcnt 0x0
	s_add_co_i32 s8, s8, s10
	s_mov_b32 s10, -1
	s_lshl_b32 s8, s8, 14
	s_sub_co_i32 s12, s9, s8
	s_delay_alu instid0(SALU_CYCLE_1)
	s_cmp_gt_i32 s12, 0x3fff
	s_cbranch_scc1 .LBB16_3
; %bb.1:
	s_and_not1_b32 vcc_lo, exec_lo, s10
	s_cbranch_vccz .LBB16_4
.LBB16_2:
	s_sendmsg sendmsg(MSG_DEALLOC_VGPRS)
	s_endpgm
.LBB16_3:
	s_ashr_i32 s9, s8, 31
	s_delay_alu instid0(SALU_CYCLE_1)
	s_lshl_b64 s[10:11], s[8:9], 1
	s_lshl_b64 s[8:9], s[8:9], 2
	s_add_nc_u64 s[14:15], s[2:3], s[10:11]
	s_add_nc_u64 s[10:11], s[6:7], s[8:9]
	s_clause 0xb
	global_load_b64 v[18:19], v0, s[14:15] scale_offset
	global_load_b64 v[20:21], v0, s[14:15] offset:4096 scale_offset
	global_load_b64 v[22:23], v0, s[14:15] offset:8192 scale_offset
	;; [unrolled: 1-line block ×7, first 2 shown]
	global_load_b128 v[2:5], v0, s[10:11] scale_offset
	global_load_b128 v[6:9], v0, s[10:11] offset:8192 scale_offset
	global_load_b128 v[10:13], v0, s[10:11] offset:16384 scale_offset
	;; [unrolled: 1-line block ×3, first 2 shown]
	s_add_nc_u64 s[8:9], s[4:5], s[8:9]
	s_wait_loadcnt 0xb
	v_lshlrev_b32_e32 v34, 16, v18
	v_and_b32_e32 v35, 0xffff0000, v18
	s_wait_loadcnt 0xa
	v_dual_lshlrev_b32 v18, 16, v19 :: v_dual_lshlrev_b32 v36, 16, v20
	v_lshlrev_b32_e32 v38, 16, v21
	v_and_b32_e32 v37, 0xffff0000, v20
	v_and_b32_e32 v39, 0xffff0000, v21
	s_wait_loadcnt 0x3
	v_pk_mul_f32 v[20:21], v[2:3], v[34:35]
	v_cmp_lt_f32_e32 vcc_lo, 0, v3
	v_and_b32_e32 v19, 0xffff0000, v19
	v_dual_lshlrev_b32 v40, 16, v22 :: v_dual_lshlrev_b32 v42, 16, v23
	v_and_b32_e32 v41, 0xffff0000, v22
	v_cndmask_b32_e32 v3, v21, v3, vcc_lo
	v_cmp_lt_f32_e32 vcc_lo, 0, v2
	v_and_b32_e32 v43, 0xffff0000, v23
	v_dual_lshlrev_b32 v44, 16, v24 :: v_dual_lshlrev_b32 v46, 16, v25
	v_and_b32_e32 v45, 0xffff0000, v24
	v_and_b32_e32 v47, 0xffff0000, v25
	v_dual_lshlrev_b32 v48, 16, v26 :: v_dual_lshlrev_b32 v50, 16, v27
	v_and_b32_e32 v49, 0xffff0000, v26
	v_and_b32_e32 v51, 0xffff0000, v27
	v_pk_mul_f32 v[26:27], v[4:5], v[18:19]
	v_cndmask_b32_e32 v2, v20, v2, vcc_lo
	s_clause 0x1
	global_load_b128 v[18:21], v0, s[10:11] offset:32768 scale_offset
	global_load_b128 v[22:25], v0, s[10:11] offset:40960 scale_offset
	v_cmp_lt_f32_e32 vcc_lo, 0, v5
	v_dual_lshlrev_b32 v52, 16, v28 :: v_dual_lshlrev_b32 v54, 16, v29
	v_and_b32_e32 v53, 0xffff0000, v28
	v_and_b32_e32 v55, 0xffff0000, v29
	v_cndmask_b32_e32 v5, v27, v5, vcc_lo
	v_cmp_lt_f32_e32 vcc_lo, 0, v4
	s_wait_loadcnt 0x4
	v_pk_mul_f32 v[28:29], v[6:7], v[36:37]
	v_dual_lshlrev_b32 v56, 16, v30 :: v_dual_lshlrev_b32 v58, 16, v31
	v_and_b32_e32 v57, 0xffff0000, v30
	v_cndmask_b32_e32 v4, v26, v4, vcc_lo
	v_cmp_lt_f32_e32 vcc_lo, 0, v7
	v_and_b32_e32 v59, 0xffff0000, v31
	v_pk_mul_f32 v[30:31], v[8:9], v[38:39]
	v_dual_lshlrev_b32 v60, 16, v32 :: v_dual_lshlrev_b32 v34, 16, v33
	v_cndmask_b32_e32 v7, v29, v7, vcc_lo
	v_cmp_lt_f32_e32 vcc_lo, 0, v6
	v_and_b32_e32 v61, 0xffff0000, v32
	v_and_b32_e32 v35, 0xffff0000, v33
	s_wait_loadcnt 0x3
	v_pk_mul_f32 v[32:33], v[10:11], v[40:41]
	v_pk_mul_f32 v[36:37], v[12:13], v[42:43]
	v_cndmask_b32_e32 v6, v28, v6, vcc_lo
	global_load_b128 v[26:29], v0, s[10:11] offset:49152 scale_offset
	v_cmp_lt_f32_e32 vcc_lo, 0, v9
	s_wait_loadcnt 0x3
	v_pk_mul_f32 v[38:39], v[14:15], v[44:45]
	v_pk_mul_f32 v[40:41], v[16:17], v[46:47]
	v_cndmask_b32_e32 v9, v31, v9, vcc_lo
	v_cmp_lt_f32_e32 vcc_lo, 0, v8
	v_cndmask_b32_e32 v8, v30, v8, vcc_lo
	v_cmp_lt_f32_e32 vcc_lo, 0, v11
	;; [unrolled: 2-line block ×3, first 2 shown]
	v_cndmask_b32_e32 v10, v32, v10, vcc_lo
	global_load_b128 v[30:33], v0, s[10:11] offset:57344 scale_offset
	v_cmp_lt_f32_e32 vcc_lo, 0, v13
	s_wait_xcnt 0x0
	v_cndmask_b32_e32 v13, v37, v13, vcc_lo
	v_cmp_lt_f32_e32 vcc_lo, 0, v12
	v_cndmask_b32_e32 v12, v36, v12, vcc_lo
	v_cmp_lt_f32_e32 vcc_lo, 0, v15
	;; [unrolled: 2-line block ×5, first 2 shown]
	v_cndmask_b32_e32 v16, v40, v16, vcc_lo
	s_wait_loadcnt 0x3
	v_pk_mul_f32 v[42:43], v[18:19], v[48:49]
	v_cmp_lt_f32_e32 vcc_lo, 0, v19
	v_pk_mul_f32 v[44:45], v[20:21], v[50:51]
	s_wait_loadcnt 0x2
	v_pk_mul_f32 v[46:47], v[22:23], v[52:53]
	v_pk_mul_f32 v[48:49], v[24:25], v[54:55]
	v_cndmask_b32_e32 v19, v43, v19, vcc_lo
	v_cmp_lt_f32_e32 vcc_lo, 0, v18
	v_cndmask_b32_e32 v18, v42, v18, vcc_lo
	v_cmp_lt_f32_e32 vcc_lo, 0, v21
	v_cndmask_b32_e32 v21, v45, v21, vcc_lo
	v_cmp_lt_f32_e32 vcc_lo, 0, v20
	v_cndmask_b32_e32 v20, v44, v20, vcc_lo
	v_cmp_lt_f32_e32 vcc_lo, 0, v23
	s_wait_loadcnt 0x1
	v_pk_mul_f32 v[50:51], v[26:27], v[56:57]
	v_pk_mul_f32 v[52:53], v[28:29], v[58:59]
	v_cndmask_b32_e32 v23, v47, v23, vcc_lo
	v_cmp_lt_f32_e32 vcc_lo, 0, v22
	v_cndmask_b32_e32 v22, v46, v22, vcc_lo
	v_cmp_lt_f32_e32 vcc_lo, 0, v25
	v_cndmask_b32_e32 v25, v49, v25, vcc_lo
	v_cmp_lt_f32_e32 vcc_lo, 0, v24
	v_cndmask_b32_e32 v24, v48, v24, vcc_lo
	v_cmp_lt_f32_e32 vcc_lo, 0, v27
	;; [unrolled: 11-line block ×3, first 2 shown]
	v_cndmask_b32_e32 v31, v55, v31, vcc_lo
	v_cmp_lt_f32_e32 vcc_lo, 0, v30
	v_cndmask_b32_e32 v30, v54, v30, vcc_lo
	v_cmp_lt_f32_e32 vcc_lo, 0, v33
	;; [unrolled: 2-line block ×3, first 2 shown]
	v_cndmask_b32_e32 v32, v34, v32, vcc_lo
	s_clause 0x7
	global_store_b128 v0, v[2:5], s[8:9] scale_offset
	global_store_b128 v0, v[6:9], s[8:9] offset:8192 scale_offset
	global_store_b128 v0, v[10:13], s[8:9] offset:16384 scale_offset
	;; [unrolled: 1-line block ×7, first 2 shown]
	s_cbranch_execnz .LBB16_2
.LBB16_4:
	s_clause 0x1
	s_load_b32 s10, s[0:1], 0x24
	s_load_b128 s[16:19], s[0:1], 0x28
	v_dual_mov_b32 v31, v0 :: v_dual_mov_b32 v0, s4
	v_dual_mov_b32 v1, s5 :: v_dual_mov_b32 v2, s6
	;; [unrolled: 1-line block ×4, first 2 shown]
	s_add_nc_u64 s[8:9], s[0:1], 56
	s_wait_xcnt 0x0
	s_get_pc_i64 s[0:1]
	s_add_nc_u64 s[0:1], s[0:1], _ZN2at6native25elementwise_kernel_helperILb1EZZZNS0_12prelu_kernelERNS_14TensorIteratorEENKUlvE_clEvENKUlvE0_clEvEUlffE_NS0_6memory8policies11unroll_baseILi512ESt5arrayIPcLm3EE23TrivialOffsetCalculatorILi2EjESD_ILi1EjENS7_12LoadWithCastILi2EEENS7_13StoreWithCastILi1EEELi32ELi1EEEEEvT0_T1_@rel64+4
	s_wait_kmcnt 0x0
	s_bfe_u32 s11, s10, 0x80008
	v_dual_mov_b32 v7, s10 :: v_dual_mov_b32 v9, s16
	v_dual_mov_b32 v10, s17 :: v_dual_mov_b32 v11, s18
	;; [unrolled: 1-line block ×3, first 2 shown]
	s_swap_pc_i64 s[30:31], s[0:1]
	s_endpgm
	.section	.rodata,"a",@progbits
	.p2align	6, 0x0
	.amdhsa_kernel _ZN2at6native39vectorized_templated_elementwise_kernelILi4EZZZNS0_12prelu_kernelERNS_14TensorIteratorEENKUlvE_clEvENKUlvE0_clEvEUlffE_St5arrayIPcLm3EE23TrivialOffsetCalculatorILi2EjESA_ILi1EjENS0_6memory12LoadWithCastILi2EEENSD_13StoreWithCastILi1EEEfJfN3c108BFloat16EEEEviT0_T1_T2_T3_T4_T5_
		.amdhsa_group_segment_fixed_size 0
		.amdhsa_private_segment_fixed_size 272
		.amdhsa_kernarg_size 312
		.amdhsa_user_sgpr_count 2
		.amdhsa_user_sgpr_dispatch_ptr 0
		.amdhsa_user_sgpr_queue_ptr 0
		.amdhsa_user_sgpr_kernarg_segment_ptr 1
		.amdhsa_user_sgpr_dispatch_id 0
		.amdhsa_user_sgpr_kernarg_preload_length 0
		.amdhsa_user_sgpr_kernarg_preload_offset 0
		.amdhsa_user_sgpr_private_segment_size 0
		.amdhsa_wavefront_size32 1
		.amdhsa_uses_dynamic_stack 0
		.amdhsa_enable_private_segment 1
		.amdhsa_system_sgpr_workgroup_id_x 1
		.amdhsa_system_sgpr_workgroup_id_y 0
		.amdhsa_system_sgpr_workgroup_id_z 0
		.amdhsa_system_sgpr_workgroup_info 0
		.amdhsa_system_vgpr_workitem_id 0
		.amdhsa_next_free_vgpr 120
		.amdhsa_next_free_sgpr 96
		.amdhsa_named_barrier_count 0
		.amdhsa_reserve_vcc 1
		.amdhsa_float_round_mode_32 0
		.amdhsa_float_round_mode_16_64 0
		.amdhsa_float_denorm_mode_32 3
		.amdhsa_float_denorm_mode_16_64 3
		.amdhsa_fp16_overflow 0
		.amdhsa_memory_ordered 1
		.amdhsa_forward_progress 1
		.amdhsa_inst_pref_size 10
		.amdhsa_round_robin_scheduling 0
		.amdhsa_exception_fp_ieee_invalid_op 0
		.amdhsa_exception_fp_denorm_src 0
		.amdhsa_exception_fp_ieee_div_zero 0
		.amdhsa_exception_fp_ieee_overflow 0
		.amdhsa_exception_fp_ieee_underflow 0
		.amdhsa_exception_fp_ieee_inexact 0
		.amdhsa_exception_int_div_zero 0
	.end_amdhsa_kernel
	.section	.text._ZN2at6native39vectorized_templated_elementwise_kernelILi4EZZZNS0_12prelu_kernelERNS_14TensorIteratorEENKUlvE_clEvENKUlvE0_clEvEUlffE_St5arrayIPcLm3EE23TrivialOffsetCalculatorILi2EjESA_ILi1EjENS0_6memory12LoadWithCastILi2EEENSD_13StoreWithCastILi1EEEfJfN3c108BFloat16EEEEviT0_T1_T2_T3_T4_T5_,"axG",@progbits,_ZN2at6native39vectorized_templated_elementwise_kernelILi4EZZZNS0_12prelu_kernelERNS_14TensorIteratorEENKUlvE_clEvENKUlvE0_clEvEUlffE_St5arrayIPcLm3EE23TrivialOffsetCalculatorILi2EjESA_ILi1EjENS0_6memory12LoadWithCastILi2EEENSD_13StoreWithCastILi1EEEfJfN3c108BFloat16EEEEviT0_T1_T2_T3_T4_T5_,comdat
.Lfunc_end16:
	.size	_ZN2at6native39vectorized_templated_elementwise_kernelILi4EZZZNS0_12prelu_kernelERNS_14TensorIteratorEENKUlvE_clEvENKUlvE0_clEvEUlffE_St5arrayIPcLm3EE23TrivialOffsetCalculatorILi2EjESA_ILi1EjENS0_6memory12LoadWithCastILi2EEENSD_13StoreWithCastILi1EEEfJfN3c108BFloat16EEEEviT0_T1_T2_T3_T4_T5_, .Lfunc_end16-_ZN2at6native39vectorized_templated_elementwise_kernelILi4EZZZNS0_12prelu_kernelERNS_14TensorIteratorEENKUlvE_clEvENKUlvE0_clEvEUlffE_St5arrayIPcLm3EE23TrivialOffsetCalculatorILi2EjESA_ILi1EjENS0_6memory12LoadWithCastILi2EEENSD_13StoreWithCastILi1EEEfJfN3c108BFloat16EEEEviT0_T1_T2_T3_T4_T5_
                                        ; -- End function
	.set _ZN2at6native39vectorized_templated_elementwise_kernelILi4EZZZNS0_12prelu_kernelERNS_14TensorIteratorEENKUlvE_clEvENKUlvE0_clEvEUlffE_St5arrayIPcLm3EE23TrivialOffsetCalculatorILi2EjESA_ILi1EjENS0_6memory12LoadWithCastILi2EEENSD_13StoreWithCastILi1EEEfJfN3c108BFloat16EEEEviT0_T1_T2_T3_T4_T5_.num_vgpr, max(62, .L_ZN2at6native25elementwise_kernel_helperILb1EZZZNS0_12prelu_kernelERNS_14TensorIteratorEENKUlvE_clEvENKUlvE0_clEvEUlffE_NS0_6memory8policies11unroll_baseILi512ESt5arrayIPcLm3EE23TrivialOffsetCalculatorILi2EjESD_ILi1EjENS7_12LoadWithCastILi2EEENS7_13StoreWithCastILi1EEELi32ELi1EEEEEvT0_T1_.num_vgpr)
	.set _ZN2at6native39vectorized_templated_elementwise_kernelILi4EZZZNS0_12prelu_kernelERNS_14TensorIteratorEENKUlvE_clEvENKUlvE0_clEvEUlffE_St5arrayIPcLm3EE23TrivialOffsetCalculatorILi2EjESA_ILi1EjENS0_6memory12LoadWithCastILi2EEENSD_13StoreWithCastILi1EEEfJfN3c108BFloat16EEEEviT0_T1_T2_T3_T4_T5_.num_agpr, max(0, .L_ZN2at6native25elementwise_kernel_helperILb1EZZZNS0_12prelu_kernelERNS_14TensorIteratorEENKUlvE_clEvENKUlvE0_clEvEUlffE_NS0_6memory8policies11unroll_baseILi512ESt5arrayIPcLm3EE23TrivialOffsetCalculatorILi2EjESD_ILi1EjENS7_12LoadWithCastILi2EEENS7_13StoreWithCastILi1EEELi32ELi1EEEEEvT0_T1_.num_agpr)
	.set _ZN2at6native39vectorized_templated_elementwise_kernelILi4EZZZNS0_12prelu_kernelERNS_14TensorIteratorEENKUlvE_clEvENKUlvE0_clEvEUlffE_St5arrayIPcLm3EE23TrivialOffsetCalculatorILi2EjESA_ILi1EjENS0_6memory12LoadWithCastILi2EEENSD_13StoreWithCastILi1EEEfJfN3c108BFloat16EEEEviT0_T1_T2_T3_T4_T5_.numbered_sgpr, max(33, .L_ZN2at6native25elementwise_kernel_helperILb1EZZZNS0_12prelu_kernelERNS_14TensorIteratorEENKUlvE_clEvENKUlvE0_clEvEUlffE_NS0_6memory8policies11unroll_baseILi512ESt5arrayIPcLm3EE23TrivialOffsetCalculatorILi2EjESD_ILi1EjENS7_12LoadWithCastILi2EEENS7_13StoreWithCastILi1EEELi32ELi1EEEEEvT0_T1_.numbered_sgpr)
	.set _ZN2at6native39vectorized_templated_elementwise_kernelILi4EZZZNS0_12prelu_kernelERNS_14TensorIteratorEENKUlvE_clEvENKUlvE0_clEvEUlffE_St5arrayIPcLm3EE23TrivialOffsetCalculatorILi2EjESA_ILi1EjENS0_6memory12LoadWithCastILi2EEENSD_13StoreWithCastILi1EEEfJfN3c108BFloat16EEEEviT0_T1_T2_T3_T4_T5_.num_named_barrier, max(0, .L_ZN2at6native25elementwise_kernel_helperILb1EZZZNS0_12prelu_kernelERNS_14TensorIteratorEENKUlvE_clEvENKUlvE0_clEvEUlffE_NS0_6memory8policies11unroll_baseILi512ESt5arrayIPcLm3EE23TrivialOffsetCalculatorILi2EjESD_ILi1EjENS7_12LoadWithCastILi2EEENS7_13StoreWithCastILi1EEELi32ELi1EEEEEvT0_T1_.num_named_barrier)
	.set _ZN2at6native39vectorized_templated_elementwise_kernelILi4EZZZNS0_12prelu_kernelERNS_14TensorIteratorEENKUlvE_clEvENKUlvE0_clEvEUlffE_St5arrayIPcLm3EE23TrivialOffsetCalculatorILi2EjESA_ILi1EjENS0_6memory12LoadWithCastILi2EEENSD_13StoreWithCastILi1EEEfJfN3c108BFloat16EEEEviT0_T1_T2_T3_T4_T5_.private_seg_size, 0+max(.L_ZN2at6native25elementwise_kernel_helperILb1EZZZNS0_12prelu_kernelERNS_14TensorIteratorEENKUlvE_clEvENKUlvE0_clEvEUlffE_NS0_6memory8policies11unroll_baseILi512ESt5arrayIPcLm3EE23TrivialOffsetCalculatorILi2EjESD_ILi1EjENS7_12LoadWithCastILi2EEENS7_13StoreWithCastILi1EEELi32ELi1EEEEEvT0_T1_.private_seg_size)
	.set _ZN2at6native39vectorized_templated_elementwise_kernelILi4EZZZNS0_12prelu_kernelERNS_14TensorIteratorEENKUlvE_clEvENKUlvE0_clEvEUlffE_St5arrayIPcLm3EE23TrivialOffsetCalculatorILi2EjESA_ILi1EjENS0_6memory12LoadWithCastILi2EEENSD_13StoreWithCastILi1EEEfJfN3c108BFloat16EEEEviT0_T1_T2_T3_T4_T5_.uses_vcc, or(1, .L_ZN2at6native25elementwise_kernel_helperILb1EZZZNS0_12prelu_kernelERNS_14TensorIteratorEENKUlvE_clEvENKUlvE0_clEvEUlffE_NS0_6memory8policies11unroll_baseILi512ESt5arrayIPcLm3EE23TrivialOffsetCalculatorILi2EjESD_ILi1EjENS7_12LoadWithCastILi2EEENS7_13StoreWithCastILi1EEELi32ELi1EEEEEvT0_T1_.uses_vcc)
	.set _ZN2at6native39vectorized_templated_elementwise_kernelILi4EZZZNS0_12prelu_kernelERNS_14TensorIteratorEENKUlvE_clEvENKUlvE0_clEvEUlffE_St5arrayIPcLm3EE23TrivialOffsetCalculatorILi2EjESA_ILi1EjENS0_6memory12LoadWithCastILi2EEENSD_13StoreWithCastILi1EEEfJfN3c108BFloat16EEEEviT0_T1_T2_T3_T4_T5_.uses_flat_scratch, or(0, .L_ZN2at6native25elementwise_kernel_helperILb1EZZZNS0_12prelu_kernelERNS_14TensorIteratorEENKUlvE_clEvENKUlvE0_clEvEUlffE_NS0_6memory8policies11unroll_baseILi512ESt5arrayIPcLm3EE23TrivialOffsetCalculatorILi2EjESD_ILi1EjENS7_12LoadWithCastILi2EEENS7_13StoreWithCastILi1EEELi32ELi1EEEEEvT0_T1_.uses_flat_scratch)
	.set _ZN2at6native39vectorized_templated_elementwise_kernelILi4EZZZNS0_12prelu_kernelERNS_14TensorIteratorEENKUlvE_clEvENKUlvE0_clEvEUlffE_St5arrayIPcLm3EE23TrivialOffsetCalculatorILi2EjESA_ILi1EjENS0_6memory12LoadWithCastILi2EEENSD_13StoreWithCastILi1EEEfJfN3c108BFloat16EEEEviT0_T1_T2_T3_T4_T5_.has_dyn_sized_stack, or(0, .L_ZN2at6native25elementwise_kernel_helperILb1EZZZNS0_12prelu_kernelERNS_14TensorIteratorEENKUlvE_clEvENKUlvE0_clEvEUlffE_NS0_6memory8policies11unroll_baseILi512ESt5arrayIPcLm3EE23TrivialOffsetCalculatorILi2EjESD_ILi1EjENS7_12LoadWithCastILi2EEENS7_13StoreWithCastILi1EEELi32ELi1EEEEEvT0_T1_.has_dyn_sized_stack)
	.set _ZN2at6native39vectorized_templated_elementwise_kernelILi4EZZZNS0_12prelu_kernelERNS_14TensorIteratorEENKUlvE_clEvENKUlvE0_clEvEUlffE_St5arrayIPcLm3EE23TrivialOffsetCalculatorILi2EjESA_ILi1EjENS0_6memory12LoadWithCastILi2EEENSD_13StoreWithCastILi1EEEfJfN3c108BFloat16EEEEviT0_T1_T2_T3_T4_T5_.has_recursion, or(0, .L_ZN2at6native25elementwise_kernel_helperILb1EZZZNS0_12prelu_kernelERNS_14TensorIteratorEENKUlvE_clEvENKUlvE0_clEvEUlffE_NS0_6memory8policies11unroll_baseILi512ESt5arrayIPcLm3EE23TrivialOffsetCalculatorILi2EjESD_ILi1EjENS7_12LoadWithCastILi2EEENS7_13StoreWithCastILi1EEELi32ELi1EEEEEvT0_T1_.has_recursion)
	.set _ZN2at6native39vectorized_templated_elementwise_kernelILi4EZZZNS0_12prelu_kernelERNS_14TensorIteratorEENKUlvE_clEvENKUlvE0_clEvEUlffE_St5arrayIPcLm3EE23TrivialOffsetCalculatorILi2EjESA_ILi1EjENS0_6memory12LoadWithCastILi2EEENSD_13StoreWithCastILi1EEEfJfN3c108BFloat16EEEEviT0_T1_T2_T3_T4_T5_.has_indirect_call, or(0, .L_ZN2at6native25elementwise_kernel_helperILb1EZZZNS0_12prelu_kernelERNS_14TensorIteratorEENKUlvE_clEvENKUlvE0_clEvEUlffE_NS0_6memory8policies11unroll_baseILi512ESt5arrayIPcLm3EE23TrivialOffsetCalculatorILi2EjESD_ILi1EjENS7_12LoadWithCastILi2EEENS7_13StoreWithCastILi1EEELi32ELi1EEEEEvT0_T1_.has_indirect_call)
	.section	.AMDGPU.csdata,"",@progbits
; Kernel info:
; codeLenInByte = 1244
; TotalNumSgprs: 98
; NumVgprs: 120
; ScratchSize: 272
; MemoryBound: 0
; FloatMode: 240
; IeeeMode: 1
; LDSByteSize: 0 bytes/workgroup (compile time only)
; SGPRBlocks: 0
; VGPRBlocks: 7
; NumSGPRsForWavesPerEU: 98
; NumVGPRsForWavesPerEU: 120
; NamedBarCnt: 0
; Occupancy: 8
; WaveLimiterHint : 1
; COMPUTE_PGM_RSRC2:SCRATCH_EN: 1
; COMPUTE_PGM_RSRC2:USER_SGPR: 2
; COMPUTE_PGM_RSRC2:TRAP_HANDLER: 0
; COMPUTE_PGM_RSRC2:TGID_X_EN: 1
; COMPUTE_PGM_RSRC2:TGID_Y_EN: 0
; COMPUTE_PGM_RSRC2:TGID_Z_EN: 0
; COMPUTE_PGM_RSRC2:TIDIG_COMP_CNT: 0
	.section	.text._ZN2at6native39vectorized_templated_elementwise_kernelILi2EZZZNS0_12prelu_kernelERNS_14TensorIteratorEENKUlvE_clEvENKUlvE0_clEvEUlffE_St5arrayIPcLm3EE23TrivialOffsetCalculatorILi2EjESA_ILi1EjENS0_6memory12LoadWithCastILi2EEENSD_13StoreWithCastILi1EEEfJfN3c108BFloat16EEEEviT0_T1_T2_T3_T4_T5_,"axG",@progbits,_ZN2at6native39vectorized_templated_elementwise_kernelILi2EZZZNS0_12prelu_kernelERNS_14TensorIteratorEENKUlvE_clEvENKUlvE0_clEvEUlffE_St5arrayIPcLm3EE23TrivialOffsetCalculatorILi2EjESA_ILi1EjENS0_6memory12LoadWithCastILi2EEENSD_13StoreWithCastILi1EEEfJfN3c108BFloat16EEEEviT0_T1_T2_T3_T4_T5_,comdat
	.globl	_ZN2at6native39vectorized_templated_elementwise_kernelILi2EZZZNS0_12prelu_kernelERNS_14TensorIteratorEENKUlvE_clEvENKUlvE0_clEvEUlffE_St5arrayIPcLm3EE23TrivialOffsetCalculatorILi2EjESA_ILi1EjENS0_6memory12LoadWithCastILi2EEENSD_13StoreWithCastILi1EEEfJfN3c108BFloat16EEEEviT0_T1_T2_T3_T4_T5_ ; -- Begin function _ZN2at6native39vectorized_templated_elementwise_kernelILi2EZZZNS0_12prelu_kernelERNS_14TensorIteratorEENKUlvE_clEvENKUlvE0_clEvEUlffE_St5arrayIPcLm3EE23TrivialOffsetCalculatorILi2EjESA_ILi1EjENS0_6memory12LoadWithCastILi2EEENSD_13StoreWithCastILi1EEEfJfN3c108BFloat16EEEEviT0_T1_T2_T3_T4_T5_
	.p2align	8
	.type	_ZN2at6native39vectorized_templated_elementwise_kernelILi2EZZZNS0_12prelu_kernelERNS_14TensorIteratorEENKUlvE_clEvENKUlvE0_clEvEUlffE_St5arrayIPcLm3EE23TrivialOffsetCalculatorILi2EjESA_ILi1EjENS0_6memory12LoadWithCastILi2EEENSD_13StoreWithCastILi1EEEfJfN3c108BFloat16EEEEviT0_T1_T2_T3_T4_T5_,@function
_ZN2at6native39vectorized_templated_elementwise_kernelILi2EZZZNS0_12prelu_kernelERNS_14TensorIteratorEENKUlvE_clEvENKUlvE0_clEvEUlffE_St5arrayIPcLm3EE23TrivialOffsetCalculatorILi2EjESA_ILi1EjENS0_6memory12LoadWithCastILi2EEENSD_13StoreWithCastILi1EEEfJfN3c108BFloat16EEEEviT0_T1_T2_T3_T4_T5_: ; @_ZN2at6native39vectorized_templated_elementwise_kernelILi2EZZZNS0_12prelu_kernelERNS_14TensorIteratorEENKUlvE_clEvENKUlvE0_clEvEUlffE_St5arrayIPcLm3EE23TrivialOffsetCalculatorILi2EjESA_ILi1EjENS0_6memory12LoadWithCastILi2EEENSD_13StoreWithCastILi1EEEfJfN3c108BFloat16EEEEviT0_T1_T2_T3_T4_T5_
; %bb.0:
	s_clause 0x2
	s_load_b32 s8, s[0:1], 0x38
	s_load_b32 s9, s[0:1], 0x0
	s_load_b64 s[2:3], s[0:1], 0x18
	s_bfe_u32 s10, ttmp6, 0x4000c
	s_load_b128 s[4:7], s[0:1], 0x8
	s_add_co_i32 s10, s10, 1
	s_and_b32 s11, ttmp6, 15
	s_mul_i32 s10, ttmp9, s10
	s_getreg_b32 s12, hwreg(HW_REG_IB_STS2, 6, 4)
	s_add_co_i32 s11, s11, s10
	s_cmp_eq_u32 s12, 0
	s_mov_b32 s32, 0
	s_cselect_b32 s10, ttmp9, s11
	s_delay_alu instid0(SALU_CYCLE_1) | instskip(SKIP_4) | instid1(SALU_CYCLE_1)
	s_not_b32 s10, s10
	s_wait_kmcnt 0x0
	s_add_co_i32 s8, s8, s10
	s_mov_b32 s10, -1
	s_lshl_b32 s8, s8, 14
	s_sub_co_i32 s12, s9, s8
	s_delay_alu instid0(SALU_CYCLE_1)
	s_cmp_gt_i32 s12, 0x3fff
	s_cbranch_scc1 .LBB17_3
; %bb.1:
	s_and_not1_b32 vcc_lo, exec_lo, s10
	s_cbranch_vccz .LBB17_4
.LBB17_2:
	s_sendmsg sendmsg(MSG_DEALLOC_VGPRS)
	s_endpgm
.LBB17_3:
	s_ashr_i32 s9, s8, 31
	s_delay_alu instid0(SALU_CYCLE_1)
	s_lshl_b64 s[10:11], s[8:9], 1
	s_lshl_b64 s[8:9], s[8:9], 2
	s_add_nc_u64 s[14:15], s[2:3], s[10:11]
	s_add_nc_u64 s[10:11], s[6:7], s[8:9]
	s_clause 0x1f
	global_load_b32 v1, v0, s[14:15] scale_offset
	global_load_b32 v36, v0, s[14:15] offset:2048 scale_offset
	global_load_b32 v38, v0, s[14:15] offset:4096 scale_offset
	;; [unrolled: 1-line block ×7, first 2 shown]
	global_load_b64 v[2:3], v0, s[10:11] scale_offset
	global_load_b32 v50, v0, s[14:15] offset:16384 scale_offset
	global_load_b32 v52, v0, s[14:15] offset:18432 scale_offset
	global_load_b64 v[4:5], v0, s[10:11] offset:4096 scale_offset
	global_load_b32 v54, v0, s[14:15] offset:20480 scale_offset
	global_load_b32 v55, v0, s[14:15] offset:22528 scale_offset
	global_load_b64 v[6:7], v0, s[10:11] offset:8192 scale_offset
	;; [unrolled: 3-line block ×4, first 2 shown]
	global_load_b64 v[12:13], v0, s[10:11] offset:20480 scale_offset
	; meta instruction
	global_load_b64 v[14:15], v0, s[10:11] offset:24576 scale_offset
	global_load_b64 v[16:17], v0, s[10:11] offset:28672 scale_offset
	;; [unrolled: 1-line block ×10, first 2 shown]
	s_add_nc_u64 s[8:9], s[4:5], s[8:9]
	s_wait_xcnt 0x0
	s_wait_loadcnt 0x18
	v_and_b32_e32 v49, 0xffff0000, v48
	s_wait_loadcnt 0x17
	v_cmp_lt_f32_e32 vcc_lo, 0, v3
	s_wait_loadcnt 0x16
	v_and_b32_e32 v51, 0xffff0000, v50
	v_lshlrev_b32_e32 v48, 16, v48
	s_wait_loadcnt 0x13
	v_and_b32_e32 v53, 0xffff0000, v54
	s_wait_loadcnt 0x8
	s_delay_alu instid0(VALU_DEP_2)
	v_pk_mul_f32 v[48:49], v[16:17], v[48:49]
	v_and_b32_e32 v35, 0xffff0000, v1
	v_lshlrev_b32_e32 v34, 16, v1
	v_and_b32_e32 v37, 0xffff0000, v36
	v_lshlrev_b32_e32 v36, 16, v36
	;; [unrolled: 2-line block ×3, first 2 shown]
	v_pk_mul_f32 v[34:35], v[2:3], v[34:35]
	v_lshlrev_b32_e32 v50, 16, v50
	v_pk_mul_f32 v[36:37], v[4:5], v[36:37]
	v_and_b32_e32 v41, 0xffff0000, v40
	s_delay_alu instid0(VALU_DEP_4) | instskip(SKIP_3) | instid1(VALU_DEP_4)
	v_dual_cndmask_b32 v3, v35, v3 :: v_dual_lshlrev_b32 v40, 16, v40
	v_cmp_lt_f32_e32 vcc_lo, 0, v2
	v_and_b32_e32 v35, 0xffff0000, v52
	v_pk_mul_f32 v[38:39], v[6:7], v[38:39]
	v_pk_mul_f32 v[40:41], v[8:9], v[40:41]
	v_and_b32_e32 v43, 0xffff0000, v42
	v_dual_cndmask_b32 v2, v34, v2, vcc_lo :: v_dual_lshlrev_b32 v34, 16, v52
	v_cmp_lt_f32_e32 vcc_lo, 0, v5
	v_lshlrev_b32_e32 v52, 16, v54
	v_lshlrev_b32_e32 v42, 16, v42
	v_and_b32_e32 v45, 0xffff0000, v44
	v_dual_cndmask_b32 v5, v37, v5 :: v_dual_lshlrev_b32 v44, 16, v44
	v_cmp_lt_f32_e32 vcc_lo, 0, v4
	v_and_b32_e32 v37, 0xffff0000, v55
	v_pk_mul_f32 v[42:43], v[10:11], v[42:43]
	s_delay_alu instid0(VALU_DEP_4)
	v_pk_mul_f32 v[44:45], v[12:13], v[44:45]
	v_and_b32_e32 v47, 0xffff0000, v46
	v_dual_cndmask_b32 v4, v36, v4, vcc_lo :: v_dual_lshlrev_b32 v36, 16, v55
	v_cmp_lt_f32_e32 vcc_lo, 0, v7
	v_lshlrev_b32_e32 v54, 16, v56
	v_and_b32_e32 v55, 0xffff0000, v56
	v_lshlrev_b32_e32 v46, 16, v46
	s_wait_loadcnt 0x7
	v_pk_mul_f32 v[50:51], v[18:19], v[50:51]
	v_cndmask_b32_e32 v7, v39, v7, vcc_lo
	v_cmp_lt_f32_e32 vcc_lo, 0, v6
	s_wait_loadcnt 0x6
	v_pk_mul_f32 v[34:35], v[20:21], v[34:35]
	v_pk_mul_f32 v[46:47], v[14:15], v[46:47]
	s_wait_loadcnt 0x5
	v_pk_mul_f32 v[52:53], v[22:23], v[52:53]
	s_wait_loadcnt 0x4
	v_pk_mul_f32 v[36:37], v[24:25], v[36:37]
	v_dual_cndmask_b32 v6, v38, v6, vcc_lo :: v_dual_lshlrev_b32 v38, 16, v57
	v_cmp_lt_f32_e32 vcc_lo, 0, v9
	v_lshlrev_b32_e32 v56, 16, v58
	s_wait_loadcnt 0x3
	v_pk_mul_f32 v[54:55], v[26:27], v[54:55]
	v_and_b32_e32 v39, 0xffff0000, v57
	v_and_b32_e32 v57, 0xffff0000, v58
	v_cndmask_b32_e32 v9, v41, v9, vcc_lo
	v_cmp_lt_f32_e32 vcc_lo, 0, v8
	v_and_b32_e32 v41, 0xffff0000, v59
	s_wait_loadcnt 0x2
	v_pk_mul_f32 v[38:39], v[28:29], v[38:39]
	s_wait_loadcnt 0x1
	v_pk_mul_f32 v[56:57], v[30:31], v[56:57]
	v_dual_cndmask_b32 v8, v40, v8, vcc_lo :: v_dual_lshlrev_b32 v40, 16, v59
	v_cmp_lt_f32_e32 vcc_lo, 0, v11
	s_wait_loadcnt 0x0
	s_delay_alu instid0(VALU_DEP_2)
	v_pk_mul_f32 v[40:41], v[32:33], v[40:41]
	v_cndmask_b32_e32 v11, v43, v11, vcc_lo
	v_cmp_lt_f32_e32 vcc_lo, 0, v10
	v_cndmask_b32_e32 v10, v42, v10, vcc_lo
	v_cmp_lt_f32_e32 vcc_lo, 0, v13
	;; [unrolled: 2-line block ×23, first 2 shown]
	v_cndmask_b32_e32 v32, v40, v32, vcc_lo
	s_clause 0xf
	global_store_b64 v0, v[2:3], s[8:9] scale_offset
	global_store_b64 v0, v[4:5], s[8:9] offset:4096 scale_offset
	global_store_b64 v0, v[6:7], s[8:9] offset:8192 scale_offset
	;; [unrolled: 1-line block ×15, first 2 shown]
	s_cbranch_execnz .LBB17_2
.LBB17_4:
	s_clause 0x1
	s_load_b32 s10, s[0:1], 0x24
	s_load_b128 s[16:19], s[0:1], 0x28
	v_dual_mov_b32 v31, v0 :: v_dual_mov_b32 v0, s4
	v_dual_mov_b32 v1, s5 :: v_dual_mov_b32 v2, s6
	v_dual_mov_b32 v3, s7 :: v_dual_mov_b32 v4, s2
	v_dual_mov_b32 v5, s3 :: v_dual_mov_b32 v6, s12
	s_add_nc_u64 s[8:9], s[0:1], 56
	s_wait_xcnt 0x0
	s_get_pc_i64 s[0:1]
	s_add_nc_u64 s[0:1], s[0:1], _ZN2at6native25elementwise_kernel_helperILb1EZZZNS0_12prelu_kernelERNS_14TensorIteratorEENKUlvE_clEvENKUlvE0_clEvEUlffE_NS0_6memory8policies11unroll_baseILi512ESt5arrayIPcLm3EE23TrivialOffsetCalculatorILi2EjESD_ILi1EjENS7_12LoadWithCastILi2EEENS7_13StoreWithCastILi1EEELi32ELi1EEEEEvT0_T1_@rel64+4
	s_wait_kmcnt 0x0
	s_bfe_u32 s11, s10, 0x80008
	v_dual_mov_b32 v7, s10 :: v_dual_mov_b32 v9, s16
	v_dual_mov_b32 v10, s17 :: v_dual_mov_b32 v11, s18
	;; [unrolled: 1-line block ×3, first 2 shown]
	s_swap_pc_i64 s[30:31], s[0:1]
	s_endpgm
	.section	.rodata,"a",@progbits
	.p2align	6, 0x0
	.amdhsa_kernel _ZN2at6native39vectorized_templated_elementwise_kernelILi2EZZZNS0_12prelu_kernelERNS_14TensorIteratorEENKUlvE_clEvENKUlvE0_clEvEUlffE_St5arrayIPcLm3EE23TrivialOffsetCalculatorILi2EjESA_ILi1EjENS0_6memory12LoadWithCastILi2EEENSD_13StoreWithCastILi1EEEfJfN3c108BFloat16EEEEviT0_T1_T2_T3_T4_T5_
		.amdhsa_group_segment_fixed_size 0
		.amdhsa_private_segment_fixed_size 272
		.amdhsa_kernarg_size 312
		.amdhsa_user_sgpr_count 2
		.amdhsa_user_sgpr_dispatch_ptr 0
		.amdhsa_user_sgpr_queue_ptr 0
		.amdhsa_user_sgpr_kernarg_segment_ptr 1
		.amdhsa_user_sgpr_dispatch_id 0
		.amdhsa_user_sgpr_kernarg_preload_length 0
		.amdhsa_user_sgpr_kernarg_preload_offset 0
		.amdhsa_user_sgpr_private_segment_size 0
		.amdhsa_wavefront_size32 1
		.amdhsa_uses_dynamic_stack 0
		.amdhsa_enable_private_segment 1
		.amdhsa_system_sgpr_workgroup_id_x 1
		.amdhsa_system_sgpr_workgroup_id_y 0
		.amdhsa_system_sgpr_workgroup_id_z 0
		.amdhsa_system_sgpr_workgroup_info 0
		.amdhsa_system_vgpr_workitem_id 0
		.amdhsa_next_free_vgpr 120
		.amdhsa_next_free_sgpr 96
		.amdhsa_named_barrier_count 0
		.amdhsa_reserve_vcc 1
		.amdhsa_float_round_mode_32 0
		.amdhsa_float_round_mode_16_64 0
		.amdhsa_float_denorm_mode_32 3
		.amdhsa_float_denorm_mode_16_64 3
		.amdhsa_fp16_overflow 0
		.amdhsa_memory_ordered 1
		.amdhsa_forward_progress 1
		.amdhsa_inst_pref_size 13
		.amdhsa_round_robin_scheduling 0
		.amdhsa_exception_fp_ieee_invalid_op 0
		.amdhsa_exception_fp_denorm_src 0
		.amdhsa_exception_fp_ieee_div_zero 0
		.amdhsa_exception_fp_ieee_overflow 0
		.amdhsa_exception_fp_ieee_underflow 0
		.amdhsa_exception_fp_ieee_inexact 0
		.amdhsa_exception_int_div_zero 0
	.end_amdhsa_kernel
	.section	.text._ZN2at6native39vectorized_templated_elementwise_kernelILi2EZZZNS0_12prelu_kernelERNS_14TensorIteratorEENKUlvE_clEvENKUlvE0_clEvEUlffE_St5arrayIPcLm3EE23TrivialOffsetCalculatorILi2EjESA_ILi1EjENS0_6memory12LoadWithCastILi2EEENSD_13StoreWithCastILi1EEEfJfN3c108BFloat16EEEEviT0_T1_T2_T3_T4_T5_,"axG",@progbits,_ZN2at6native39vectorized_templated_elementwise_kernelILi2EZZZNS0_12prelu_kernelERNS_14TensorIteratorEENKUlvE_clEvENKUlvE0_clEvEUlffE_St5arrayIPcLm3EE23TrivialOffsetCalculatorILi2EjESA_ILi1EjENS0_6memory12LoadWithCastILi2EEENSD_13StoreWithCastILi1EEEfJfN3c108BFloat16EEEEviT0_T1_T2_T3_T4_T5_,comdat
.Lfunc_end17:
	.size	_ZN2at6native39vectorized_templated_elementwise_kernelILi2EZZZNS0_12prelu_kernelERNS_14TensorIteratorEENKUlvE_clEvENKUlvE0_clEvEUlffE_St5arrayIPcLm3EE23TrivialOffsetCalculatorILi2EjESA_ILi1EjENS0_6memory12LoadWithCastILi2EEENSD_13StoreWithCastILi1EEEfJfN3c108BFloat16EEEEviT0_T1_T2_T3_T4_T5_, .Lfunc_end17-_ZN2at6native39vectorized_templated_elementwise_kernelILi2EZZZNS0_12prelu_kernelERNS_14TensorIteratorEENKUlvE_clEvENKUlvE0_clEvEUlffE_St5arrayIPcLm3EE23TrivialOffsetCalculatorILi2EjESA_ILi1EjENS0_6memory12LoadWithCastILi2EEENSD_13StoreWithCastILi1EEEfJfN3c108BFloat16EEEEviT0_T1_T2_T3_T4_T5_
                                        ; -- End function
	.set _ZN2at6native39vectorized_templated_elementwise_kernelILi2EZZZNS0_12prelu_kernelERNS_14TensorIteratorEENKUlvE_clEvENKUlvE0_clEvEUlffE_St5arrayIPcLm3EE23TrivialOffsetCalculatorILi2EjESA_ILi1EjENS0_6memory12LoadWithCastILi2EEENSD_13StoreWithCastILi1EEEfJfN3c108BFloat16EEEEviT0_T1_T2_T3_T4_T5_.num_vgpr, max(60, .L_ZN2at6native25elementwise_kernel_helperILb1EZZZNS0_12prelu_kernelERNS_14TensorIteratorEENKUlvE_clEvENKUlvE0_clEvEUlffE_NS0_6memory8policies11unroll_baseILi512ESt5arrayIPcLm3EE23TrivialOffsetCalculatorILi2EjESD_ILi1EjENS7_12LoadWithCastILi2EEENS7_13StoreWithCastILi1EEELi32ELi1EEEEEvT0_T1_.num_vgpr)
	.set _ZN2at6native39vectorized_templated_elementwise_kernelILi2EZZZNS0_12prelu_kernelERNS_14TensorIteratorEENKUlvE_clEvENKUlvE0_clEvEUlffE_St5arrayIPcLm3EE23TrivialOffsetCalculatorILi2EjESA_ILi1EjENS0_6memory12LoadWithCastILi2EEENSD_13StoreWithCastILi1EEEfJfN3c108BFloat16EEEEviT0_T1_T2_T3_T4_T5_.num_agpr, max(0, .L_ZN2at6native25elementwise_kernel_helperILb1EZZZNS0_12prelu_kernelERNS_14TensorIteratorEENKUlvE_clEvENKUlvE0_clEvEUlffE_NS0_6memory8policies11unroll_baseILi512ESt5arrayIPcLm3EE23TrivialOffsetCalculatorILi2EjESD_ILi1EjENS7_12LoadWithCastILi2EEENS7_13StoreWithCastILi1EEELi32ELi1EEEEEvT0_T1_.num_agpr)
	.set _ZN2at6native39vectorized_templated_elementwise_kernelILi2EZZZNS0_12prelu_kernelERNS_14TensorIteratorEENKUlvE_clEvENKUlvE0_clEvEUlffE_St5arrayIPcLm3EE23TrivialOffsetCalculatorILi2EjESA_ILi1EjENS0_6memory12LoadWithCastILi2EEENSD_13StoreWithCastILi1EEEfJfN3c108BFloat16EEEEviT0_T1_T2_T3_T4_T5_.numbered_sgpr, max(33, .L_ZN2at6native25elementwise_kernel_helperILb1EZZZNS0_12prelu_kernelERNS_14TensorIteratorEENKUlvE_clEvENKUlvE0_clEvEUlffE_NS0_6memory8policies11unroll_baseILi512ESt5arrayIPcLm3EE23TrivialOffsetCalculatorILi2EjESD_ILi1EjENS7_12LoadWithCastILi2EEENS7_13StoreWithCastILi1EEELi32ELi1EEEEEvT0_T1_.numbered_sgpr)
	.set _ZN2at6native39vectorized_templated_elementwise_kernelILi2EZZZNS0_12prelu_kernelERNS_14TensorIteratorEENKUlvE_clEvENKUlvE0_clEvEUlffE_St5arrayIPcLm3EE23TrivialOffsetCalculatorILi2EjESA_ILi1EjENS0_6memory12LoadWithCastILi2EEENSD_13StoreWithCastILi1EEEfJfN3c108BFloat16EEEEviT0_T1_T2_T3_T4_T5_.num_named_barrier, max(0, .L_ZN2at6native25elementwise_kernel_helperILb1EZZZNS0_12prelu_kernelERNS_14TensorIteratorEENKUlvE_clEvENKUlvE0_clEvEUlffE_NS0_6memory8policies11unroll_baseILi512ESt5arrayIPcLm3EE23TrivialOffsetCalculatorILi2EjESD_ILi1EjENS7_12LoadWithCastILi2EEENS7_13StoreWithCastILi1EEELi32ELi1EEEEEvT0_T1_.num_named_barrier)
	.set _ZN2at6native39vectorized_templated_elementwise_kernelILi2EZZZNS0_12prelu_kernelERNS_14TensorIteratorEENKUlvE_clEvENKUlvE0_clEvEUlffE_St5arrayIPcLm3EE23TrivialOffsetCalculatorILi2EjESA_ILi1EjENS0_6memory12LoadWithCastILi2EEENSD_13StoreWithCastILi1EEEfJfN3c108BFloat16EEEEviT0_T1_T2_T3_T4_T5_.private_seg_size, 0+max(.L_ZN2at6native25elementwise_kernel_helperILb1EZZZNS0_12prelu_kernelERNS_14TensorIteratorEENKUlvE_clEvENKUlvE0_clEvEUlffE_NS0_6memory8policies11unroll_baseILi512ESt5arrayIPcLm3EE23TrivialOffsetCalculatorILi2EjESD_ILi1EjENS7_12LoadWithCastILi2EEENS7_13StoreWithCastILi1EEELi32ELi1EEEEEvT0_T1_.private_seg_size)
	.set _ZN2at6native39vectorized_templated_elementwise_kernelILi2EZZZNS0_12prelu_kernelERNS_14TensorIteratorEENKUlvE_clEvENKUlvE0_clEvEUlffE_St5arrayIPcLm3EE23TrivialOffsetCalculatorILi2EjESA_ILi1EjENS0_6memory12LoadWithCastILi2EEENSD_13StoreWithCastILi1EEEfJfN3c108BFloat16EEEEviT0_T1_T2_T3_T4_T5_.uses_vcc, or(1, .L_ZN2at6native25elementwise_kernel_helperILb1EZZZNS0_12prelu_kernelERNS_14TensorIteratorEENKUlvE_clEvENKUlvE0_clEvEUlffE_NS0_6memory8policies11unroll_baseILi512ESt5arrayIPcLm3EE23TrivialOffsetCalculatorILi2EjESD_ILi1EjENS7_12LoadWithCastILi2EEENS7_13StoreWithCastILi1EEELi32ELi1EEEEEvT0_T1_.uses_vcc)
	.set _ZN2at6native39vectorized_templated_elementwise_kernelILi2EZZZNS0_12prelu_kernelERNS_14TensorIteratorEENKUlvE_clEvENKUlvE0_clEvEUlffE_St5arrayIPcLm3EE23TrivialOffsetCalculatorILi2EjESA_ILi1EjENS0_6memory12LoadWithCastILi2EEENSD_13StoreWithCastILi1EEEfJfN3c108BFloat16EEEEviT0_T1_T2_T3_T4_T5_.uses_flat_scratch, or(0, .L_ZN2at6native25elementwise_kernel_helperILb1EZZZNS0_12prelu_kernelERNS_14TensorIteratorEENKUlvE_clEvENKUlvE0_clEvEUlffE_NS0_6memory8policies11unroll_baseILi512ESt5arrayIPcLm3EE23TrivialOffsetCalculatorILi2EjESD_ILi1EjENS7_12LoadWithCastILi2EEENS7_13StoreWithCastILi1EEELi32ELi1EEEEEvT0_T1_.uses_flat_scratch)
	.set _ZN2at6native39vectorized_templated_elementwise_kernelILi2EZZZNS0_12prelu_kernelERNS_14TensorIteratorEENKUlvE_clEvENKUlvE0_clEvEUlffE_St5arrayIPcLm3EE23TrivialOffsetCalculatorILi2EjESA_ILi1EjENS0_6memory12LoadWithCastILi2EEENSD_13StoreWithCastILi1EEEfJfN3c108BFloat16EEEEviT0_T1_T2_T3_T4_T5_.has_dyn_sized_stack, or(0, .L_ZN2at6native25elementwise_kernel_helperILb1EZZZNS0_12prelu_kernelERNS_14TensorIteratorEENKUlvE_clEvENKUlvE0_clEvEUlffE_NS0_6memory8policies11unroll_baseILi512ESt5arrayIPcLm3EE23TrivialOffsetCalculatorILi2EjESD_ILi1EjENS7_12LoadWithCastILi2EEENS7_13StoreWithCastILi1EEELi32ELi1EEEEEvT0_T1_.has_dyn_sized_stack)
	.set _ZN2at6native39vectorized_templated_elementwise_kernelILi2EZZZNS0_12prelu_kernelERNS_14TensorIteratorEENKUlvE_clEvENKUlvE0_clEvEUlffE_St5arrayIPcLm3EE23TrivialOffsetCalculatorILi2EjESA_ILi1EjENS0_6memory12LoadWithCastILi2EEENSD_13StoreWithCastILi1EEEfJfN3c108BFloat16EEEEviT0_T1_T2_T3_T4_T5_.has_recursion, or(0, .L_ZN2at6native25elementwise_kernel_helperILb1EZZZNS0_12prelu_kernelERNS_14TensorIteratorEENKUlvE_clEvENKUlvE0_clEvEUlffE_NS0_6memory8policies11unroll_baseILi512ESt5arrayIPcLm3EE23TrivialOffsetCalculatorILi2EjESD_ILi1EjENS7_12LoadWithCastILi2EEENS7_13StoreWithCastILi1EEELi32ELi1EEEEEvT0_T1_.has_recursion)
	.set _ZN2at6native39vectorized_templated_elementwise_kernelILi2EZZZNS0_12prelu_kernelERNS_14TensorIteratorEENKUlvE_clEvENKUlvE0_clEvEUlffE_St5arrayIPcLm3EE23TrivialOffsetCalculatorILi2EjESA_ILi1EjENS0_6memory12LoadWithCastILi2EEENSD_13StoreWithCastILi1EEEfJfN3c108BFloat16EEEEviT0_T1_T2_T3_T4_T5_.has_indirect_call, or(0, .L_ZN2at6native25elementwise_kernel_helperILb1EZZZNS0_12prelu_kernelERNS_14TensorIteratorEENKUlvE_clEvENKUlvE0_clEvEUlffE_NS0_6memory8policies11unroll_baseILi512ESt5arrayIPcLm3EE23TrivialOffsetCalculatorILi2EjESD_ILi1EjENS7_12LoadWithCastILi2EEENS7_13StoreWithCastILi1EEELi32ELi1EEEEEvT0_T1_.has_indirect_call)
	.section	.AMDGPU.csdata,"",@progbits
; Kernel info:
; codeLenInByte = 1544
; TotalNumSgprs: 98
; NumVgprs: 120
; ScratchSize: 272
; MemoryBound: 0
; FloatMode: 240
; IeeeMode: 1
; LDSByteSize: 0 bytes/workgroup (compile time only)
; SGPRBlocks: 0
; VGPRBlocks: 7
; NumSGPRsForWavesPerEU: 98
; NumVGPRsForWavesPerEU: 120
; NamedBarCnt: 0
; Occupancy: 8
; WaveLimiterHint : 1
; COMPUTE_PGM_RSRC2:SCRATCH_EN: 1
; COMPUTE_PGM_RSRC2:USER_SGPR: 2
; COMPUTE_PGM_RSRC2:TRAP_HANDLER: 0
; COMPUTE_PGM_RSRC2:TGID_X_EN: 1
; COMPUTE_PGM_RSRC2:TGID_Y_EN: 0
; COMPUTE_PGM_RSRC2:TGID_Z_EN: 0
; COMPUTE_PGM_RSRC2:TIDIG_COMP_CNT: 0
	.section	.text._ZN2at6native39vectorized_templated_elementwise_kernelILi8EZZZNS0_12prelu_kernelERNS_14TensorIteratorEENKUlvE_clEvENKUlvE0_clEvEUlffE_St5arrayIPcLm3EE23TrivialOffsetCalculatorILi2EjESA_ILi1EjENS0_6memory12LoadWithCastILi2EEENSD_13StoreWithCastILi1EEEfJN3c108BFloat16EfEEEviT0_T1_T2_T3_T4_T5_,"axG",@progbits,_ZN2at6native39vectorized_templated_elementwise_kernelILi8EZZZNS0_12prelu_kernelERNS_14TensorIteratorEENKUlvE_clEvENKUlvE0_clEvEUlffE_St5arrayIPcLm3EE23TrivialOffsetCalculatorILi2EjESA_ILi1EjENS0_6memory12LoadWithCastILi2EEENSD_13StoreWithCastILi1EEEfJN3c108BFloat16EfEEEviT0_T1_T2_T3_T4_T5_,comdat
	.globl	_ZN2at6native39vectorized_templated_elementwise_kernelILi8EZZZNS0_12prelu_kernelERNS_14TensorIteratorEENKUlvE_clEvENKUlvE0_clEvEUlffE_St5arrayIPcLm3EE23TrivialOffsetCalculatorILi2EjESA_ILi1EjENS0_6memory12LoadWithCastILi2EEENSD_13StoreWithCastILi1EEEfJN3c108BFloat16EfEEEviT0_T1_T2_T3_T4_T5_ ; -- Begin function _ZN2at6native39vectorized_templated_elementwise_kernelILi8EZZZNS0_12prelu_kernelERNS_14TensorIteratorEENKUlvE_clEvENKUlvE0_clEvEUlffE_St5arrayIPcLm3EE23TrivialOffsetCalculatorILi2EjESA_ILi1EjENS0_6memory12LoadWithCastILi2EEENSD_13StoreWithCastILi1EEEfJN3c108BFloat16EfEEEviT0_T1_T2_T3_T4_T5_
	.p2align	8
	.type	_ZN2at6native39vectorized_templated_elementwise_kernelILi8EZZZNS0_12prelu_kernelERNS_14TensorIteratorEENKUlvE_clEvENKUlvE0_clEvEUlffE_St5arrayIPcLm3EE23TrivialOffsetCalculatorILi2EjESA_ILi1EjENS0_6memory12LoadWithCastILi2EEENSD_13StoreWithCastILi1EEEfJN3c108BFloat16EfEEEviT0_T1_T2_T3_T4_T5_,@function
_ZN2at6native39vectorized_templated_elementwise_kernelILi8EZZZNS0_12prelu_kernelERNS_14TensorIteratorEENKUlvE_clEvENKUlvE0_clEvEUlffE_St5arrayIPcLm3EE23TrivialOffsetCalculatorILi2EjESA_ILi1EjENS0_6memory12LoadWithCastILi2EEENSD_13StoreWithCastILi1EEEfJN3c108BFloat16EfEEEviT0_T1_T2_T3_T4_T5_: ; @_ZN2at6native39vectorized_templated_elementwise_kernelILi8EZZZNS0_12prelu_kernelERNS_14TensorIteratorEENKUlvE_clEvENKUlvE0_clEvEUlffE_St5arrayIPcLm3EE23TrivialOffsetCalculatorILi2EjESA_ILi1EjENS0_6memory12LoadWithCastILi2EEENSD_13StoreWithCastILi1EEEfJN3c108BFloat16EfEEEviT0_T1_T2_T3_T4_T5_
; %bb.0:
	s_clause 0x2
	s_load_b32 s8, s[0:1], 0x38
	s_load_b32 s9, s[0:1], 0x0
	s_load_b64 s[2:3], s[0:1], 0x18
	s_bfe_u32 s10, ttmp6, 0x4000c
	s_load_b128 s[4:7], s[0:1], 0x8
	s_add_co_i32 s10, s10, 1
	s_and_b32 s11, ttmp6, 15
	s_mul_i32 s10, ttmp9, s10
	s_getreg_b32 s12, hwreg(HW_REG_IB_STS2, 6, 4)
	s_add_co_i32 s11, s11, s10
	s_cmp_eq_u32 s12, 0
	s_mov_b32 s32, 0
	s_cselect_b32 s10, ttmp9, s11
	s_delay_alu instid0(SALU_CYCLE_1) | instskip(SKIP_4) | instid1(SALU_CYCLE_1)
	s_not_b32 s10, s10
	s_wait_kmcnt 0x0
	s_add_co_i32 s8, s8, s10
	s_mov_b32 s10, -1
	s_lshl_b32 s8, s8, 14
	s_sub_co_i32 s12, s9, s8
	s_delay_alu instid0(SALU_CYCLE_1)
	s_cmp_gt_i32 s12, 0x3fff
	s_cbranch_scc1 .LBB18_3
; %bb.1:
	s_and_not1_b32 vcc_lo, exec_lo, s10
	s_cbranch_vccz .LBB18_4
.LBB18_2:
	s_sendmsg sendmsg(MSG_DEALLOC_VGPRS)
	s_endpgm
.LBB18_3:
	s_ashr_i32 s9, s8, 31
	s_delay_alu instid0(SALU_CYCLE_1)
	s_lshl_b64 s[10:11], s[8:9], 1
	s_lshl_b64 s[8:9], s[8:9], 2
	s_add_nc_u64 s[10:11], s[6:7], s[10:11]
	s_clause 0x3
	global_load_b128 v[2:5], v0, s[10:11] scale_offset
	global_load_b128 v[6:9], v0, s[10:11] offset:8192 scale_offset
	global_load_b128 v[10:13], v0, s[10:11] offset:16384 scale_offset
	;; [unrolled: 1-line block ×3, first 2 shown]
	v_lshlrev_b32_e32 v1, 5, v0
	s_wait_xcnt 0x0
	s_add_nc_u64 s[10:11], s[2:3], s[8:9]
	s_add_nc_u64 s[8:9], s[4:5], s[8:9]
	s_wait_loadcnt 0x3
	v_lshlrev_b32_e32 v34, 16, v2
	s_clause 0x3
	global_load_b128 v[18:21], v1, s[10:11]
	global_load_b128 v[22:25], v1, s[10:11] offset:16
	global_load_b128 v[26:29], v1, s[10:11] offset:16384
	;; [unrolled: 1-line block ×3, first 2 shown]
	v_and_b32_e32 v35, 0xffff0000, v2
	v_and_b32_e32 v37, 0xffff0000, v3
	v_dual_lshlrev_b32 v36, 16, v3 :: v_dual_lshlrev_b32 v38, 16, v4
	v_and_b32_e32 v39, 0xffff0000, v4
	v_and_b32_e32 v41, 0xffff0000, v5
	s_wait_loadcnt 0x6
	v_dual_lshlrev_b32 v40, 16, v5 :: v_dual_lshlrev_b32 v42, 16, v6
	v_and_b32_e32 v43, 0xffff0000, v6
	v_and_b32_e32 v45, 0xffff0000, v7
	v_dual_lshlrev_b32 v44, 16, v7 :: v_dual_lshlrev_b32 v46, 16, v8
	v_and_b32_e32 v47, 0xffff0000, v8
	v_and_b32_e32 v49, 0xffff0000, v9
	s_wait_loadcnt 0x5
	v_dual_lshlrev_b32 v48, 16, v9 :: v_dual_lshlrev_b32 v50, 16, v10
	;; [unrolled: 7-line block ×3, first 2 shown]
	v_and_b32_e32 v59, 0xffff0000, v14
	v_and_b32_e32 v61, 0xffff0000, v15
	v_dual_lshlrev_b32 v60, 16, v15 :: v_dual_lshlrev_b32 v62, 16, v16
	v_and_b32_e32 v63, 0xffff0000, v16
	v_and_b32_e32 v65, 0xffff0000, v17
	v_cmp_lt_f32_e32 vcc_lo, 0, v35
	s_clause 0x1
	global_load_b128 v[6:9], v1, s[10:11] offset:32784
	global_load_b128 v[10:13], v1, s[10:11] offset:32768
	s_wait_loadcnt 0x5
	v_pk_mul_f32 v[2:3], v[18:19], v[34:35]
	v_lshlrev_b32_e32 v64, 16, v17
	v_pk_mul_f32 v[4:5], v[20:21], v[36:37]
	s_wait_loadcnt 0x4
	v_pk_mul_f32 v[14:15], v[22:23], v[38:39]
	v_pk_mul_f32 v[16:17], v[24:25], v[40:41]
	global_load_b128 v[18:21], v1, s[10:11] offset:49152
	s_wait_loadcnt 0x4
	v_pk_mul_f32 v[22:23], v[26:27], v[42:43]
	global_load_b128 v[24:27], v1, s[10:11] offset:49168
	v_cndmask_b32_e32 v3, v3, v35, vcc_lo
	v_cmp_lt_f32_e32 vcc_lo, 0, v34
	v_pk_mul_f32 v[28:29], v[28:29], v[44:45]
	s_wait_loadcnt 0x4
	v_pk_mul_f32 v[30:31], v[30:31], v[46:47]
	v_pk_mul_f32 v[32:33], v[32:33], v[48:49]
	s_wait_xcnt 0x0
	v_cndmask_b32_e32 v2, v2, v34, vcc_lo
	v_cmp_lt_f32_e32 vcc_lo, 0, v37
	v_cndmask_b32_e32 v5, v5, v37, vcc_lo
	v_cmp_lt_f32_e32 vcc_lo, 0, v36
	;; [unrolled: 2-line block ×4, first 2 shown]
	s_wait_loadcnt 0x3
	v_pk_mul_f32 v[34:35], v[6:7], v[54:55]
	v_pk_mul_f32 v[36:37], v[8:9], v[56:57]
	s_wait_loadcnt 0x2
	v_pk_mul_f32 v[10:11], v[10:11], v[50:51]
	v_pk_mul_f32 v[12:13], v[12:13], v[52:53]
	v_cndmask_b32_e32 v14, v14, v38, vcc_lo
	v_cmp_lt_f32_e32 vcc_lo, 0, v41
	v_cndmask_b32_e32 v17, v17, v41, vcc_lo
	v_cmp_lt_f32_e32 vcc_lo, 0, v40
	;; [unrolled: 2-line block ×5, first 2 shown]
	s_wait_loadcnt 0x1
	v_pk_mul_f32 v[38:39], v[18:19], v[58:59]
	v_pk_mul_f32 v[40:41], v[20:21], v[60:61]
	s_wait_loadcnt 0x0
	v_pk_mul_f32 v[42:43], v[24:25], v[62:63]
	v_cndmask_b32_e32 v25, v29, v45, vcc_lo
	v_cmp_lt_f32_e32 vcc_lo, 0, v44
	v_pk_mul_f32 v[66:67], v[26:27], v[64:65]
	v_cndmask_b32_e32 v24, v28, v44, vcc_lo
	v_cmp_lt_f32_e32 vcc_lo, 0, v47
	v_cndmask_b32_e32 v7, v31, v47, vcc_lo
	v_cmp_lt_f32_e32 vcc_lo, 0, v46
	;; [unrolled: 2-line block ×20, first 2 shown]
	v_cndmask_b32_e32 v32, v66, v64, vcc_lo
	s_clause 0x7
	global_store_b128 v1, v[2:5], s[8:9]
	global_store_b128 v1, v[14:17], s[8:9] offset:16
	global_store_b128 v1, v[22:25], s[8:9] offset:16384
	;; [unrolled: 1-line block ×7, first 2 shown]
	s_cbranch_execnz .LBB18_2
.LBB18_4:
	s_clause 0x1
	s_load_b32 s10, s[0:1], 0x24
	s_load_b128 s[16:19], s[0:1], 0x28
	v_dual_mov_b32 v31, v0 :: v_dual_mov_b32 v0, s4
	v_dual_mov_b32 v1, s5 :: v_dual_mov_b32 v2, s6
	;; [unrolled: 1-line block ×4, first 2 shown]
	s_add_nc_u64 s[8:9], s[0:1], 56
	s_wait_xcnt 0x0
	s_get_pc_i64 s[0:1]
	s_add_nc_u64 s[0:1], s[0:1], _ZN2at6native25elementwise_kernel_helperILb1EZZZNS0_12prelu_kernelERNS_14TensorIteratorEENKUlvE_clEvENKUlvE0_clEvEUlffE_NS0_6memory8policies11unroll_baseILi512ESt5arrayIPcLm3EE23TrivialOffsetCalculatorILi2EjESD_ILi1EjENS7_12LoadWithCastILi2EEENS7_13StoreWithCastILi1EEELi32ELi1EEEEEvT0_T1_@rel64+4
	s_wait_kmcnt 0x0
	s_bfe_u32 s11, s10, 0x80008
	v_dual_mov_b32 v7, s10 :: v_dual_mov_b32 v9, s16
	v_dual_mov_b32 v10, s17 :: v_dual_mov_b32 v11, s18
	;; [unrolled: 1-line block ×3, first 2 shown]
	s_swap_pc_i64 s[30:31], s[0:1]
	s_endpgm
	.section	.rodata,"a",@progbits
	.p2align	6, 0x0
	.amdhsa_kernel _ZN2at6native39vectorized_templated_elementwise_kernelILi8EZZZNS0_12prelu_kernelERNS_14TensorIteratorEENKUlvE_clEvENKUlvE0_clEvEUlffE_St5arrayIPcLm3EE23TrivialOffsetCalculatorILi2EjESA_ILi1EjENS0_6memory12LoadWithCastILi2EEENSD_13StoreWithCastILi1EEEfJN3c108BFloat16EfEEEviT0_T1_T2_T3_T4_T5_
		.amdhsa_group_segment_fixed_size 0
		.amdhsa_private_segment_fixed_size 272
		.amdhsa_kernarg_size 312
		.amdhsa_user_sgpr_count 2
		.amdhsa_user_sgpr_dispatch_ptr 0
		.amdhsa_user_sgpr_queue_ptr 0
		.amdhsa_user_sgpr_kernarg_segment_ptr 1
		.amdhsa_user_sgpr_dispatch_id 0
		.amdhsa_user_sgpr_kernarg_preload_length 0
		.amdhsa_user_sgpr_kernarg_preload_offset 0
		.amdhsa_user_sgpr_private_segment_size 0
		.amdhsa_wavefront_size32 1
		.amdhsa_uses_dynamic_stack 0
		.amdhsa_enable_private_segment 1
		.amdhsa_system_sgpr_workgroup_id_x 1
		.amdhsa_system_sgpr_workgroup_id_y 0
		.amdhsa_system_sgpr_workgroup_id_z 0
		.amdhsa_system_sgpr_workgroup_info 0
		.amdhsa_system_vgpr_workitem_id 0
		.amdhsa_next_free_vgpr 120
		.amdhsa_next_free_sgpr 96
		.amdhsa_named_barrier_count 0
		.amdhsa_reserve_vcc 1
		.amdhsa_float_round_mode_32 0
		.amdhsa_float_round_mode_16_64 0
		.amdhsa_float_denorm_mode_32 3
		.amdhsa_float_denorm_mode_16_64 3
		.amdhsa_fp16_overflow 0
		.amdhsa_memory_ordered 1
		.amdhsa_forward_progress 1
		.amdhsa_inst_pref_size 10
		.amdhsa_round_robin_scheduling 0
		.amdhsa_exception_fp_ieee_invalid_op 0
		.amdhsa_exception_fp_denorm_src 0
		.amdhsa_exception_fp_ieee_div_zero 0
		.amdhsa_exception_fp_ieee_overflow 0
		.amdhsa_exception_fp_ieee_underflow 0
		.amdhsa_exception_fp_ieee_inexact 0
		.amdhsa_exception_int_div_zero 0
	.end_amdhsa_kernel
	.section	.text._ZN2at6native39vectorized_templated_elementwise_kernelILi8EZZZNS0_12prelu_kernelERNS_14TensorIteratorEENKUlvE_clEvENKUlvE0_clEvEUlffE_St5arrayIPcLm3EE23TrivialOffsetCalculatorILi2EjESA_ILi1EjENS0_6memory12LoadWithCastILi2EEENSD_13StoreWithCastILi1EEEfJN3c108BFloat16EfEEEviT0_T1_T2_T3_T4_T5_,"axG",@progbits,_ZN2at6native39vectorized_templated_elementwise_kernelILi8EZZZNS0_12prelu_kernelERNS_14TensorIteratorEENKUlvE_clEvENKUlvE0_clEvEUlffE_St5arrayIPcLm3EE23TrivialOffsetCalculatorILi2EjESA_ILi1EjENS0_6memory12LoadWithCastILi2EEENSD_13StoreWithCastILi1EEEfJN3c108BFloat16EfEEEviT0_T1_T2_T3_T4_T5_,comdat
.Lfunc_end18:
	.size	_ZN2at6native39vectorized_templated_elementwise_kernelILi8EZZZNS0_12prelu_kernelERNS_14TensorIteratorEENKUlvE_clEvENKUlvE0_clEvEUlffE_St5arrayIPcLm3EE23TrivialOffsetCalculatorILi2EjESA_ILi1EjENS0_6memory12LoadWithCastILi2EEENSD_13StoreWithCastILi1EEEfJN3c108BFloat16EfEEEviT0_T1_T2_T3_T4_T5_, .Lfunc_end18-_ZN2at6native39vectorized_templated_elementwise_kernelILi8EZZZNS0_12prelu_kernelERNS_14TensorIteratorEENKUlvE_clEvENKUlvE0_clEvEUlffE_St5arrayIPcLm3EE23TrivialOffsetCalculatorILi2EjESA_ILi1EjENS0_6memory12LoadWithCastILi2EEENSD_13StoreWithCastILi1EEEfJN3c108BFloat16EfEEEviT0_T1_T2_T3_T4_T5_
                                        ; -- End function
	.set _ZN2at6native39vectorized_templated_elementwise_kernelILi8EZZZNS0_12prelu_kernelERNS_14TensorIteratorEENKUlvE_clEvENKUlvE0_clEvEUlffE_St5arrayIPcLm3EE23TrivialOffsetCalculatorILi2EjESA_ILi1EjENS0_6memory12LoadWithCastILi2EEENSD_13StoreWithCastILi1EEEfJN3c108BFloat16EfEEEviT0_T1_T2_T3_T4_T5_.num_vgpr, max(68, .L_ZN2at6native25elementwise_kernel_helperILb1EZZZNS0_12prelu_kernelERNS_14TensorIteratorEENKUlvE_clEvENKUlvE0_clEvEUlffE_NS0_6memory8policies11unroll_baseILi512ESt5arrayIPcLm3EE23TrivialOffsetCalculatorILi2EjESD_ILi1EjENS7_12LoadWithCastILi2EEENS7_13StoreWithCastILi1EEELi32ELi1EEEEEvT0_T1_.num_vgpr)
	.set _ZN2at6native39vectorized_templated_elementwise_kernelILi8EZZZNS0_12prelu_kernelERNS_14TensorIteratorEENKUlvE_clEvENKUlvE0_clEvEUlffE_St5arrayIPcLm3EE23TrivialOffsetCalculatorILi2EjESA_ILi1EjENS0_6memory12LoadWithCastILi2EEENSD_13StoreWithCastILi1EEEfJN3c108BFloat16EfEEEviT0_T1_T2_T3_T4_T5_.num_agpr, max(0, .L_ZN2at6native25elementwise_kernel_helperILb1EZZZNS0_12prelu_kernelERNS_14TensorIteratorEENKUlvE_clEvENKUlvE0_clEvEUlffE_NS0_6memory8policies11unroll_baseILi512ESt5arrayIPcLm3EE23TrivialOffsetCalculatorILi2EjESD_ILi1EjENS7_12LoadWithCastILi2EEENS7_13StoreWithCastILi1EEELi32ELi1EEEEEvT0_T1_.num_agpr)
	.set _ZN2at6native39vectorized_templated_elementwise_kernelILi8EZZZNS0_12prelu_kernelERNS_14TensorIteratorEENKUlvE_clEvENKUlvE0_clEvEUlffE_St5arrayIPcLm3EE23TrivialOffsetCalculatorILi2EjESA_ILi1EjENS0_6memory12LoadWithCastILi2EEENSD_13StoreWithCastILi1EEEfJN3c108BFloat16EfEEEviT0_T1_T2_T3_T4_T5_.numbered_sgpr, max(33, .L_ZN2at6native25elementwise_kernel_helperILb1EZZZNS0_12prelu_kernelERNS_14TensorIteratorEENKUlvE_clEvENKUlvE0_clEvEUlffE_NS0_6memory8policies11unroll_baseILi512ESt5arrayIPcLm3EE23TrivialOffsetCalculatorILi2EjESD_ILi1EjENS7_12LoadWithCastILi2EEENS7_13StoreWithCastILi1EEELi32ELi1EEEEEvT0_T1_.numbered_sgpr)
	.set _ZN2at6native39vectorized_templated_elementwise_kernelILi8EZZZNS0_12prelu_kernelERNS_14TensorIteratorEENKUlvE_clEvENKUlvE0_clEvEUlffE_St5arrayIPcLm3EE23TrivialOffsetCalculatorILi2EjESA_ILi1EjENS0_6memory12LoadWithCastILi2EEENSD_13StoreWithCastILi1EEEfJN3c108BFloat16EfEEEviT0_T1_T2_T3_T4_T5_.num_named_barrier, max(0, .L_ZN2at6native25elementwise_kernel_helperILb1EZZZNS0_12prelu_kernelERNS_14TensorIteratorEENKUlvE_clEvENKUlvE0_clEvEUlffE_NS0_6memory8policies11unroll_baseILi512ESt5arrayIPcLm3EE23TrivialOffsetCalculatorILi2EjESD_ILi1EjENS7_12LoadWithCastILi2EEENS7_13StoreWithCastILi1EEELi32ELi1EEEEEvT0_T1_.num_named_barrier)
	.set _ZN2at6native39vectorized_templated_elementwise_kernelILi8EZZZNS0_12prelu_kernelERNS_14TensorIteratorEENKUlvE_clEvENKUlvE0_clEvEUlffE_St5arrayIPcLm3EE23TrivialOffsetCalculatorILi2EjESA_ILi1EjENS0_6memory12LoadWithCastILi2EEENSD_13StoreWithCastILi1EEEfJN3c108BFloat16EfEEEviT0_T1_T2_T3_T4_T5_.private_seg_size, 0+max(.L_ZN2at6native25elementwise_kernel_helperILb1EZZZNS0_12prelu_kernelERNS_14TensorIteratorEENKUlvE_clEvENKUlvE0_clEvEUlffE_NS0_6memory8policies11unroll_baseILi512ESt5arrayIPcLm3EE23TrivialOffsetCalculatorILi2EjESD_ILi1EjENS7_12LoadWithCastILi2EEENS7_13StoreWithCastILi1EEELi32ELi1EEEEEvT0_T1_.private_seg_size)
	.set _ZN2at6native39vectorized_templated_elementwise_kernelILi8EZZZNS0_12prelu_kernelERNS_14TensorIteratorEENKUlvE_clEvENKUlvE0_clEvEUlffE_St5arrayIPcLm3EE23TrivialOffsetCalculatorILi2EjESA_ILi1EjENS0_6memory12LoadWithCastILi2EEENSD_13StoreWithCastILi1EEEfJN3c108BFloat16EfEEEviT0_T1_T2_T3_T4_T5_.uses_vcc, or(1, .L_ZN2at6native25elementwise_kernel_helperILb1EZZZNS0_12prelu_kernelERNS_14TensorIteratorEENKUlvE_clEvENKUlvE0_clEvEUlffE_NS0_6memory8policies11unroll_baseILi512ESt5arrayIPcLm3EE23TrivialOffsetCalculatorILi2EjESD_ILi1EjENS7_12LoadWithCastILi2EEENS7_13StoreWithCastILi1EEELi32ELi1EEEEEvT0_T1_.uses_vcc)
	.set _ZN2at6native39vectorized_templated_elementwise_kernelILi8EZZZNS0_12prelu_kernelERNS_14TensorIteratorEENKUlvE_clEvENKUlvE0_clEvEUlffE_St5arrayIPcLm3EE23TrivialOffsetCalculatorILi2EjESA_ILi1EjENS0_6memory12LoadWithCastILi2EEENSD_13StoreWithCastILi1EEEfJN3c108BFloat16EfEEEviT0_T1_T2_T3_T4_T5_.uses_flat_scratch, or(0, .L_ZN2at6native25elementwise_kernel_helperILb1EZZZNS0_12prelu_kernelERNS_14TensorIteratorEENKUlvE_clEvENKUlvE0_clEvEUlffE_NS0_6memory8policies11unroll_baseILi512ESt5arrayIPcLm3EE23TrivialOffsetCalculatorILi2EjESD_ILi1EjENS7_12LoadWithCastILi2EEENS7_13StoreWithCastILi1EEELi32ELi1EEEEEvT0_T1_.uses_flat_scratch)
	.set _ZN2at6native39vectorized_templated_elementwise_kernelILi8EZZZNS0_12prelu_kernelERNS_14TensorIteratorEENKUlvE_clEvENKUlvE0_clEvEUlffE_St5arrayIPcLm3EE23TrivialOffsetCalculatorILi2EjESA_ILi1EjENS0_6memory12LoadWithCastILi2EEENSD_13StoreWithCastILi1EEEfJN3c108BFloat16EfEEEviT0_T1_T2_T3_T4_T5_.has_dyn_sized_stack, or(0, .L_ZN2at6native25elementwise_kernel_helperILb1EZZZNS0_12prelu_kernelERNS_14TensorIteratorEENKUlvE_clEvENKUlvE0_clEvEUlffE_NS0_6memory8policies11unroll_baseILi512ESt5arrayIPcLm3EE23TrivialOffsetCalculatorILi2EjESD_ILi1EjENS7_12LoadWithCastILi2EEENS7_13StoreWithCastILi1EEELi32ELi1EEEEEvT0_T1_.has_dyn_sized_stack)
	.set _ZN2at6native39vectorized_templated_elementwise_kernelILi8EZZZNS0_12prelu_kernelERNS_14TensorIteratorEENKUlvE_clEvENKUlvE0_clEvEUlffE_St5arrayIPcLm3EE23TrivialOffsetCalculatorILi2EjESA_ILi1EjENS0_6memory12LoadWithCastILi2EEENSD_13StoreWithCastILi1EEEfJN3c108BFloat16EfEEEviT0_T1_T2_T3_T4_T5_.has_recursion, or(0, .L_ZN2at6native25elementwise_kernel_helperILb1EZZZNS0_12prelu_kernelERNS_14TensorIteratorEENKUlvE_clEvENKUlvE0_clEvEUlffE_NS0_6memory8policies11unroll_baseILi512ESt5arrayIPcLm3EE23TrivialOffsetCalculatorILi2EjESD_ILi1EjENS7_12LoadWithCastILi2EEENS7_13StoreWithCastILi1EEELi32ELi1EEEEEvT0_T1_.has_recursion)
	.set _ZN2at6native39vectorized_templated_elementwise_kernelILi8EZZZNS0_12prelu_kernelERNS_14TensorIteratorEENKUlvE_clEvENKUlvE0_clEvEUlffE_St5arrayIPcLm3EE23TrivialOffsetCalculatorILi2EjESA_ILi1EjENS0_6memory12LoadWithCastILi2EEENSD_13StoreWithCastILi1EEEfJN3c108BFloat16EfEEEviT0_T1_T2_T3_T4_T5_.has_indirect_call, or(0, .L_ZN2at6native25elementwise_kernel_helperILb1EZZZNS0_12prelu_kernelERNS_14TensorIteratorEENKUlvE_clEvENKUlvE0_clEvEUlffE_NS0_6memory8policies11unroll_baseILi512ESt5arrayIPcLm3EE23TrivialOffsetCalculatorILi2EjESD_ILi1EjENS7_12LoadWithCastILi2EEENS7_13StoreWithCastILi1EEELi32ELi1EEEEEvT0_T1_.has_indirect_call)
	.section	.AMDGPU.csdata,"",@progbits
; Kernel info:
; codeLenInByte = 1216
; TotalNumSgprs: 98
; NumVgprs: 120
; ScratchSize: 272
; MemoryBound: 0
; FloatMode: 240
; IeeeMode: 1
; LDSByteSize: 0 bytes/workgroup (compile time only)
; SGPRBlocks: 0
; VGPRBlocks: 7
; NumSGPRsForWavesPerEU: 98
; NumVGPRsForWavesPerEU: 120
; NamedBarCnt: 0
; Occupancy: 8
; WaveLimiterHint : 0
; COMPUTE_PGM_RSRC2:SCRATCH_EN: 1
; COMPUTE_PGM_RSRC2:USER_SGPR: 2
; COMPUTE_PGM_RSRC2:TRAP_HANDLER: 0
; COMPUTE_PGM_RSRC2:TGID_X_EN: 1
; COMPUTE_PGM_RSRC2:TGID_Y_EN: 0
; COMPUTE_PGM_RSRC2:TGID_Z_EN: 0
; COMPUTE_PGM_RSRC2:TIDIG_COMP_CNT: 0
	.section	.text._ZN2at6native39vectorized_templated_elementwise_kernelILi4EZZZNS0_12prelu_kernelERNS_14TensorIteratorEENKUlvE_clEvENKUlvE0_clEvEUlffE_St5arrayIPcLm3EE23TrivialOffsetCalculatorILi2EjESA_ILi1EjENS0_6memory12LoadWithCastILi2EEENSD_13StoreWithCastILi1EEEfJN3c108BFloat16EfEEEviT0_T1_T2_T3_T4_T5_,"axG",@progbits,_ZN2at6native39vectorized_templated_elementwise_kernelILi4EZZZNS0_12prelu_kernelERNS_14TensorIteratorEENKUlvE_clEvENKUlvE0_clEvEUlffE_St5arrayIPcLm3EE23TrivialOffsetCalculatorILi2EjESA_ILi1EjENS0_6memory12LoadWithCastILi2EEENSD_13StoreWithCastILi1EEEfJN3c108BFloat16EfEEEviT0_T1_T2_T3_T4_T5_,comdat
	.globl	_ZN2at6native39vectorized_templated_elementwise_kernelILi4EZZZNS0_12prelu_kernelERNS_14TensorIteratorEENKUlvE_clEvENKUlvE0_clEvEUlffE_St5arrayIPcLm3EE23TrivialOffsetCalculatorILi2EjESA_ILi1EjENS0_6memory12LoadWithCastILi2EEENSD_13StoreWithCastILi1EEEfJN3c108BFloat16EfEEEviT0_T1_T2_T3_T4_T5_ ; -- Begin function _ZN2at6native39vectorized_templated_elementwise_kernelILi4EZZZNS0_12prelu_kernelERNS_14TensorIteratorEENKUlvE_clEvENKUlvE0_clEvEUlffE_St5arrayIPcLm3EE23TrivialOffsetCalculatorILi2EjESA_ILi1EjENS0_6memory12LoadWithCastILi2EEENSD_13StoreWithCastILi1EEEfJN3c108BFloat16EfEEEviT0_T1_T2_T3_T4_T5_
	.p2align	8
	.type	_ZN2at6native39vectorized_templated_elementwise_kernelILi4EZZZNS0_12prelu_kernelERNS_14TensorIteratorEENKUlvE_clEvENKUlvE0_clEvEUlffE_St5arrayIPcLm3EE23TrivialOffsetCalculatorILi2EjESA_ILi1EjENS0_6memory12LoadWithCastILi2EEENSD_13StoreWithCastILi1EEEfJN3c108BFloat16EfEEEviT0_T1_T2_T3_T4_T5_,@function
_ZN2at6native39vectorized_templated_elementwise_kernelILi4EZZZNS0_12prelu_kernelERNS_14TensorIteratorEENKUlvE_clEvENKUlvE0_clEvEUlffE_St5arrayIPcLm3EE23TrivialOffsetCalculatorILi2EjESA_ILi1EjENS0_6memory12LoadWithCastILi2EEENSD_13StoreWithCastILi1EEEfJN3c108BFloat16EfEEEviT0_T1_T2_T3_T4_T5_: ; @_ZN2at6native39vectorized_templated_elementwise_kernelILi4EZZZNS0_12prelu_kernelERNS_14TensorIteratorEENKUlvE_clEvENKUlvE0_clEvEUlffE_St5arrayIPcLm3EE23TrivialOffsetCalculatorILi2EjESA_ILi1EjENS0_6memory12LoadWithCastILi2EEENSD_13StoreWithCastILi1EEEfJN3c108BFloat16EfEEEviT0_T1_T2_T3_T4_T5_
; %bb.0:
	s_clause 0x2
	s_load_b32 s8, s[0:1], 0x38
	s_load_b32 s9, s[0:1], 0x0
	s_load_b64 s[2:3], s[0:1], 0x18
	s_bfe_u32 s10, ttmp6, 0x4000c
	s_load_b128 s[4:7], s[0:1], 0x8
	s_add_co_i32 s10, s10, 1
	s_and_b32 s11, ttmp6, 15
	s_mul_i32 s10, ttmp9, s10
	s_getreg_b32 s12, hwreg(HW_REG_IB_STS2, 6, 4)
	s_add_co_i32 s11, s11, s10
	s_cmp_eq_u32 s12, 0
	s_mov_b32 s32, 0
	s_cselect_b32 s10, ttmp9, s11
	s_delay_alu instid0(SALU_CYCLE_1) | instskip(SKIP_4) | instid1(SALU_CYCLE_1)
	s_not_b32 s10, s10
	s_wait_kmcnt 0x0
	s_add_co_i32 s8, s8, s10
	s_mov_b32 s10, -1
	s_lshl_b32 s8, s8, 14
	s_sub_co_i32 s14, s9, s8
	s_delay_alu instid0(SALU_CYCLE_1)
	s_cmp_gt_i32 s14, 0x3fff
	s_cbranch_scc1 .LBB19_3
; %bb.1:
	s_and_not1_b32 vcc_lo, exec_lo, s10
	s_cbranch_vccz .LBB19_4
.LBB19_2:
	s_sendmsg sendmsg(MSG_DEALLOC_VGPRS)
	s_endpgm
.LBB19_3:
	s_ashr_i32 s9, s8, 31
	s_delay_alu instid0(SALU_CYCLE_1)
	s_lshl_b64 s[10:11], s[8:9], 1
	s_lshl_b64 s[8:9], s[8:9], 2
	s_add_nc_u64 s[12:13], s[6:7], s[10:11]
	s_add_nc_u64 s[10:11], s[2:3], s[8:9]
	s_clause 0xe
	global_load_b64 v[30:31], v0, s[12:13] scale_offset
	global_load_b64 v[32:33], v0, s[12:13] offset:4096 scale_offset
	global_load_b64 v[34:35], v0, s[12:13] offset:8192 scale_offset
	;; [unrolled: 1-line block ×3, first 2 shown]
	global_load_b128 v[2:5], v0, s[10:11] scale_offset
	global_load_b64 v[38:39], v0, s[12:13] offset:16384 scale_offset
	global_load_b64 v[40:41], v0, s[12:13] offset:20480 scale_offset
	global_load_b128 v[6:9], v0, s[10:11] offset:8192 scale_offset
	global_load_b64 v[42:43], v0, s[12:13] offset:24576 scale_offset
	global_load_b64 v[44:45], v0, s[12:13] offset:28672 scale_offset
	global_load_b128 v[10:13], v0, s[10:11] offset:16384 scale_offset
	global_load_b128 v[14:17], v0, s[10:11] offset:24576 scale_offset
	;; [unrolled: 1-line block ×5, first 2 shown]
	s_add_nc_u64 s[8:9], s[4:5], s[8:9]
	s_wait_loadcnt 0xb
	v_lshlrev_b32_e32 v52, 16, v36
	v_and_b32_e32 v53, 0xffff0000, v36
	v_lshlrev_b32_e32 v36, 16, v37
	v_and_b32_e32 v37, 0xffff0000, v37
	s_wait_loadcnt 0x8
	v_lshlrev_b32_e32 v54, 16, v40
	v_and_b32_e32 v55, 0xffff0000, v40
	v_lshlrev_b32_e32 v40, 16, v41
	v_and_b32_e32 v41, 0xffff0000, v41
	;; [unrolled: 2-line block ×5, first 2 shown]
	v_pk_mul_f32 v[2:3], v[2:3], v[46:47]
	v_cmp_lt_f32_e32 vcc_lo, 0, v47
	v_pk_mul_f32 v[4:5], v[4:5], v[30:31]
	v_lshlrev_b32_e32 v32, 16, v33
	s_wait_loadcnt 0x7
	v_pk_mul_f32 v[6:7], v[6:7], v[48:49]
	v_and_b32_e32 v33, 0xffff0000, v33
	v_cndmask_b32_e32 v3, v3, v47, vcc_lo
	v_cmp_lt_f32_e32 vcc_lo, 0, v46
	v_lshlrev_b32_e32 v50, 16, v34
	v_and_b32_e32 v51, 0xffff0000, v34
	v_pk_mul_f32 v[8:9], v[8:9], v[32:33]
	v_dual_lshlrev_b32 v34, 16, v35 :: v_dual_cndmask_b32 v2, v2, v46, vcc_lo
	v_cmp_lt_f32_e32 vcc_lo, 0, v31
	s_wait_loadcnt 0x4
	v_pk_mul_f32 v[10:11], v[10:11], v[50:51]
	v_and_b32_e32 v35, 0xffff0000, v35
	s_wait_loadcnt 0x3
	v_pk_mul_f32 v[14:15], v[14:15], v[52:53]
	v_pk_mul_f32 v[16:17], v[16:17], v[36:37]
	v_cndmask_b32_e32 v5, v5, v31, vcc_lo
	v_cmp_lt_f32_e32 vcc_lo, 0, v30
	v_pk_mul_f32 v[12:13], v[12:13], v[34:35]
	v_lshlrev_b32_e32 v46, 16, v38
	v_and_b32_e32 v47, 0xffff0000, v38
	v_dual_lshlrev_b32 v38, 16, v39 :: v_dual_cndmask_b32 v4, v4, v30, vcc_lo
	v_cmp_lt_f32_e32 vcc_lo, 0, v49
	v_and_b32_e32 v39, 0xffff0000, v39
	s_wait_loadcnt 0x2
	v_pk_mul_f32 v[18:19], v[18:19], v[46:47]
	s_wait_loadcnt 0x1
	v_pk_mul_f32 v[22:23], v[22:23], v[54:55]
	v_pk_mul_f32 v[24:25], v[24:25], v[40:41]
	v_cndmask_b32_e32 v7, v7, v49, vcc_lo
	v_cmp_lt_f32_e32 vcc_lo, 0, v48
	v_pk_mul_f32 v[20:21], v[20:21], v[38:39]
	v_and_b32_e32 v49, 0xffff0000, v42
	v_lshlrev_b32_e32 v56, 16, v44
	v_and_b32_e32 v57, 0xffff0000, v44
	v_cndmask_b32_e32 v6, v6, v48, vcc_lo
	v_cmp_lt_f32_e32 vcc_lo, 0, v33
	v_dual_lshlrev_b32 v48, 16, v42 :: v_dual_lshlrev_b32 v42, 16, v43
	v_and_b32_e32 v43, 0xffff0000, v43
	v_lshlrev_b32_e32 v44, 16, v45
	v_cndmask_b32_e32 v9, v9, v33, vcc_lo
	v_cmp_lt_f32_e32 vcc_lo, 0, v32
	s_wait_loadcnt 0x0
	v_pk_mul_f32 v[26:27], v[26:27], v[48:49]
	v_pk_mul_f32 v[28:29], v[28:29], v[42:43]
	v_and_b32_e32 v45, 0xffff0000, v45
	v_cndmask_b32_e32 v8, v8, v32, vcc_lo
	global_load_b128 v[30:33], v0, s[10:11] offset:57344 scale_offset
	v_cmp_lt_f32_e32 vcc_lo, 0, v51
	s_wait_xcnt 0x0
	v_cndmask_b32_e32 v11, v11, v51, vcc_lo
	v_cmp_lt_f32_e32 vcc_lo, 0, v50
	v_cndmask_b32_e32 v10, v10, v50, vcc_lo
	v_cmp_lt_f32_e32 vcc_lo, 0, v35
	;; [unrolled: 2-line block ×20, first 2 shown]
	s_wait_loadcnt 0x0
	v_pk_mul_f32 v[30:31], v[30:31], v[56:57]
	v_pk_mul_f32 v[32:33], v[32:33], v[44:45]
	s_delay_alu instid0(VALU_DEP_2) | instskip(SKIP_1) | instid1(VALU_DEP_4)
	v_cndmask_b32_e32 v31, v31, v57, vcc_lo
	v_cmp_lt_f32_e32 vcc_lo, 0, v56
	v_cndmask_b32_e32 v30, v30, v56, vcc_lo
	v_cmp_lt_f32_e32 vcc_lo, 0, v45
	;; [unrolled: 2-line block ×3, first 2 shown]
	v_cndmask_b32_e32 v32, v32, v44, vcc_lo
	s_clause 0x7
	global_store_b128 v0, v[2:5], s[8:9] scale_offset
	global_store_b128 v0, v[6:9], s[8:9] offset:8192 scale_offset
	global_store_b128 v0, v[10:13], s[8:9] offset:16384 scale_offset
	;; [unrolled: 1-line block ×7, first 2 shown]
	s_cbranch_execnz .LBB19_2
.LBB19_4:
	s_clause 0x1
	s_load_b32 s10, s[0:1], 0x24
	s_load_b128 s[16:19], s[0:1], 0x28
	v_dual_mov_b32 v31, v0 :: v_dual_mov_b32 v0, s4
	v_dual_mov_b32 v1, s5 :: v_dual_mov_b32 v2, s6
	;; [unrolled: 1-line block ×4, first 2 shown]
	s_add_nc_u64 s[8:9], s[0:1], 56
	s_wait_xcnt 0x0
	s_get_pc_i64 s[0:1]
	s_add_nc_u64 s[0:1], s[0:1], _ZN2at6native25elementwise_kernel_helperILb1EZZZNS0_12prelu_kernelERNS_14TensorIteratorEENKUlvE_clEvENKUlvE0_clEvEUlffE_NS0_6memory8policies11unroll_baseILi512ESt5arrayIPcLm3EE23TrivialOffsetCalculatorILi2EjESD_ILi1EjENS7_12LoadWithCastILi2EEENS7_13StoreWithCastILi1EEELi32ELi1EEEEEvT0_T1_@rel64+4
	s_wait_kmcnt 0x0
	s_bfe_u32 s11, s10, 0x80008
	v_dual_mov_b32 v7, s10 :: v_dual_mov_b32 v9, s16
	v_dual_mov_b32 v10, s17 :: v_dual_mov_b32 v11, s18
	;; [unrolled: 1-line block ×3, first 2 shown]
	s_swap_pc_i64 s[30:31], s[0:1]
	s_endpgm
	.section	.rodata,"a",@progbits
	.p2align	6, 0x0
	.amdhsa_kernel _ZN2at6native39vectorized_templated_elementwise_kernelILi4EZZZNS0_12prelu_kernelERNS_14TensorIteratorEENKUlvE_clEvENKUlvE0_clEvEUlffE_St5arrayIPcLm3EE23TrivialOffsetCalculatorILi2EjESA_ILi1EjENS0_6memory12LoadWithCastILi2EEENSD_13StoreWithCastILi1EEEfJN3c108BFloat16EfEEEviT0_T1_T2_T3_T4_T5_
		.amdhsa_group_segment_fixed_size 0
		.amdhsa_private_segment_fixed_size 272
		.amdhsa_kernarg_size 312
		.amdhsa_user_sgpr_count 2
		.amdhsa_user_sgpr_dispatch_ptr 0
		.amdhsa_user_sgpr_queue_ptr 0
		.amdhsa_user_sgpr_kernarg_segment_ptr 1
		.amdhsa_user_sgpr_dispatch_id 0
		.amdhsa_user_sgpr_kernarg_preload_length 0
		.amdhsa_user_sgpr_kernarg_preload_offset 0
		.amdhsa_user_sgpr_private_segment_size 0
		.amdhsa_wavefront_size32 1
		.amdhsa_uses_dynamic_stack 0
		.amdhsa_enable_private_segment 1
		.amdhsa_system_sgpr_workgroup_id_x 1
		.amdhsa_system_sgpr_workgroup_id_y 0
		.amdhsa_system_sgpr_workgroup_id_z 0
		.amdhsa_system_sgpr_workgroup_info 0
		.amdhsa_system_vgpr_workitem_id 0
		.amdhsa_next_free_vgpr 120
		.amdhsa_next_free_sgpr 96
		.amdhsa_named_barrier_count 0
		.amdhsa_reserve_vcc 1
		.amdhsa_float_round_mode_32 0
		.amdhsa_float_round_mode_16_64 0
		.amdhsa_float_denorm_mode_32 3
		.amdhsa_float_denorm_mode_16_64 3
		.amdhsa_fp16_overflow 0
		.amdhsa_memory_ordered 1
		.amdhsa_forward_progress 1
		.amdhsa_inst_pref_size 10
		.amdhsa_round_robin_scheduling 0
		.amdhsa_exception_fp_ieee_invalid_op 0
		.amdhsa_exception_fp_denorm_src 0
		.amdhsa_exception_fp_ieee_div_zero 0
		.amdhsa_exception_fp_ieee_overflow 0
		.amdhsa_exception_fp_ieee_underflow 0
		.amdhsa_exception_fp_ieee_inexact 0
		.amdhsa_exception_int_div_zero 0
	.end_amdhsa_kernel
	.section	.text._ZN2at6native39vectorized_templated_elementwise_kernelILi4EZZZNS0_12prelu_kernelERNS_14TensorIteratorEENKUlvE_clEvENKUlvE0_clEvEUlffE_St5arrayIPcLm3EE23TrivialOffsetCalculatorILi2EjESA_ILi1EjENS0_6memory12LoadWithCastILi2EEENSD_13StoreWithCastILi1EEEfJN3c108BFloat16EfEEEviT0_T1_T2_T3_T4_T5_,"axG",@progbits,_ZN2at6native39vectorized_templated_elementwise_kernelILi4EZZZNS0_12prelu_kernelERNS_14TensorIteratorEENKUlvE_clEvENKUlvE0_clEvEUlffE_St5arrayIPcLm3EE23TrivialOffsetCalculatorILi2EjESA_ILi1EjENS0_6memory12LoadWithCastILi2EEENSD_13StoreWithCastILi1EEEfJN3c108BFloat16EfEEEviT0_T1_T2_T3_T4_T5_,comdat
.Lfunc_end19:
	.size	_ZN2at6native39vectorized_templated_elementwise_kernelILi4EZZZNS0_12prelu_kernelERNS_14TensorIteratorEENKUlvE_clEvENKUlvE0_clEvEUlffE_St5arrayIPcLm3EE23TrivialOffsetCalculatorILi2EjESA_ILi1EjENS0_6memory12LoadWithCastILi2EEENSD_13StoreWithCastILi1EEEfJN3c108BFloat16EfEEEviT0_T1_T2_T3_T4_T5_, .Lfunc_end19-_ZN2at6native39vectorized_templated_elementwise_kernelILi4EZZZNS0_12prelu_kernelERNS_14TensorIteratorEENKUlvE_clEvENKUlvE0_clEvEUlffE_St5arrayIPcLm3EE23TrivialOffsetCalculatorILi2EjESA_ILi1EjENS0_6memory12LoadWithCastILi2EEENSD_13StoreWithCastILi1EEEfJN3c108BFloat16EfEEEviT0_T1_T2_T3_T4_T5_
                                        ; -- End function
	.set _ZN2at6native39vectorized_templated_elementwise_kernelILi4EZZZNS0_12prelu_kernelERNS_14TensorIteratorEENKUlvE_clEvENKUlvE0_clEvEUlffE_St5arrayIPcLm3EE23TrivialOffsetCalculatorILi2EjESA_ILi1EjENS0_6memory12LoadWithCastILi2EEENSD_13StoreWithCastILi1EEEfJN3c108BFloat16EfEEEviT0_T1_T2_T3_T4_T5_.num_vgpr, max(58, .L_ZN2at6native25elementwise_kernel_helperILb1EZZZNS0_12prelu_kernelERNS_14TensorIteratorEENKUlvE_clEvENKUlvE0_clEvEUlffE_NS0_6memory8policies11unroll_baseILi512ESt5arrayIPcLm3EE23TrivialOffsetCalculatorILi2EjESD_ILi1EjENS7_12LoadWithCastILi2EEENS7_13StoreWithCastILi1EEELi32ELi1EEEEEvT0_T1_.num_vgpr)
	.set _ZN2at6native39vectorized_templated_elementwise_kernelILi4EZZZNS0_12prelu_kernelERNS_14TensorIteratorEENKUlvE_clEvENKUlvE0_clEvEUlffE_St5arrayIPcLm3EE23TrivialOffsetCalculatorILi2EjESA_ILi1EjENS0_6memory12LoadWithCastILi2EEENSD_13StoreWithCastILi1EEEfJN3c108BFloat16EfEEEviT0_T1_T2_T3_T4_T5_.num_agpr, max(0, .L_ZN2at6native25elementwise_kernel_helperILb1EZZZNS0_12prelu_kernelERNS_14TensorIteratorEENKUlvE_clEvENKUlvE0_clEvEUlffE_NS0_6memory8policies11unroll_baseILi512ESt5arrayIPcLm3EE23TrivialOffsetCalculatorILi2EjESD_ILi1EjENS7_12LoadWithCastILi2EEENS7_13StoreWithCastILi1EEELi32ELi1EEEEEvT0_T1_.num_agpr)
	.set _ZN2at6native39vectorized_templated_elementwise_kernelILi4EZZZNS0_12prelu_kernelERNS_14TensorIteratorEENKUlvE_clEvENKUlvE0_clEvEUlffE_St5arrayIPcLm3EE23TrivialOffsetCalculatorILi2EjESA_ILi1EjENS0_6memory12LoadWithCastILi2EEENSD_13StoreWithCastILi1EEEfJN3c108BFloat16EfEEEviT0_T1_T2_T3_T4_T5_.numbered_sgpr, max(33, .L_ZN2at6native25elementwise_kernel_helperILb1EZZZNS0_12prelu_kernelERNS_14TensorIteratorEENKUlvE_clEvENKUlvE0_clEvEUlffE_NS0_6memory8policies11unroll_baseILi512ESt5arrayIPcLm3EE23TrivialOffsetCalculatorILi2EjESD_ILi1EjENS7_12LoadWithCastILi2EEENS7_13StoreWithCastILi1EEELi32ELi1EEEEEvT0_T1_.numbered_sgpr)
	.set _ZN2at6native39vectorized_templated_elementwise_kernelILi4EZZZNS0_12prelu_kernelERNS_14TensorIteratorEENKUlvE_clEvENKUlvE0_clEvEUlffE_St5arrayIPcLm3EE23TrivialOffsetCalculatorILi2EjESA_ILi1EjENS0_6memory12LoadWithCastILi2EEENSD_13StoreWithCastILi1EEEfJN3c108BFloat16EfEEEviT0_T1_T2_T3_T4_T5_.num_named_barrier, max(0, .L_ZN2at6native25elementwise_kernel_helperILb1EZZZNS0_12prelu_kernelERNS_14TensorIteratorEENKUlvE_clEvENKUlvE0_clEvEUlffE_NS0_6memory8policies11unroll_baseILi512ESt5arrayIPcLm3EE23TrivialOffsetCalculatorILi2EjESD_ILi1EjENS7_12LoadWithCastILi2EEENS7_13StoreWithCastILi1EEELi32ELi1EEEEEvT0_T1_.num_named_barrier)
	.set _ZN2at6native39vectorized_templated_elementwise_kernelILi4EZZZNS0_12prelu_kernelERNS_14TensorIteratorEENKUlvE_clEvENKUlvE0_clEvEUlffE_St5arrayIPcLm3EE23TrivialOffsetCalculatorILi2EjESA_ILi1EjENS0_6memory12LoadWithCastILi2EEENSD_13StoreWithCastILi1EEEfJN3c108BFloat16EfEEEviT0_T1_T2_T3_T4_T5_.private_seg_size, 0+max(.L_ZN2at6native25elementwise_kernel_helperILb1EZZZNS0_12prelu_kernelERNS_14TensorIteratorEENKUlvE_clEvENKUlvE0_clEvEUlffE_NS0_6memory8policies11unroll_baseILi512ESt5arrayIPcLm3EE23TrivialOffsetCalculatorILi2EjESD_ILi1EjENS7_12LoadWithCastILi2EEENS7_13StoreWithCastILi1EEELi32ELi1EEEEEvT0_T1_.private_seg_size)
	.set _ZN2at6native39vectorized_templated_elementwise_kernelILi4EZZZNS0_12prelu_kernelERNS_14TensorIteratorEENKUlvE_clEvENKUlvE0_clEvEUlffE_St5arrayIPcLm3EE23TrivialOffsetCalculatorILi2EjESA_ILi1EjENS0_6memory12LoadWithCastILi2EEENSD_13StoreWithCastILi1EEEfJN3c108BFloat16EfEEEviT0_T1_T2_T3_T4_T5_.uses_vcc, or(1, .L_ZN2at6native25elementwise_kernel_helperILb1EZZZNS0_12prelu_kernelERNS_14TensorIteratorEENKUlvE_clEvENKUlvE0_clEvEUlffE_NS0_6memory8policies11unroll_baseILi512ESt5arrayIPcLm3EE23TrivialOffsetCalculatorILi2EjESD_ILi1EjENS7_12LoadWithCastILi2EEENS7_13StoreWithCastILi1EEELi32ELi1EEEEEvT0_T1_.uses_vcc)
	.set _ZN2at6native39vectorized_templated_elementwise_kernelILi4EZZZNS0_12prelu_kernelERNS_14TensorIteratorEENKUlvE_clEvENKUlvE0_clEvEUlffE_St5arrayIPcLm3EE23TrivialOffsetCalculatorILi2EjESA_ILi1EjENS0_6memory12LoadWithCastILi2EEENSD_13StoreWithCastILi1EEEfJN3c108BFloat16EfEEEviT0_T1_T2_T3_T4_T5_.uses_flat_scratch, or(0, .L_ZN2at6native25elementwise_kernel_helperILb1EZZZNS0_12prelu_kernelERNS_14TensorIteratorEENKUlvE_clEvENKUlvE0_clEvEUlffE_NS0_6memory8policies11unroll_baseILi512ESt5arrayIPcLm3EE23TrivialOffsetCalculatorILi2EjESD_ILi1EjENS7_12LoadWithCastILi2EEENS7_13StoreWithCastILi1EEELi32ELi1EEEEEvT0_T1_.uses_flat_scratch)
	.set _ZN2at6native39vectorized_templated_elementwise_kernelILi4EZZZNS0_12prelu_kernelERNS_14TensorIteratorEENKUlvE_clEvENKUlvE0_clEvEUlffE_St5arrayIPcLm3EE23TrivialOffsetCalculatorILi2EjESA_ILi1EjENS0_6memory12LoadWithCastILi2EEENSD_13StoreWithCastILi1EEEfJN3c108BFloat16EfEEEviT0_T1_T2_T3_T4_T5_.has_dyn_sized_stack, or(0, .L_ZN2at6native25elementwise_kernel_helperILb1EZZZNS0_12prelu_kernelERNS_14TensorIteratorEENKUlvE_clEvENKUlvE0_clEvEUlffE_NS0_6memory8policies11unroll_baseILi512ESt5arrayIPcLm3EE23TrivialOffsetCalculatorILi2EjESD_ILi1EjENS7_12LoadWithCastILi2EEENS7_13StoreWithCastILi1EEELi32ELi1EEEEEvT0_T1_.has_dyn_sized_stack)
	.set _ZN2at6native39vectorized_templated_elementwise_kernelILi4EZZZNS0_12prelu_kernelERNS_14TensorIteratorEENKUlvE_clEvENKUlvE0_clEvEUlffE_St5arrayIPcLm3EE23TrivialOffsetCalculatorILi2EjESA_ILi1EjENS0_6memory12LoadWithCastILi2EEENSD_13StoreWithCastILi1EEEfJN3c108BFloat16EfEEEviT0_T1_T2_T3_T4_T5_.has_recursion, or(0, .L_ZN2at6native25elementwise_kernel_helperILb1EZZZNS0_12prelu_kernelERNS_14TensorIteratorEENKUlvE_clEvENKUlvE0_clEvEUlffE_NS0_6memory8policies11unroll_baseILi512ESt5arrayIPcLm3EE23TrivialOffsetCalculatorILi2EjESD_ILi1EjENS7_12LoadWithCastILi2EEENS7_13StoreWithCastILi1EEELi32ELi1EEEEEvT0_T1_.has_recursion)
	.set _ZN2at6native39vectorized_templated_elementwise_kernelILi4EZZZNS0_12prelu_kernelERNS_14TensorIteratorEENKUlvE_clEvENKUlvE0_clEvEUlffE_St5arrayIPcLm3EE23TrivialOffsetCalculatorILi2EjESA_ILi1EjENS0_6memory12LoadWithCastILi2EEENSD_13StoreWithCastILi1EEEfJN3c108BFloat16EfEEEviT0_T1_T2_T3_T4_T5_.has_indirect_call, or(0, .L_ZN2at6native25elementwise_kernel_helperILb1EZZZNS0_12prelu_kernelERNS_14TensorIteratorEENKUlvE_clEvENKUlvE0_clEvEUlffE_NS0_6memory8policies11unroll_baseILi512ESt5arrayIPcLm3EE23TrivialOffsetCalculatorILi2EjESD_ILi1EjENS7_12LoadWithCastILi2EEENS7_13StoreWithCastILi1EEELi32ELi1EEEEEvT0_T1_.has_indirect_call)
	.section	.AMDGPU.csdata,"",@progbits
; Kernel info:
; codeLenInByte = 1224
; TotalNumSgprs: 98
; NumVgprs: 120
; ScratchSize: 272
; MemoryBound: 0
; FloatMode: 240
; IeeeMode: 1
; LDSByteSize: 0 bytes/workgroup (compile time only)
; SGPRBlocks: 0
; VGPRBlocks: 7
; NumSGPRsForWavesPerEU: 98
; NumVGPRsForWavesPerEU: 120
; NamedBarCnt: 0
; Occupancy: 8
; WaveLimiterHint : 1
; COMPUTE_PGM_RSRC2:SCRATCH_EN: 1
; COMPUTE_PGM_RSRC2:USER_SGPR: 2
; COMPUTE_PGM_RSRC2:TRAP_HANDLER: 0
; COMPUTE_PGM_RSRC2:TGID_X_EN: 1
; COMPUTE_PGM_RSRC2:TGID_Y_EN: 0
; COMPUTE_PGM_RSRC2:TGID_Z_EN: 0
; COMPUTE_PGM_RSRC2:TIDIG_COMP_CNT: 0
	.section	.text._ZN2at6native39vectorized_templated_elementwise_kernelILi2EZZZNS0_12prelu_kernelERNS_14TensorIteratorEENKUlvE_clEvENKUlvE0_clEvEUlffE_St5arrayIPcLm3EE23TrivialOffsetCalculatorILi2EjESA_ILi1EjENS0_6memory12LoadWithCastILi2EEENSD_13StoreWithCastILi1EEEfJN3c108BFloat16EfEEEviT0_T1_T2_T3_T4_T5_,"axG",@progbits,_ZN2at6native39vectorized_templated_elementwise_kernelILi2EZZZNS0_12prelu_kernelERNS_14TensorIteratorEENKUlvE_clEvENKUlvE0_clEvEUlffE_St5arrayIPcLm3EE23TrivialOffsetCalculatorILi2EjESA_ILi1EjENS0_6memory12LoadWithCastILi2EEENSD_13StoreWithCastILi1EEEfJN3c108BFloat16EfEEEviT0_T1_T2_T3_T4_T5_,comdat
	.globl	_ZN2at6native39vectorized_templated_elementwise_kernelILi2EZZZNS0_12prelu_kernelERNS_14TensorIteratorEENKUlvE_clEvENKUlvE0_clEvEUlffE_St5arrayIPcLm3EE23TrivialOffsetCalculatorILi2EjESA_ILi1EjENS0_6memory12LoadWithCastILi2EEENSD_13StoreWithCastILi1EEEfJN3c108BFloat16EfEEEviT0_T1_T2_T3_T4_T5_ ; -- Begin function _ZN2at6native39vectorized_templated_elementwise_kernelILi2EZZZNS0_12prelu_kernelERNS_14TensorIteratorEENKUlvE_clEvENKUlvE0_clEvEUlffE_St5arrayIPcLm3EE23TrivialOffsetCalculatorILi2EjESA_ILi1EjENS0_6memory12LoadWithCastILi2EEENSD_13StoreWithCastILi1EEEfJN3c108BFloat16EfEEEviT0_T1_T2_T3_T4_T5_
	.p2align	8
	.type	_ZN2at6native39vectorized_templated_elementwise_kernelILi2EZZZNS0_12prelu_kernelERNS_14TensorIteratorEENKUlvE_clEvENKUlvE0_clEvEUlffE_St5arrayIPcLm3EE23TrivialOffsetCalculatorILi2EjESA_ILi1EjENS0_6memory12LoadWithCastILi2EEENSD_13StoreWithCastILi1EEEfJN3c108BFloat16EfEEEviT0_T1_T2_T3_T4_T5_,@function
_ZN2at6native39vectorized_templated_elementwise_kernelILi2EZZZNS0_12prelu_kernelERNS_14TensorIteratorEENKUlvE_clEvENKUlvE0_clEvEUlffE_St5arrayIPcLm3EE23TrivialOffsetCalculatorILi2EjESA_ILi1EjENS0_6memory12LoadWithCastILi2EEENSD_13StoreWithCastILi1EEEfJN3c108BFloat16EfEEEviT0_T1_T2_T3_T4_T5_: ; @_ZN2at6native39vectorized_templated_elementwise_kernelILi2EZZZNS0_12prelu_kernelERNS_14TensorIteratorEENKUlvE_clEvENKUlvE0_clEvEUlffE_St5arrayIPcLm3EE23TrivialOffsetCalculatorILi2EjESA_ILi1EjENS0_6memory12LoadWithCastILi2EEENSD_13StoreWithCastILi1EEEfJN3c108BFloat16EfEEEviT0_T1_T2_T3_T4_T5_
; %bb.0:
	s_clause 0x2
	s_load_b32 s8, s[0:1], 0x38
	s_load_b32 s9, s[0:1], 0x0
	s_load_b64 s[2:3], s[0:1], 0x18
	s_bfe_u32 s10, ttmp6, 0x4000c
	s_load_b128 s[4:7], s[0:1], 0x8
	s_add_co_i32 s10, s10, 1
	s_and_b32 s11, ttmp6, 15
	s_mul_i32 s10, ttmp9, s10
	s_getreg_b32 s12, hwreg(HW_REG_IB_STS2, 6, 4)
	s_add_co_i32 s11, s11, s10
	s_cmp_eq_u32 s12, 0
	s_mov_b32 s32, 0
	s_cselect_b32 s10, ttmp9, s11
	s_delay_alu instid0(SALU_CYCLE_1) | instskip(SKIP_4) | instid1(SALU_CYCLE_1)
	s_not_b32 s10, s10
	s_wait_kmcnt 0x0
	s_add_co_i32 s8, s8, s10
	s_mov_b32 s10, -1
	s_lshl_b32 s8, s8, 14
	s_sub_co_i32 s14, s9, s8
	s_delay_alu instid0(SALU_CYCLE_1)
	s_cmp_gt_i32 s14, 0x3fff
	s_cbranch_scc1 .LBB20_3
; %bb.1:
	s_and_not1_b32 vcc_lo, exec_lo, s10
	s_cbranch_vccz .LBB20_4
.LBB20_2:
	s_sendmsg sendmsg(MSG_DEALLOC_VGPRS)
	s_endpgm
.LBB20_3:
	s_ashr_i32 s9, s8, 31
	s_delay_alu instid0(SALU_CYCLE_1)
	s_lshl_b64 s[10:11], s[8:9], 1
	s_lshl_b64 s[8:9], s[8:9], 2
	s_add_nc_u64 s[12:13], s[6:7], s[10:11]
	s_add_nc_u64 s[10:11], s[2:3], s[8:9]
	s_clause 0x1f
	global_load_b32 v1, v0, s[12:13] scale_offset
	global_load_b32 v36, v0, s[12:13] offset:2048 scale_offset
	global_load_b32 v38, v0, s[12:13] offset:4096 scale_offset
	;; [unrolled: 1-line block ×7, first 2 shown]
	global_load_b64 v[2:3], v0, s[10:11] scale_offset
	global_load_b32 v50, v0, s[12:13] offset:16384 scale_offset
	global_load_b32 v52, v0, s[12:13] offset:18432 scale_offset
	global_load_b64 v[4:5], v0, s[10:11] offset:4096 scale_offset
	global_load_b32 v54, v0, s[12:13] offset:20480 scale_offset
	global_load_b32 v55, v0, s[12:13] offset:22528 scale_offset
	global_load_b64 v[6:7], v0, s[10:11] offset:8192 scale_offset
	;; [unrolled: 3-line block ×4, first 2 shown]
	global_load_b64 v[12:13], v0, s[10:11] offset:20480 scale_offset
	; meta instruction
	global_load_b64 v[14:15], v0, s[10:11] offset:24576 scale_offset
	global_load_b64 v[16:17], v0, s[10:11] offset:28672 scale_offset
	;; [unrolled: 1-line block ×10, first 2 shown]
	s_add_nc_u64 s[8:9], s[4:5], s[8:9]
	s_wait_xcnt 0x0
	s_wait_loadcnt 0x18
	v_and_b32_e32 v49, 0xffff0000, v48
	v_lshlrev_b32_e32 v48, 16, v48
	s_wait_loadcnt 0x16
	v_and_b32_e32 v51, 0xffff0000, v50
	s_wait_loadcnt 0x13
	v_and_b32_e32 v53, 0xffff0000, v54
	s_wait_loadcnt 0x8
	v_pk_mul_f32 v[16:17], v[16:17], v[48:49]
	v_and_b32_e32 v35, 0xffff0000, v1
	v_lshlrev_b32_e32 v34, 16, v1
	v_and_b32_e32 v37, 0xffff0000, v36
	v_lshlrev_b32_e32 v36, 16, v36
	v_and_b32_e32 v39, 0xffff0000, v38
	v_cmp_lt_f32_e32 vcc_lo, 0, v35
	v_pk_mul_f32 v[2:3], v[2:3], v[34:35]
	v_lshlrev_b32_e32 v50, 16, v50
	v_pk_mul_f32 v[4:5], v[4:5], v[36:37]
	v_lshlrev_b32_e32 v38, 16, v38
	v_and_b32_e32 v41, 0xffff0000, v40
	v_cndmask_b32_e32 v3, v3, v35, vcc_lo
	v_cmp_lt_f32_e32 vcc_lo, 0, v34
	v_and_b32_e32 v35, 0xffff0000, v52
	v_lshlrev_b32_e32 v40, 16, v40
	v_pk_mul_f32 v[6:7], v[6:7], v[38:39]
	v_and_b32_e32 v43, 0xffff0000, v42
	v_dual_cndmask_b32 v2, v2, v34, vcc_lo :: v_dual_lshlrev_b32 v34, 16, v52
	v_cmp_lt_f32_e32 vcc_lo, 0, v37
	v_lshlrev_b32_e32 v52, 16, v54
	v_pk_mul_f32 v[8:9], v[8:9], v[40:41]
	v_lshlrev_b32_e32 v42, 16, v42
	v_and_b32_e32 v45, 0xffff0000, v44
	v_cndmask_b32_e32 v5, v5, v37, vcc_lo
	v_cmp_lt_f32_e32 vcc_lo, 0, v36
	v_and_b32_e32 v37, 0xffff0000, v55
	v_lshlrev_b32_e32 v44, 16, v44
	v_pk_mul_f32 v[10:11], v[10:11], v[42:43]
	v_and_b32_e32 v47, 0xffff0000, v46
	v_dual_cndmask_b32 v4, v4, v36, vcc_lo :: v_dual_lshlrev_b32 v36, 16, v55
	v_cmp_lt_f32_e32 vcc_lo, 0, v39
	v_lshlrev_b32_e32 v54, 16, v56
	v_and_b32_e32 v55, 0xffff0000, v56
	v_pk_mul_f32 v[12:13], v[12:13], v[44:45]
	v_dual_cndmask_b32 v7, v7, v39 :: v_dual_lshlrev_b32 v46, 16, v46
	v_cmp_lt_f32_e32 vcc_lo, 0, v38
	s_wait_loadcnt 0x7
	v_pk_mul_f32 v[18:19], v[18:19], v[50:51]
	s_wait_loadcnt 0x6
	v_pk_mul_f32 v[20:21], v[20:21], v[34:35]
	v_pk_mul_f32 v[14:15], v[14:15], v[46:47]
	s_wait_loadcnt 0x5
	v_pk_mul_f32 v[22:23], v[22:23], v[52:53]
	v_dual_cndmask_b32 v6, v6, v38, vcc_lo :: v_dual_lshlrev_b32 v38, 16, v57
	v_cmp_lt_f32_e32 vcc_lo, 0, v41
	v_lshlrev_b32_e32 v56, 16, v58
	s_wait_loadcnt 0x4
	v_pk_mul_f32 v[24:25], v[24:25], v[36:37]
	s_wait_loadcnt 0x3
	v_pk_mul_f32 v[26:27], v[26:27], v[54:55]
	v_and_b32_e32 v39, 0xffff0000, v57
	v_cndmask_b32_e32 v9, v9, v41, vcc_lo
	v_cmp_lt_f32_e32 vcc_lo, 0, v40
	v_and_b32_e32 v57, 0xffff0000, v58
	v_and_b32_e32 v41, 0xffff0000, v59
	s_wait_loadcnt 0x2
	v_pk_mul_f32 v[28:29], v[28:29], v[38:39]
	v_dual_cndmask_b32 v8, v8, v40, vcc_lo :: v_dual_lshlrev_b32 v40, 16, v59
	v_cmp_lt_f32_e32 vcc_lo, 0, v43
	s_wait_loadcnt 0x1
	v_pk_mul_f32 v[30:31], v[30:31], v[56:57]
	s_wait_loadcnt 0x0
	v_pk_mul_f32 v[32:33], v[32:33], v[40:41]
	v_cndmask_b32_e32 v11, v11, v43, vcc_lo
	v_cmp_lt_f32_e32 vcc_lo, 0, v42
	v_cndmask_b32_e32 v10, v10, v42, vcc_lo
	v_cmp_lt_f32_e32 vcc_lo, 0, v45
	;; [unrolled: 2-line block ×23, first 2 shown]
	v_cndmask_b32_e32 v32, v32, v40, vcc_lo
	s_clause 0xf
	global_store_b64 v0, v[2:3], s[8:9] scale_offset
	global_store_b64 v0, v[4:5], s[8:9] offset:4096 scale_offset
	global_store_b64 v0, v[6:7], s[8:9] offset:8192 scale_offset
	;; [unrolled: 1-line block ×15, first 2 shown]
	s_cbranch_execnz .LBB20_2
.LBB20_4:
	s_clause 0x1
	s_load_b32 s10, s[0:1], 0x24
	s_load_b128 s[16:19], s[0:1], 0x28
	v_dual_mov_b32 v31, v0 :: v_dual_mov_b32 v0, s4
	v_dual_mov_b32 v1, s5 :: v_dual_mov_b32 v2, s6
	;; [unrolled: 1-line block ×4, first 2 shown]
	s_add_nc_u64 s[8:9], s[0:1], 56
	s_wait_xcnt 0x0
	s_get_pc_i64 s[0:1]
	s_add_nc_u64 s[0:1], s[0:1], _ZN2at6native25elementwise_kernel_helperILb1EZZZNS0_12prelu_kernelERNS_14TensorIteratorEENKUlvE_clEvENKUlvE0_clEvEUlffE_NS0_6memory8policies11unroll_baseILi512ESt5arrayIPcLm3EE23TrivialOffsetCalculatorILi2EjESD_ILi1EjENS7_12LoadWithCastILi2EEENS7_13StoreWithCastILi1EEELi32ELi1EEEEEvT0_T1_@rel64+4
	s_wait_kmcnt 0x0
	s_bfe_u32 s11, s10, 0x80008
	v_dual_mov_b32 v7, s10 :: v_dual_mov_b32 v9, s16
	v_dual_mov_b32 v10, s17 :: v_dual_mov_b32 v11, s18
	;; [unrolled: 1-line block ×3, first 2 shown]
	s_swap_pc_i64 s[30:31], s[0:1]
	s_endpgm
	.section	.rodata,"a",@progbits
	.p2align	6, 0x0
	.amdhsa_kernel _ZN2at6native39vectorized_templated_elementwise_kernelILi2EZZZNS0_12prelu_kernelERNS_14TensorIteratorEENKUlvE_clEvENKUlvE0_clEvEUlffE_St5arrayIPcLm3EE23TrivialOffsetCalculatorILi2EjESA_ILi1EjENS0_6memory12LoadWithCastILi2EEENSD_13StoreWithCastILi1EEEfJN3c108BFloat16EfEEEviT0_T1_T2_T3_T4_T5_
		.amdhsa_group_segment_fixed_size 0
		.amdhsa_private_segment_fixed_size 272
		.amdhsa_kernarg_size 312
		.amdhsa_user_sgpr_count 2
		.amdhsa_user_sgpr_dispatch_ptr 0
		.amdhsa_user_sgpr_queue_ptr 0
		.amdhsa_user_sgpr_kernarg_segment_ptr 1
		.amdhsa_user_sgpr_dispatch_id 0
		.amdhsa_user_sgpr_kernarg_preload_length 0
		.amdhsa_user_sgpr_kernarg_preload_offset 0
		.amdhsa_user_sgpr_private_segment_size 0
		.amdhsa_wavefront_size32 1
		.amdhsa_uses_dynamic_stack 0
		.amdhsa_enable_private_segment 1
		.amdhsa_system_sgpr_workgroup_id_x 1
		.amdhsa_system_sgpr_workgroup_id_y 0
		.amdhsa_system_sgpr_workgroup_id_z 0
		.amdhsa_system_sgpr_workgroup_info 0
		.amdhsa_system_vgpr_workitem_id 0
		.amdhsa_next_free_vgpr 120
		.amdhsa_next_free_sgpr 96
		.amdhsa_named_barrier_count 0
		.amdhsa_reserve_vcc 1
		.amdhsa_float_round_mode_32 0
		.amdhsa_float_round_mode_16_64 0
		.amdhsa_float_denorm_mode_32 3
		.amdhsa_float_denorm_mode_16_64 3
		.amdhsa_fp16_overflow 0
		.amdhsa_memory_ordered 1
		.amdhsa_forward_progress 1
		.amdhsa_inst_pref_size 12
		.amdhsa_round_robin_scheduling 0
		.amdhsa_exception_fp_ieee_invalid_op 0
		.amdhsa_exception_fp_denorm_src 0
		.amdhsa_exception_fp_ieee_div_zero 0
		.amdhsa_exception_fp_ieee_overflow 0
		.amdhsa_exception_fp_ieee_underflow 0
		.amdhsa_exception_fp_ieee_inexact 0
		.amdhsa_exception_int_div_zero 0
	.end_amdhsa_kernel
	.section	.text._ZN2at6native39vectorized_templated_elementwise_kernelILi2EZZZNS0_12prelu_kernelERNS_14TensorIteratorEENKUlvE_clEvENKUlvE0_clEvEUlffE_St5arrayIPcLm3EE23TrivialOffsetCalculatorILi2EjESA_ILi1EjENS0_6memory12LoadWithCastILi2EEENSD_13StoreWithCastILi1EEEfJN3c108BFloat16EfEEEviT0_T1_T2_T3_T4_T5_,"axG",@progbits,_ZN2at6native39vectorized_templated_elementwise_kernelILi2EZZZNS0_12prelu_kernelERNS_14TensorIteratorEENKUlvE_clEvENKUlvE0_clEvEUlffE_St5arrayIPcLm3EE23TrivialOffsetCalculatorILi2EjESA_ILi1EjENS0_6memory12LoadWithCastILi2EEENSD_13StoreWithCastILi1EEEfJN3c108BFloat16EfEEEviT0_T1_T2_T3_T4_T5_,comdat
.Lfunc_end20:
	.size	_ZN2at6native39vectorized_templated_elementwise_kernelILi2EZZZNS0_12prelu_kernelERNS_14TensorIteratorEENKUlvE_clEvENKUlvE0_clEvEUlffE_St5arrayIPcLm3EE23TrivialOffsetCalculatorILi2EjESA_ILi1EjENS0_6memory12LoadWithCastILi2EEENSD_13StoreWithCastILi1EEEfJN3c108BFloat16EfEEEviT0_T1_T2_T3_T4_T5_, .Lfunc_end20-_ZN2at6native39vectorized_templated_elementwise_kernelILi2EZZZNS0_12prelu_kernelERNS_14TensorIteratorEENKUlvE_clEvENKUlvE0_clEvEUlffE_St5arrayIPcLm3EE23TrivialOffsetCalculatorILi2EjESA_ILi1EjENS0_6memory12LoadWithCastILi2EEENSD_13StoreWithCastILi1EEEfJN3c108BFloat16EfEEEviT0_T1_T2_T3_T4_T5_
                                        ; -- End function
	.set _ZN2at6native39vectorized_templated_elementwise_kernelILi2EZZZNS0_12prelu_kernelERNS_14TensorIteratorEENKUlvE_clEvENKUlvE0_clEvEUlffE_St5arrayIPcLm3EE23TrivialOffsetCalculatorILi2EjESA_ILi1EjENS0_6memory12LoadWithCastILi2EEENSD_13StoreWithCastILi1EEEfJN3c108BFloat16EfEEEviT0_T1_T2_T3_T4_T5_.num_vgpr, max(60, .L_ZN2at6native25elementwise_kernel_helperILb1EZZZNS0_12prelu_kernelERNS_14TensorIteratorEENKUlvE_clEvENKUlvE0_clEvEUlffE_NS0_6memory8policies11unroll_baseILi512ESt5arrayIPcLm3EE23TrivialOffsetCalculatorILi2EjESD_ILi1EjENS7_12LoadWithCastILi2EEENS7_13StoreWithCastILi1EEELi32ELi1EEEEEvT0_T1_.num_vgpr)
	.set _ZN2at6native39vectorized_templated_elementwise_kernelILi2EZZZNS0_12prelu_kernelERNS_14TensorIteratorEENKUlvE_clEvENKUlvE0_clEvEUlffE_St5arrayIPcLm3EE23TrivialOffsetCalculatorILi2EjESA_ILi1EjENS0_6memory12LoadWithCastILi2EEENSD_13StoreWithCastILi1EEEfJN3c108BFloat16EfEEEviT0_T1_T2_T3_T4_T5_.num_agpr, max(0, .L_ZN2at6native25elementwise_kernel_helperILb1EZZZNS0_12prelu_kernelERNS_14TensorIteratorEENKUlvE_clEvENKUlvE0_clEvEUlffE_NS0_6memory8policies11unroll_baseILi512ESt5arrayIPcLm3EE23TrivialOffsetCalculatorILi2EjESD_ILi1EjENS7_12LoadWithCastILi2EEENS7_13StoreWithCastILi1EEELi32ELi1EEEEEvT0_T1_.num_agpr)
	.set _ZN2at6native39vectorized_templated_elementwise_kernelILi2EZZZNS0_12prelu_kernelERNS_14TensorIteratorEENKUlvE_clEvENKUlvE0_clEvEUlffE_St5arrayIPcLm3EE23TrivialOffsetCalculatorILi2EjESA_ILi1EjENS0_6memory12LoadWithCastILi2EEENSD_13StoreWithCastILi1EEEfJN3c108BFloat16EfEEEviT0_T1_T2_T3_T4_T5_.numbered_sgpr, max(33, .L_ZN2at6native25elementwise_kernel_helperILb1EZZZNS0_12prelu_kernelERNS_14TensorIteratorEENKUlvE_clEvENKUlvE0_clEvEUlffE_NS0_6memory8policies11unroll_baseILi512ESt5arrayIPcLm3EE23TrivialOffsetCalculatorILi2EjESD_ILi1EjENS7_12LoadWithCastILi2EEENS7_13StoreWithCastILi1EEELi32ELi1EEEEEvT0_T1_.numbered_sgpr)
	.set _ZN2at6native39vectorized_templated_elementwise_kernelILi2EZZZNS0_12prelu_kernelERNS_14TensorIteratorEENKUlvE_clEvENKUlvE0_clEvEUlffE_St5arrayIPcLm3EE23TrivialOffsetCalculatorILi2EjESA_ILi1EjENS0_6memory12LoadWithCastILi2EEENSD_13StoreWithCastILi1EEEfJN3c108BFloat16EfEEEviT0_T1_T2_T3_T4_T5_.num_named_barrier, max(0, .L_ZN2at6native25elementwise_kernel_helperILb1EZZZNS0_12prelu_kernelERNS_14TensorIteratorEENKUlvE_clEvENKUlvE0_clEvEUlffE_NS0_6memory8policies11unroll_baseILi512ESt5arrayIPcLm3EE23TrivialOffsetCalculatorILi2EjESD_ILi1EjENS7_12LoadWithCastILi2EEENS7_13StoreWithCastILi1EEELi32ELi1EEEEEvT0_T1_.num_named_barrier)
	.set _ZN2at6native39vectorized_templated_elementwise_kernelILi2EZZZNS0_12prelu_kernelERNS_14TensorIteratorEENKUlvE_clEvENKUlvE0_clEvEUlffE_St5arrayIPcLm3EE23TrivialOffsetCalculatorILi2EjESA_ILi1EjENS0_6memory12LoadWithCastILi2EEENSD_13StoreWithCastILi1EEEfJN3c108BFloat16EfEEEviT0_T1_T2_T3_T4_T5_.private_seg_size, 0+max(.L_ZN2at6native25elementwise_kernel_helperILb1EZZZNS0_12prelu_kernelERNS_14TensorIteratorEENKUlvE_clEvENKUlvE0_clEvEUlffE_NS0_6memory8policies11unroll_baseILi512ESt5arrayIPcLm3EE23TrivialOffsetCalculatorILi2EjESD_ILi1EjENS7_12LoadWithCastILi2EEENS7_13StoreWithCastILi1EEELi32ELi1EEEEEvT0_T1_.private_seg_size)
	.set _ZN2at6native39vectorized_templated_elementwise_kernelILi2EZZZNS0_12prelu_kernelERNS_14TensorIteratorEENKUlvE_clEvENKUlvE0_clEvEUlffE_St5arrayIPcLm3EE23TrivialOffsetCalculatorILi2EjESA_ILi1EjENS0_6memory12LoadWithCastILi2EEENSD_13StoreWithCastILi1EEEfJN3c108BFloat16EfEEEviT0_T1_T2_T3_T4_T5_.uses_vcc, or(1, .L_ZN2at6native25elementwise_kernel_helperILb1EZZZNS0_12prelu_kernelERNS_14TensorIteratorEENKUlvE_clEvENKUlvE0_clEvEUlffE_NS0_6memory8policies11unroll_baseILi512ESt5arrayIPcLm3EE23TrivialOffsetCalculatorILi2EjESD_ILi1EjENS7_12LoadWithCastILi2EEENS7_13StoreWithCastILi1EEELi32ELi1EEEEEvT0_T1_.uses_vcc)
	.set _ZN2at6native39vectorized_templated_elementwise_kernelILi2EZZZNS0_12prelu_kernelERNS_14TensorIteratorEENKUlvE_clEvENKUlvE0_clEvEUlffE_St5arrayIPcLm3EE23TrivialOffsetCalculatorILi2EjESA_ILi1EjENS0_6memory12LoadWithCastILi2EEENSD_13StoreWithCastILi1EEEfJN3c108BFloat16EfEEEviT0_T1_T2_T3_T4_T5_.uses_flat_scratch, or(0, .L_ZN2at6native25elementwise_kernel_helperILb1EZZZNS0_12prelu_kernelERNS_14TensorIteratorEENKUlvE_clEvENKUlvE0_clEvEUlffE_NS0_6memory8policies11unroll_baseILi512ESt5arrayIPcLm3EE23TrivialOffsetCalculatorILi2EjESD_ILi1EjENS7_12LoadWithCastILi2EEENS7_13StoreWithCastILi1EEELi32ELi1EEEEEvT0_T1_.uses_flat_scratch)
	.set _ZN2at6native39vectorized_templated_elementwise_kernelILi2EZZZNS0_12prelu_kernelERNS_14TensorIteratorEENKUlvE_clEvENKUlvE0_clEvEUlffE_St5arrayIPcLm3EE23TrivialOffsetCalculatorILi2EjESA_ILi1EjENS0_6memory12LoadWithCastILi2EEENSD_13StoreWithCastILi1EEEfJN3c108BFloat16EfEEEviT0_T1_T2_T3_T4_T5_.has_dyn_sized_stack, or(0, .L_ZN2at6native25elementwise_kernel_helperILb1EZZZNS0_12prelu_kernelERNS_14TensorIteratorEENKUlvE_clEvENKUlvE0_clEvEUlffE_NS0_6memory8policies11unroll_baseILi512ESt5arrayIPcLm3EE23TrivialOffsetCalculatorILi2EjESD_ILi1EjENS7_12LoadWithCastILi2EEENS7_13StoreWithCastILi1EEELi32ELi1EEEEEvT0_T1_.has_dyn_sized_stack)
	.set _ZN2at6native39vectorized_templated_elementwise_kernelILi2EZZZNS0_12prelu_kernelERNS_14TensorIteratorEENKUlvE_clEvENKUlvE0_clEvEUlffE_St5arrayIPcLm3EE23TrivialOffsetCalculatorILi2EjESA_ILi1EjENS0_6memory12LoadWithCastILi2EEENSD_13StoreWithCastILi1EEEfJN3c108BFloat16EfEEEviT0_T1_T2_T3_T4_T5_.has_recursion, or(0, .L_ZN2at6native25elementwise_kernel_helperILb1EZZZNS0_12prelu_kernelERNS_14TensorIteratorEENKUlvE_clEvENKUlvE0_clEvEUlffE_NS0_6memory8policies11unroll_baseILi512ESt5arrayIPcLm3EE23TrivialOffsetCalculatorILi2EjESD_ILi1EjENS7_12LoadWithCastILi2EEENS7_13StoreWithCastILi1EEELi32ELi1EEEEEvT0_T1_.has_recursion)
	.set _ZN2at6native39vectorized_templated_elementwise_kernelILi2EZZZNS0_12prelu_kernelERNS_14TensorIteratorEENKUlvE_clEvENKUlvE0_clEvEUlffE_St5arrayIPcLm3EE23TrivialOffsetCalculatorILi2EjESA_ILi1EjENS0_6memory12LoadWithCastILi2EEENSD_13StoreWithCastILi1EEEfJN3c108BFloat16EfEEEviT0_T1_T2_T3_T4_T5_.has_indirect_call, or(0, .L_ZN2at6native25elementwise_kernel_helperILb1EZZZNS0_12prelu_kernelERNS_14TensorIteratorEENKUlvE_clEvENKUlvE0_clEvEUlffE_NS0_6memory8policies11unroll_baseILi512ESt5arrayIPcLm3EE23TrivialOffsetCalculatorILi2EjESD_ILi1EjENS7_12LoadWithCastILi2EEENS7_13StoreWithCastILi1EEELi32ELi1EEEEEvT0_T1_.has_indirect_call)
	.section	.AMDGPU.csdata,"",@progbits
; Kernel info:
; codeLenInByte = 1524
; TotalNumSgprs: 98
; NumVgprs: 120
; ScratchSize: 272
; MemoryBound: 0
; FloatMode: 240
; IeeeMode: 1
; LDSByteSize: 0 bytes/workgroup (compile time only)
; SGPRBlocks: 0
; VGPRBlocks: 7
; NumSGPRsForWavesPerEU: 98
; NumVGPRsForWavesPerEU: 120
; NamedBarCnt: 0
; Occupancy: 8
; WaveLimiterHint : 1
; COMPUTE_PGM_RSRC2:SCRATCH_EN: 1
; COMPUTE_PGM_RSRC2:USER_SGPR: 2
; COMPUTE_PGM_RSRC2:TRAP_HANDLER: 0
; COMPUTE_PGM_RSRC2:TGID_X_EN: 1
; COMPUTE_PGM_RSRC2:TGID_Y_EN: 0
; COMPUTE_PGM_RSRC2:TGID_Z_EN: 0
; COMPUTE_PGM_RSRC2:TIDIG_COMP_CNT: 0
	.section	.text._ZN2at6native39vectorized_templated_elementwise_kernelILi8EZZZNS0_12prelu_kernelERNS_14TensorIteratorEENKUlvE_clEvENKUlvE0_clEvEUlffE_St5arrayIPcLm3EE23TrivialOffsetCalculatorILi2EjESA_ILi1EjENS0_6memory12LoadWithCastILi2EEENSD_13StoreWithCastILi1EEEN3c108BFloat16EJSJ_fEEEviT0_T1_T2_T3_T4_T5_,"axG",@progbits,_ZN2at6native39vectorized_templated_elementwise_kernelILi8EZZZNS0_12prelu_kernelERNS_14TensorIteratorEENKUlvE_clEvENKUlvE0_clEvEUlffE_St5arrayIPcLm3EE23TrivialOffsetCalculatorILi2EjESA_ILi1EjENS0_6memory12LoadWithCastILi2EEENSD_13StoreWithCastILi1EEEN3c108BFloat16EJSJ_fEEEviT0_T1_T2_T3_T4_T5_,comdat
	.globl	_ZN2at6native39vectorized_templated_elementwise_kernelILi8EZZZNS0_12prelu_kernelERNS_14TensorIteratorEENKUlvE_clEvENKUlvE0_clEvEUlffE_St5arrayIPcLm3EE23TrivialOffsetCalculatorILi2EjESA_ILi1EjENS0_6memory12LoadWithCastILi2EEENSD_13StoreWithCastILi1EEEN3c108BFloat16EJSJ_fEEEviT0_T1_T2_T3_T4_T5_ ; -- Begin function _ZN2at6native39vectorized_templated_elementwise_kernelILi8EZZZNS0_12prelu_kernelERNS_14TensorIteratorEENKUlvE_clEvENKUlvE0_clEvEUlffE_St5arrayIPcLm3EE23TrivialOffsetCalculatorILi2EjESA_ILi1EjENS0_6memory12LoadWithCastILi2EEENSD_13StoreWithCastILi1EEEN3c108BFloat16EJSJ_fEEEviT0_T1_T2_T3_T4_T5_
	.p2align	8
	.type	_ZN2at6native39vectorized_templated_elementwise_kernelILi8EZZZNS0_12prelu_kernelERNS_14TensorIteratorEENKUlvE_clEvENKUlvE0_clEvEUlffE_St5arrayIPcLm3EE23TrivialOffsetCalculatorILi2EjESA_ILi1EjENS0_6memory12LoadWithCastILi2EEENSD_13StoreWithCastILi1EEEN3c108BFloat16EJSJ_fEEEviT0_T1_T2_T3_T4_T5_,@function
_ZN2at6native39vectorized_templated_elementwise_kernelILi8EZZZNS0_12prelu_kernelERNS_14TensorIteratorEENKUlvE_clEvENKUlvE0_clEvEUlffE_St5arrayIPcLm3EE23TrivialOffsetCalculatorILi2EjESA_ILi1EjENS0_6memory12LoadWithCastILi2EEENSD_13StoreWithCastILi1EEEN3c108BFloat16EJSJ_fEEEviT0_T1_T2_T3_T4_T5_: ; @_ZN2at6native39vectorized_templated_elementwise_kernelILi8EZZZNS0_12prelu_kernelERNS_14TensorIteratorEENKUlvE_clEvENKUlvE0_clEvEUlffE_St5arrayIPcLm3EE23TrivialOffsetCalculatorILi2EjESA_ILi1EjENS0_6memory12LoadWithCastILi2EEENSD_13StoreWithCastILi1EEEN3c108BFloat16EJSJ_fEEEviT0_T1_T2_T3_T4_T5_
; %bb.0:
	s_clause 0x2
	s_load_b32 s2, s[0:1], 0x38
	s_load_b32 s3, s[0:1], 0x0
	s_load_b64 s[30:31], s[0:1], 0x18
	s_bfe_u32 s4, ttmp6, 0x4000c
	s_load_b128 s[36:39], s[0:1], 0x8
	s_add_co_i32 s4, s4, 1
	s_and_b32 s5, ttmp6, 15
	s_mul_i32 s4, ttmp9, s4
	s_getreg_b32 s6, hwreg(HW_REG_IB_STS2, 6, 4)
	s_add_co_i32 s5, s5, s4
	s_cmp_eq_u32 s6, 0
	s_mov_b32 s32, 0
	s_cselect_b32 s4, ttmp9, s5
	s_delay_alu instid0(SALU_CYCLE_1) | instskip(SKIP_2) | instid1(SALU_CYCLE_1)
	s_not_b32 s4, s4
	s_wait_kmcnt 0x0
	s_add_co_i32 s2, s2, s4
	s_lshl_b32 s4, s2, 14
	s_mov_b32 s2, -1
	s_sub_co_i32 s29, s3, s4
	s_delay_alu instid0(SALU_CYCLE_1)
	s_cmp_gt_i32 s29, 0x3fff
	s_cbranch_scc1 .LBB21_3
; %bb.1:
	s_and_not1_b32 vcc_lo, exec_lo, s2
	s_cbranch_vccz .LBB21_4
.LBB21_2:
	s_sendmsg sendmsg(MSG_DEALLOC_VGPRS)
	s_endpgm
.LBB21_3:
	s_ashr_i32 s5, s4, 31
	s_delay_alu instid0(SALU_CYCLE_1)
	s_lshl_b64 s[34:35], s[4:5], 1
	s_lshl_b64 s[4:5], s[4:5], 2
	s_add_nc_u64 s[2:3], s[38:39], s[34:35]
	s_add_nc_u64 s[40:41], s[30:31], s[4:5]
	global_load_b128 v[10:13], v0, s[2:3] scale_offset
	s_wait_loadcnt 0x0
	v_dual_lshlrev_b32 v1, 5, v0 :: v_dual_lshlrev_b32 v42, 16, v10
	global_load_b128 v[6:9], v1, s[40:41] offset:16
	s_clause 0x1
	global_load_b128 v[14:17], v0, s[2:3] offset:8192 scale_offset
	global_load_b128 v[22:25], v0, s[2:3] offset:16384 scale_offset
	s_clause 0x4
	global_load_b128 v[26:29], v1, s[40:41] offset:16384
	global_load_b128 v[30:33], v1, s[40:41] offset:16400
	;; [unrolled: 1-line block ×4, first 2 shown]
	global_load_b128 v[18:21], v1, s[40:41]
	global_load_b128 v[2:5], v0, s[2:3] offset:24576 scale_offset
	v_and_b32_e32 v43, 0xffff0000, v10
	v_and_b32_e32 v45, 0xffff0000, v11
	v_dual_lshlrev_b32 v44, 16, v11 :: v_dual_lshlrev_b32 v10, 16, v12
	v_and_b32_e32 v11, 0xffff0000, v12
	v_and_b32_e32 v47, 0xffff0000, v13
	v_lshlrev_b32_e32 v46, 16, v13
	s_wait_loadcnt 0x8
	v_bfe_u32 v56, v6, 16, 1
	v_bfe_u32 v57, v7, 16, 1
	s_wait_xcnt 0x0
	v_cmp_o_f32_e64 s3, v7, v7
	v_cmp_o_f32_e64 s4, v6, v6
	s_wait_loadcnt 0x7
	v_and_b32_e32 v13, 0xffff0000, v14
	v_add3_u32 v56, v6, v56, 0x7fff
	v_add3_u32 v57, v7, v57, 0x7fff
	s_wait_loadcnt 0x5
	v_bfe_u32 v6, v28, 16, 1
	v_bfe_u32 v7, v29, 16, 1
	v_lshlrev_b32_e32 v12, 16, v14
	v_and_b32_e32 v49, 0xffff0000, v15
	v_dual_lshlrev_b32 v48, 16, v15 :: v_dual_lshlrev_b32 v14, 16, v16
	v_add3_u32 v6, v28, v6, 0x7fff
	v_add3_u32 v7, v29, v7, 0x7fff
	v_and_b32_e32 v15, 0xffff0000, v16
	v_and_b32_e32 v51, 0xffff0000, v17
	v_dual_lshlrev_b32 v50, 16, v17 :: v_dual_lshlrev_b32 v16, 16, v22
	v_and_b32_e32 v61, 0xffff0000, v6
	v_and_b32_e32 v62, 0xffff0000, v7
	s_wait_loadcnt 0x4
	v_bfe_u32 v6, v32, 16, 1
	v_bfe_u32 v7, v33, 16, 1
	v_and_b32_e32 v17, 0xffff0000, v22
	v_and_b32_e32 v53, 0xffff0000, v23
	v_dual_lshlrev_b32 v52, 16, v23 :: v_dual_lshlrev_b32 v22, 16, v24
	v_and_b32_e32 v23, 0xffff0000, v24
	v_and_b32_e32 v55, 0xffff0000, v25
	v_lshlrev_b32_e32 v54, 16, v25
	v_bfe_u32 v24, v8, 16, 1
	v_bfe_u32 v25, v9, 16, 1
	;; [unrolled: 1-line block ×4, first 2 shown]
	v_add3_u32 v6, v32, v6, 0x7fff
	v_add3_u32 v7, v33, v7, 0x7fff
	;; [unrolled: 1-line block ×4, first 2 shown]
	v_cmp_o_f32_e32 vcc_lo, v9, v9
	v_cmp_o_f32_e64 s2, v8, v8
	v_bfe_u32 v8, v30, 16, 1
	v_add3_u32 v9, v26, v58, 0x7fff
	v_add3_u32 v58, v27, v59, 0x7fff
	v_bfe_u32 v59, v31, 16, 1
	v_cmp_o_f32_e64 s5, v29, v29
	v_cmp_o_f32_e64 s6, v28, v28
	v_and_b32_e32 v28, 0xffff0000, v6
	v_and_b32_e32 v29, 0xffff0000, v7
	s_wait_loadcnt 0x3
	v_bfe_u32 v6, v36, 16, 1
	v_bfe_u32 v7, v37, 16, 1
	v_and_b32_e32 v60, 0xffff0000, v9
	v_cmp_o_f32_e64 s7, v27, v27
	v_cmp_o_f32_e64 s8, v26, v26
	v_bfe_u32 v9, v34, 16, 1
	v_add3_u32 v8, v30, v8, 0x7fff
	v_add3_u32 v26, v31, v59, 0x7fff
	v_bfe_u32 v27, v35, 16, 1
	v_add3_u32 v6, v36, v6, 0x7fff
	v_add3_u32 v7, v37, v7, 0x7fff
	v_and_b32_e32 v59, 0xffff0000, v8
	v_and_b32_e32 v63, 0xffff0000, v26
	v_cmp_o_f32_e64 s9, v33, v33
	v_cmp_o_f32_e64 s10, v32, v32
	s_wait_loadcnt 0x2
	v_bfe_u32 v8, v38, 16, 1
	v_add3_u32 v9, v34, v9, 0x7fff
	v_add3_u32 v26, v35, v27, 0x7fff
	v_bfe_u32 v27, v39, 16, 1
	v_and_b32_e32 v32, 0xffff0000, v6
	v_and_b32_e32 v33, 0xffff0000, v7
	v_bfe_u32 v6, v40, 16, 1
	v_bfe_u32 v7, v41, 16, 1
	v_and_b32_e32 v64, 0xffff0000, v9
	v_add3_u32 v8, v38, v8, 0x7fff
	v_add3_u32 v9, v39, v27, 0x7fff
	;; [unrolled: 1-line block ×4, first 2 shown]
	v_cmp_o_f32_e64 s13, v37, v37
	v_cmp_o_f32_e64 s14, v36, v36
	v_and_b32_e32 v66, 0xffff0000, v8
	v_and_b32_e32 v67, 0xffff0000, v9
	;; [unrolled: 1-line block ×4, first 2 shown]
	global_load_b128 v[6:9], v1, s[40:41] offset:49152
	v_cmp_o_f32_e64 s11, v31, v31
	v_cmp_o_f32_e64 s12, v30, v30
	v_and_b32_e32 v65, 0xffff0000, v26
	s_wait_loadcnt 0x2
	v_cmp_o_f32_e64 s25, v20, v20
	v_cmp_o_f32_e64 s28, v21, v21
	;; [unrolled: 1-line block ×5, first 2 shown]
	v_and_b32_e32 v25, 0xffff0000, v25
	v_and_b32_e32 v24, 0xffff0000, v24
	;; [unrolled: 1-line block ×5, first 2 shown]
	v_cndmask_b32_e64 v29, 0x7fc00000, v29, s9
	v_cndmask_b32_e64 v28, 0x7fc00000, v28, s10
	v_cmp_o_f32_e64 s17, v41, v41
	v_cndmask_b32_e64 v33, 0x7fc00000, v33, s13
	v_cndmask_b32_e64 v32, 0x7fc00000, v32, s14
	v_cmp_o_f32_e64 s15, v35, v35
	v_pk_mul_f32 v[28:29], v[28:29], v[50:51]
	v_cmp_o_f32_e64 s16, v34, v34
	v_cndmask_b32_e64 v37, 0x7fc00000, v37, s17
	v_pk_mul_f32 v[32:33], v[32:33], v[52:53]
	v_cndmask_b32_e64 v35, 0x7fc00000, v65, s15
	v_cndmask_b32_e64 v36, 0x7fc00000, v36, s18
	;; [unrolled: 1-line block ×3, first 2 shown]
	v_cmp_o_f32_e64 s19, v39, v39
	v_cmp_o_f32_e64 s20, v38, v38
	s_delay_alu instid0(VALU_DEP_3) | instskip(NEXT) | instid1(VALU_DEP_3)
	v_pk_mul_f32 v[34:35], v[34:35], v[16:17]
	v_cndmask_b32_e64 v39, 0x7fc00000, v67, s19
	s_delay_alu instid0(VALU_DEP_3) | instskip(NEXT) | instid1(VALU_DEP_1)
	v_cndmask_b32_e64 v38, 0x7fc00000, v66, s20
	v_pk_mul_f32 v[38:39], v[38:39], v[22:23]
	s_wait_loadcnt 0x0
	v_bfe_u32 v27, v7, 16, 1
	v_bfe_u32 v30, v6, 16, 1
	;; [unrolled: 1-line block ×4, first 2 shown]
	v_cmp_o_f32_e64 s21, v9, v9
	v_add3_u32 v27, v7, v27, 0x7fff
	v_add3_u32 v30, v6, v30, 0x7fff
	;; [unrolled: 1-line block ×3, first 2 shown]
	v_cmp_o_f32_e64 s23, v7, v7
	v_cmp_o_f32_e64 s24, v6, v6
	v_bfe_u32 v6, v20, 16, 1
	v_bfe_u32 v7, v19, 16, 1
	;; [unrolled: 1-line block ×3, first 2 shown]
	v_add3_u32 v26, v8, v26, 0x7fff
	v_cmp_o_f32_e64 s22, v8, v8
	v_add3_u32 v6, v20, v6, 0x7fff
	v_add3_u32 v7, v19, v7, 0x7fff
	v_bfe_u32 v8, v18, 16, 1
	v_add3_u32 v9, v21, v9, 0x7fff
	v_and_b32_e32 v69, 0xffff0000, v27
	v_and_b32_e32 v6, 0xffff0000, v6
	;; [unrolled: 1-line block ×3, first 2 shown]
	v_add3_u32 v8, v18, v8, 0x7fff
	v_and_b32_e32 v7, 0xffff0000, v9
	v_and_b32_e32 v40, 0xffff0000, v26
	v_cndmask_b32_e64 v6, 0x7fc00000, v6, s25
	v_cmp_lt_f32_e64 s25, 0, v45
	v_and_b32_e32 v26, 0xffff0000, v8
	v_cndmask_b32_e64 v7, 0x7fc00000, v7, s28
	v_cndmask_b32_e64 v19, 0x7fc00000, v27, s26
	v_cndmask_b32_e32 v21, 0x7fc00000, v25, vcc_lo
	v_cmp_lt_f32_e32 vcc_lo, 0, v43
	v_cndmask_b32_e64 v18, 0x7fc00000, v26, s27
	v_pk_mul_f32 v[6:7], v[6:7], v[44:45]
	v_cndmask_b32_e64 v20, 0x7fc00000, v24, s2
	v_cndmask_b32_e64 v25, 0x7fc00000, v62, s5
	;; [unrolled: 1-line block ×3, first 2 shown]
	v_pk_mul_f32 v[18:19], v[18:19], v[42:43]
	v_cndmask_b32_e64 v45, v7, v45, s25
	v_cmp_lt_f32_e64 s25, 0, v44
	v_cndmask_b32_e64 v27, 0x7fc00000, v58, s7
	v_pk_mul_f32 v[24:25], v[24:25], v[48:49]
	v_cndmask_b32_e64 v26, 0x7fc00000, v60, s8
	v_and_b32_e32 v68, 0xffff0000, v30
	v_cndmask_b32_e64 v44, v6, v44, s25
	global_load_b128 v[6:9], v1, s[40:41] offset:49168
	s_wait_xcnt 0x0
	v_cndmask_b32_e32 v1, v19, v43, vcc_lo
	v_cmp_lt_f32_e32 vcc_lo, 0, v42
	v_and_b32_e32 v19, 0xffff0000, v2
	v_pk_mul_f32 v[26:27], v[26:27], v[12:13]
	v_and_b32_e32 v41, 0xffff0000, v31
	v_cndmask_b32_e64 v31, 0x7fc00000, v63, s11
	v_cndmask_b32_e32 v70, v18, v42, vcc_lo
	v_lshlrev_b32_e32 v18, 16, v2
	v_pk_mul_f32 v[20:21], v[20:21], v[46:47]
	v_cmp_lt_f32_e32 vcc_lo, 0, v47
	v_cndmask_b32_e64 v2, 0x7fc00000, v56, s4
	v_cndmask_b32_e64 v30, 0x7fc00000, v59, s12
	v_pk_mul_f32 v[36:37], v[36:37], v[54:55]
	v_cndmask_b32_e64 v41, 0x7fc00000, v41, s21
	v_cndmask_b32_e32 v47, v21, v47, vcc_lo
	v_cmp_lt_f32_e32 vcc_lo, 0, v46
	v_and_b32_e32 v21, 0xffff0000, v3
	v_pk_mul_f32 v[30:31], v[30:31], v[14:15]
	v_cndmask_b32_e64 v40, 0x7fc00000, v40, s22
	v_cndmask_b32_e64 v43, 0x7fc00000, v69, s23
	v_dual_cndmask_b32 v46, v20, v46, vcc_lo :: v_dual_lshlrev_b32 v20, 16, v3
	v_cndmask_b32_e64 v3, 0x7fc00000, v57, s3
	v_cmp_lt_f32_e32 vcc_lo, 0, v11
	v_cndmask_b32_e64 v42, 0x7fc00000, v68, s24
	v_cmp_o_f32_e64 s4, v45, v45
	v_cmp_o_f32_e64 s2, v1, v1
	v_pk_mul_f32 v[2:3], v[2:3], v[10:11]
	v_cmp_o_f32_e64 s3, v44, v44
	v_pk_mul_f32 v[42:43], v[42:43], v[18:19]
	s_add_nc_u64 s[26:27], s[36:37], s[34:35]
	v_cndmask_b32_e32 v3, v3, v11, vcc_lo
	v_cmp_lt_f32_e32 vcc_lo, 0, v10
	v_cndmask_b32_e32 v2, v2, v10, vcc_lo
	v_cmp_lt_f32_e32 vcc_lo, 0, v49
	;; [unrolled: 2-line block ×3, first 2 shown]
	v_pk_mul_f32 v[40:41], v[40:41], v[20:21]
	v_cndmask_b32_e32 v11, v24, v48, vcc_lo
	v_cmp_lt_f32_e32 vcc_lo, 0, v13
	v_cndmask_b32_e32 v13, v27, v13, vcc_lo
	v_cmp_lt_f32_e32 vcc_lo, 0, v12
	;; [unrolled: 2-line block ×5, first 2 shown]
	s_delay_alu instid0(VALU_DEP_4) | instskip(NEXT) | instid1(VALU_DEP_3)
	v_bfe_u32 v50, v24, 16, 1
	v_bfe_u32 v49, v25, 16, 1
	v_cndmask_b32_e32 v15, v31, v15, vcc_lo
	v_cmp_lt_f32_e32 vcc_lo, 0, v14
	v_bfe_u32 v31, v1, 16, 1
	v_add3_u32 v50, v24, v50, 0x7fff
	v_add3_u32 v49, v25, v49, 0x7fff
	v_cndmask_b32_e32 v14, v30, v14, vcc_lo
	v_cmp_lt_f32_e32 vcc_lo, 0, v53
	v_bfe_u32 v30, v70, 16, 1
	v_add3_u32 v31, v1, v31, 0x7fff
	v_bfe_u32 v48, v15, 16, 1
	v_lshrrev_b32_e32 v49, 16, v49
	v_cndmask_b32_e32 v26, v33, v53, vcc_lo
	v_cmp_lt_f32_e32 vcc_lo, 0, v52
	v_bfe_u32 v33, v45, 16, 1
	v_add3_u32 v30, v70, v30, 0x7fff
	v_lshrrev_b32_e32 v31, 16, v31
	v_add3_u32 v48, v15, v48, 0x7fff
	v_cndmask_b32_e32 v27, v32, v52, vcc_lo
	v_cmp_lt_f32_e32 vcc_lo, 0, v17
	v_bfe_u32 v32, v44, 16, 1
	v_add3_u32 v33, v45, v33, 0x7fff
	v_lshrrev_b32_e32 v48, 16, v48
	v_bfe_u32 v53, v27, 16, 1
	v_cndmask_b32_e32 v17, v35, v17, vcc_lo
	v_cmp_lt_f32_e32 vcc_lo, 0, v16
	v_bfe_u32 v35, v3, 16, 1
	v_add3_u32 v32, v44, v32, 0x7fff
	v_lshrrev_b32_e32 v30, 16, v30
	v_add3_u32 v53, v27, v53, 0x7fff
	v_cndmask_b32_e32 v16, v34, v16, vcc_lo
	v_cmp_lt_f32_e32 vcc_lo, 0, v55
	v_bfe_u32 v34, v2, 16, 1
	v_lshrrev_b32_e32 v32, 16, v32
	v_add3_u32 v35, v3, v35, 0x7fff
	v_bfe_u32 v51, v16, 16, 1
	v_cndmask_b32_e32 v28, v37, v55, vcc_lo
	v_cmp_lt_f32_e32 vcc_lo, 0, v54
	v_add3_u32 v34, v2, v34, 0x7fff
	v_lshrrev_b32_e32 v33, 16, v33
	v_bfe_u32 v37, v47, 16, 1
	v_bfe_u32 v52, v17, 16, 1
	v_cndmask_b32_e32 v29, v36, v54, vcc_lo
	v_cmp_lt_f32_e32 vcc_lo, 0, v23
	v_bfe_u32 v45, v28, 16, 1
	v_bfe_u32 v36, v46, 16, 1
	v_lshrrev_b32_e32 v34, 16, v34
	v_add3_u32 v37, v47, v37, 0x7fff
	v_cndmask_b32_e32 v23, v39, v23, vcc_lo
	v_cmp_lt_f32_e32 vcc_lo, 0, v22
	v_add3_u32 v45, v28, v45, 0x7fff
	v_add3_u32 v36, v46, v36, 0x7fff
	v_lshrrev_b32_e32 v35, 16, v35
	v_bfe_u32 v39, v13, 16, 1
	v_cndmask_b32_e32 v22, v38, v22, vcc_lo
	v_cmp_lt_f32_e32 vcc_lo, 0, v20
	v_bfe_u32 v38, v12, 16, 1
	v_lshrrev_b32_e32 v36, 16, v36
	v_add3_u32 v39, v13, v39, 0x7fff
	v_add3_u32 v51, v16, v51, 0x7fff
	v_cndmask_b32_e32 v20, v40, v20, vcc_lo
	v_cmp_lt_f32_e32 vcc_lo, 0, v19
	v_add3_u32 v38, v12, v38, 0x7fff
	v_lshrrev_b32_e32 v37, 16, v37
	v_bfe_u32 v40, v11, 16, 1
	v_dual_lshrrev_b32 v50, 16, v50 :: v_dual_lshrrev_b32 v51, 16, v51
	v_cndmask_b32_e32 v19, v43, v19, vcc_lo
	v_cmp_lt_f32_e32 vcc_lo, 0, v18
	v_lshrrev_b32_e32 v38, 16, v38
	v_add3_u32 v40, v11, v40, 0x7fff
	v_lshrrev_b32_e32 v39, 16, v39
	v_bfe_u32 v43, v14, 16, 1
	v_cndmask_b32_e32 v18, v42, v18, vcc_lo
	v_cmp_o_f32_e32 vcc_lo, v70, v70
	v_lshrrev_b32_e32 v45, 16, v45
	v_bfe_u32 v42, v10, 16, 1
	v_lshrrev_b32_e32 v40, 16, v40
	v_add3_u32 v43, v14, v43, 0x7fff
	v_cndmask_b32_e32 v30, 0x7fc0, v30, vcc_lo
	v_cmp_o_f32_e32 vcc_lo, v2, v2
	v_bfe_u32 v2, v18, 16, 1
	v_add3_u32 v42, v10, v42, 0x7fff
	v_lshrrev_b32_e32 v43, 16, v43
	v_add3_u32 v52, v17, v52, 0x7fff
	v_cndmask_b32_e32 v34, 0x7fc0, v34, vcc_lo
	v_cmp_o_f32_e32 vcc_lo, v3, v3
	v_add3_u32 v2, v18, v2, 0x7fff
	v_bfe_u32 v3, v20, 16, 1
	v_lshrrev_b32_e32 v42, 16, v42
	v_bfe_u32 v54, v26, 16, 1
	v_cndmask_b32_e32 v35, 0x7fc0, v35, vcc_lo
	v_cmp_o_f32_e32 vcc_lo, v46, v46
	v_add3_u32 v3, v20, v3, 0x7fff
	v_dual_lshrrev_b32 v52, 16, v52 :: v_dual_lshrrev_b32 v53, 16, v53
	v_bfe_u32 v55, v22, 16, 1
	v_cndmask_b32_e32 v36, 0x7fc0, v36, vcc_lo
	v_cmp_o_f32_e32 vcc_lo, v47, v47
	v_add3_u32 v54, v26, v54, 0x7fff
	v_bfe_u32 v1, v23, 16, 1
	v_add3_u32 v55, v22, v55, 0x7fff
	v_bfe_u32 v44, v29, 16, 1
	v_cndmask_b32_e32 v37, 0x7fc0, v37, vcc_lo
	v_cmp_o_f32_e32 vcc_lo, v12, v12
	s_delay_alu instid0(VALU_DEP_4)
	v_dual_lshrrev_b32 v54, 16, v54 :: v_dual_lshrrev_b32 v55, 16, v55
	v_add3_u32 v1, v23, v1, 0x7fff
	v_add3_u32 v44, v29, v44, 0x7fff
	v_cndmask_b32_e32 v12, 0x7fc0, v38, vcc_lo
	v_cmp_o_f32_e32 vcc_lo, v13, v13
	v_cndmask_b32_e64 v31, 0x7fc0, v31, s2
	s_delay_alu instid0(VALU_DEP_4)
	v_dual_lshrrev_b32 v1, 16, v1 :: v_dual_lshrrev_b32 v44, 16, v44
	v_cndmask_b32_e64 v32, 0x7fc0, v32, s3
	v_cndmask_b32_e32 v13, 0x7fc0, v39, vcc_lo
	v_cmp_o_f32_e32 vcc_lo, v11, v11
	v_cndmask_b32_e64 v33, 0x7fc0, v33, s4
	v_cndmask_b32_e32 v38, 0x7fc0, v40, vcc_lo
	v_cmp_o_f32_e32 vcc_lo, v10, v10
	v_bfe_u32 v10, v19, 16, 1
	v_dual_lshrrev_b32 v40, 16, v2 :: v_dual_lshlrev_b32 v2, 16, v4
	v_cndmask_b32_e32 v39, 0x7fc0, v42, vcc_lo
	v_cmp_o_f32_e32 vcc_lo, v14, v14
	v_lshrrev_b32_e32 v42, 16, v3
	v_and_b32_e32 v3, 0xffff0000, v4
	v_add3_u32 v10, v19, v10, 0x7fff
	v_cndmask_b32_e32 v14, 0x7fc0, v43, vcc_lo
	v_cmp_o_f32_e32 vcc_lo, v15, v15
	v_cndmask_b32_e32 v15, 0x7fc0, v48, vcc_lo
	v_cmp_o_f32_e32 vcc_lo, v25, v25
	;; [unrolled: 2-line block ×9, first 2 shown]
	v_cndmask_b32_e32 v1, 0x7fc0, v1, vcc_lo
	v_cmp_lt_f32_e32 vcc_lo, 0, v21
	v_cndmask_b32_e32 v21, v41, v21, vcc_lo
	v_cmp_o_f32_e32 vcc_lo, v29, v29
	v_lshrrev_b32_e32 v41, 16, v10
	s_delay_alu instid0(VALU_DEP_3) | instskip(SKIP_2) | instid1(VALU_DEP_3)
	v_bfe_u32 v11, v21, 16, 1
	v_cndmask_b32_e32 v23, 0x7fc0, v44, vcc_lo
	v_cmp_o_f32_e32 vcc_lo, v28, v28
	v_add3_u32 v29, v21, v11, 0x7fff
	v_and_b32_e32 v11, 0xffff0000, v5
	v_cndmask_b32_e32 v28, 0x7fc0, v45, vcc_lo
	s_wait_loadcnt 0x0
	v_bfe_u32 v4, v9, 16, 1
	v_bfe_u32 v43, v8, 16, 1
	;; [unrolled: 1-line block ×4, first 2 shown]
	v_cmp_o_f32_e32 vcc_lo, v9, v9
	v_add3_u32 v4, v9, v4, 0x7fff
	v_add3_u32 v43, v8, v43, 0x7fff
	;; [unrolled: 1-line block ×4, first 2 shown]
	v_lshlrev_b32_e32 v10, 16, v5
	v_and_b32_e32 v4, 0xffff0000, v4
	v_and_b32_e32 v43, 0xffff0000, v43
	;; [unrolled: 1-line block ×4, first 2 shown]
	s_delay_alu instid0(VALU_DEP_4) | instskip(SKIP_4) | instid1(VALU_DEP_2)
	v_cndmask_b32_e32 v5, 0x7fc00000, v4, vcc_lo
	v_cmp_o_f32_e32 vcc_lo, v8, v8
	v_lshrrev_b32_e32 v8, 16, v29
	v_cndmask_b32_e32 v4, 0x7fc00000, v43, vcc_lo
	v_cmp_o_f32_e32 vcc_lo, v7, v7
	v_pk_mul_f32 v[4:5], v[4:5], v[10:11]
	v_cndmask_b32_e32 v7, 0x7fc00000, v44, vcc_lo
	v_cmp_o_f32_e32 vcc_lo, v6, v6
	v_cndmask_b32_e32 v6, 0x7fc00000, v45, vcc_lo
	v_cmp_o_f32_e32 vcc_lo, v18, v18
	s_delay_alu instid0(VALU_DEP_2)
	v_pk_mul_f32 v[6:7], v[6:7], v[2:3]
	v_cndmask_b32_e32 v18, 0x7fc0, v40, vcc_lo
	v_cmp_lt_f32_e32 vcc_lo, 0, v11
	v_cndmask_b32_e32 v5, v5, v11, vcc_lo
	v_cmp_lt_f32_e32 vcc_lo, 0, v10
	v_perm_b32 v11, v26, v27, 0x5040100
	v_cndmask_b32_e32 v4, v4, v10, vcc_lo
	v_cmp_lt_f32_e32 vcc_lo, 0, v2
	s_delay_alu instid0(VALU_DEP_2) | instskip(SKIP_2) | instid1(VALU_DEP_3)
	v_bfe_u32 v10, v4, 16, 1
	v_cndmask_b32_e32 v2, v6, v2, vcc_lo
	v_cmp_lt_f32_e32 vcc_lo, 0, v3
	v_add3_u32 v10, v4, v10, 0x7fff
	s_delay_alu instid0(VALU_DEP_3) | instskip(SKIP_3) | instid1(VALU_DEP_4)
	v_bfe_u32 v6, v2, 16, 1
	v_cndmask_b32_e32 v3, v7, v3, vcc_lo
	v_cmp_o_f32_e32 vcc_lo, v19, v19
	v_bfe_u32 v7, v5, 16, 1
	v_add3_u32 v6, v2, v6, 0x7fff
	s_delay_alu instid0(VALU_DEP_4)
	v_bfe_u32 v9, v3, 16, 1
	v_cndmask_b32_e32 v19, 0x7fc0, v41, vcc_lo
	v_cmp_o_f32_e32 vcc_lo, v20, v20
	v_add3_u32 v7, v5, v7, 0x7fff
	v_lshrrev_b32_e32 v6, 16, v6
	v_add3_u32 v9, v3, v9, 0x7fff
	v_cndmask_b32_e32 v20, 0x7fc0, v42, vcc_lo
	v_cmp_o_f32_e32 vcc_lo, v21, v21
	v_lshrrev_b32_e32 v7, 16, v7
	v_cndmask_b32_e32 v21, 0x7fc0, v8, vcc_lo
	v_cmp_o_f32_e32 vcc_lo, v2, v2
	v_dual_lshrrev_b32 v8, 16, v9 :: v_dual_lshrrev_b32 v9, 16, v10
	v_perm_b32 v2, v31, v30, 0x5040100
	v_perm_b32 v10, v17, v16, 0x5040100
	v_cndmask_b32_e32 v29, 0x7fc0, v6, vcc_lo
	v_cmp_o_f32_e32 vcc_lo, v3, v3
	v_perm_b32 v3, v33, v32, 0x5040100
	v_perm_b32 v6, v13, v12, 0x5040100
	v_perm_b32 v13, v28, v23, 0x5040100
	v_perm_b32 v12, v1, v22, 0x5040100
	v_cndmask_b32_e32 v40, 0x7fc0, v8, vcc_lo
	v_cmp_o_f32_e32 vcc_lo, v4, v4
	v_perm_b32 v4, v35, v34, 0x5040100
	v_perm_b32 v8, v15, v14, 0x5040100
	;; [unrolled: 6-line block ×3, first 2 shown]
	v_perm_b32 v14, v19, v18, 0x5040100
	v_cndmask_b32_e32 v42, 0x7fc0, v7, vcc_lo
	v_perm_b32 v7, v39, v38, 0x5040100
	s_clause 0x1
	global_store_b128 v0, v[2:5], s[26:27] scale_offset
	global_store_b128 v0, v[6:9], s[26:27] offset:8192 scale_offset
	v_perm_b32 v17, v42, v41, 0x5040100
	s_clause 0x1
	global_store_b128 v0, v[10:13], s[26:27] offset:16384 scale_offset
	global_store_b128 v0, v[14:17], s[26:27] offset:24576 scale_offset
	s_cbranch_execnz .LBB21_2
.LBB21_4:
	s_clause 0x1
	s_load_b32 s2, s[0:1], 0x24
	s_load_b128 s[4:7], s[0:1], 0x28
	v_dual_mov_b32 v31, v0 :: v_dual_mov_b32 v0, s36
	v_dual_mov_b32 v1, s37 :: v_dual_mov_b32 v2, s38
	;; [unrolled: 1-line block ×4, first 2 shown]
	s_add_nc_u64 s[8:9], s[0:1], 56
	s_wait_xcnt 0x0
	s_get_pc_i64 s[0:1]
	s_add_nc_u64 s[0:1], s[0:1], _ZN2at6native25elementwise_kernel_helperILb1EZZZNS0_12prelu_kernelERNS_14TensorIteratorEENKUlvE_clEvENKUlvE0_clEvEUlffE_NS0_6memory8policies11unroll_baseILi512ESt5arrayIPcLm3EE23TrivialOffsetCalculatorILi2EjESD_ILi1EjENS7_12LoadWithCastILi2EEENS7_13StoreWithCastILi1EEELi32ELi1EEEEEvT0_T1_@rel64+4
	s_wait_kmcnt 0x0
	s_bfe_u32 s3, s2, 0x80008
	v_dual_mov_b32 v7, s2 :: v_dual_mov_b32 v9, s4
	v_dual_mov_b32 v10, s5 :: v_dual_mov_b32 v11, s6
	;; [unrolled: 1-line block ×3, first 2 shown]
	s_swap_pc_i64 s[30:31], s[0:1]
	s_endpgm
	.section	.rodata,"a",@progbits
	.p2align	6, 0x0
	.amdhsa_kernel _ZN2at6native39vectorized_templated_elementwise_kernelILi8EZZZNS0_12prelu_kernelERNS_14TensorIteratorEENKUlvE_clEvENKUlvE0_clEvEUlffE_St5arrayIPcLm3EE23TrivialOffsetCalculatorILi2EjESA_ILi1EjENS0_6memory12LoadWithCastILi2EEENSD_13StoreWithCastILi1EEEN3c108BFloat16EJSJ_fEEEviT0_T1_T2_T3_T4_T5_
		.amdhsa_group_segment_fixed_size 0
		.amdhsa_private_segment_fixed_size 272
		.amdhsa_kernarg_size 312
		.amdhsa_user_sgpr_count 2
		.amdhsa_user_sgpr_dispatch_ptr 0
		.amdhsa_user_sgpr_queue_ptr 0
		.amdhsa_user_sgpr_kernarg_segment_ptr 1
		.amdhsa_user_sgpr_dispatch_id 0
		.amdhsa_user_sgpr_kernarg_preload_length 0
		.amdhsa_user_sgpr_kernarg_preload_offset 0
		.amdhsa_user_sgpr_private_segment_size 0
		.amdhsa_wavefront_size32 1
		.amdhsa_uses_dynamic_stack 0
		.amdhsa_enable_private_segment 1
		.amdhsa_system_sgpr_workgroup_id_x 1
		.amdhsa_system_sgpr_workgroup_id_y 0
		.amdhsa_system_sgpr_workgroup_id_z 0
		.amdhsa_system_sgpr_workgroup_info 0
		.amdhsa_system_vgpr_workitem_id 0
		.amdhsa_next_free_vgpr 120
		.amdhsa_next_free_sgpr 96
		.amdhsa_named_barrier_count 0
		.amdhsa_reserve_vcc 1
		.amdhsa_float_round_mode_32 0
		.amdhsa_float_round_mode_16_64 0
		.amdhsa_float_denorm_mode_32 3
		.amdhsa_float_denorm_mode_16_64 3
		.amdhsa_fp16_overflow 0
		.amdhsa_memory_ordered 1
		.amdhsa_forward_progress 1
		.amdhsa_inst_pref_size 33
		.amdhsa_round_robin_scheduling 0
		.amdhsa_exception_fp_ieee_invalid_op 0
		.amdhsa_exception_fp_denorm_src 0
		.amdhsa_exception_fp_ieee_div_zero 0
		.amdhsa_exception_fp_ieee_overflow 0
		.amdhsa_exception_fp_ieee_underflow 0
		.amdhsa_exception_fp_ieee_inexact 0
		.amdhsa_exception_int_div_zero 0
	.end_amdhsa_kernel
	.section	.text._ZN2at6native39vectorized_templated_elementwise_kernelILi8EZZZNS0_12prelu_kernelERNS_14TensorIteratorEENKUlvE_clEvENKUlvE0_clEvEUlffE_St5arrayIPcLm3EE23TrivialOffsetCalculatorILi2EjESA_ILi1EjENS0_6memory12LoadWithCastILi2EEENSD_13StoreWithCastILi1EEEN3c108BFloat16EJSJ_fEEEviT0_T1_T2_T3_T4_T5_,"axG",@progbits,_ZN2at6native39vectorized_templated_elementwise_kernelILi8EZZZNS0_12prelu_kernelERNS_14TensorIteratorEENKUlvE_clEvENKUlvE0_clEvEUlffE_St5arrayIPcLm3EE23TrivialOffsetCalculatorILi2EjESA_ILi1EjENS0_6memory12LoadWithCastILi2EEENSD_13StoreWithCastILi1EEEN3c108BFloat16EJSJ_fEEEviT0_T1_T2_T3_T4_T5_,comdat
.Lfunc_end21:
	.size	_ZN2at6native39vectorized_templated_elementwise_kernelILi8EZZZNS0_12prelu_kernelERNS_14TensorIteratorEENKUlvE_clEvENKUlvE0_clEvEUlffE_St5arrayIPcLm3EE23TrivialOffsetCalculatorILi2EjESA_ILi1EjENS0_6memory12LoadWithCastILi2EEENSD_13StoreWithCastILi1EEEN3c108BFloat16EJSJ_fEEEviT0_T1_T2_T3_T4_T5_, .Lfunc_end21-_ZN2at6native39vectorized_templated_elementwise_kernelILi8EZZZNS0_12prelu_kernelERNS_14TensorIteratorEENKUlvE_clEvENKUlvE0_clEvEUlffE_St5arrayIPcLm3EE23TrivialOffsetCalculatorILi2EjESA_ILi1EjENS0_6memory12LoadWithCastILi2EEENSD_13StoreWithCastILi1EEEN3c108BFloat16EJSJ_fEEEviT0_T1_T2_T3_T4_T5_
                                        ; -- End function
	.set _ZN2at6native39vectorized_templated_elementwise_kernelILi8EZZZNS0_12prelu_kernelERNS_14TensorIteratorEENKUlvE_clEvENKUlvE0_clEvEUlffE_St5arrayIPcLm3EE23TrivialOffsetCalculatorILi2EjESA_ILi1EjENS0_6memory12LoadWithCastILi2EEENSD_13StoreWithCastILi1EEEN3c108BFloat16EJSJ_fEEEviT0_T1_T2_T3_T4_T5_.num_vgpr, max(71, .L_ZN2at6native25elementwise_kernel_helperILb1EZZZNS0_12prelu_kernelERNS_14TensorIteratorEENKUlvE_clEvENKUlvE0_clEvEUlffE_NS0_6memory8policies11unroll_baseILi512ESt5arrayIPcLm3EE23TrivialOffsetCalculatorILi2EjESD_ILi1EjENS7_12LoadWithCastILi2EEENS7_13StoreWithCastILi1EEELi32ELi1EEEEEvT0_T1_.num_vgpr)
	.set _ZN2at6native39vectorized_templated_elementwise_kernelILi8EZZZNS0_12prelu_kernelERNS_14TensorIteratorEENKUlvE_clEvENKUlvE0_clEvEUlffE_St5arrayIPcLm3EE23TrivialOffsetCalculatorILi2EjESA_ILi1EjENS0_6memory12LoadWithCastILi2EEENSD_13StoreWithCastILi1EEEN3c108BFloat16EJSJ_fEEEviT0_T1_T2_T3_T4_T5_.num_agpr, max(0, .L_ZN2at6native25elementwise_kernel_helperILb1EZZZNS0_12prelu_kernelERNS_14TensorIteratorEENKUlvE_clEvENKUlvE0_clEvEUlffE_NS0_6memory8policies11unroll_baseILi512ESt5arrayIPcLm3EE23TrivialOffsetCalculatorILi2EjESD_ILi1EjENS7_12LoadWithCastILi2EEENS7_13StoreWithCastILi1EEELi32ELi1EEEEEvT0_T1_.num_agpr)
	.set _ZN2at6native39vectorized_templated_elementwise_kernelILi8EZZZNS0_12prelu_kernelERNS_14TensorIteratorEENKUlvE_clEvENKUlvE0_clEvEUlffE_St5arrayIPcLm3EE23TrivialOffsetCalculatorILi2EjESA_ILi1EjENS0_6memory12LoadWithCastILi2EEENSD_13StoreWithCastILi1EEEN3c108BFloat16EJSJ_fEEEviT0_T1_T2_T3_T4_T5_.numbered_sgpr, max(42, .L_ZN2at6native25elementwise_kernel_helperILb1EZZZNS0_12prelu_kernelERNS_14TensorIteratorEENKUlvE_clEvENKUlvE0_clEvEUlffE_NS0_6memory8policies11unroll_baseILi512ESt5arrayIPcLm3EE23TrivialOffsetCalculatorILi2EjESD_ILi1EjENS7_12LoadWithCastILi2EEENS7_13StoreWithCastILi1EEELi32ELi1EEEEEvT0_T1_.numbered_sgpr)
	.set _ZN2at6native39vectorized_templated_elementwise_kernelILi8EZZZNS0_12prelu_kernelERNS_14TensorIteratorEENKUlvE_clEvENKUlvE0_clEvEUlffE_St5arrayIPcLm3EE23TrivialOffsetCalculatorILi2EjESA_ILi1EjENS0_6memory12LoadWithCastILi2EEENSD_13StoreWithCastILi1EEEN3c108BFloat16EJSJ_fEEEviT0_T1_T2_T3_T4_T5_.num_named_barrier, max(0, .L_ZN2at6native25elementwise_kernel_helperILb1EZZZNS0_12prelu_kernelERNS_14TensorIteratorEENKUlvE_clEvENKUlvE0_clEvEUlffE_NS0_6memory8policies11unroll_baseILi512ESt5arrayIPcLm3EE23TrivialOffsetCalculatorILi2EjESD_ILi1EjENS7_12LoadWithCastILi2EEENS7_13StoreWithCastILi1EEELi32ELi1EEEEEvT0_T1_.num_named_barrier)
	.set _ZN2at6native39vectorized_templated_elementwise_kernelILi8EZZZNS0_12prelu_kernelERNS_14TensorIteratorEENKUlvE_clEvENKUlvE0_clEvEUlffE_St5arrayIPcLm3EE23TrivialOffsetCalculatorILi2EjESA_ILi1EjENS0_6memory12LoadWithCastILi2EEENSD_13StoreWithCastILi1EEEN3c108BFloat16EJSJ_fEEEviT0_T1_T2_T3_T4_T5_.private_seg_size, 0+max(.L_ZN2at6native25elementwise_kernel_helperILb1EZZZNS0_12prelu_kernelERNS_14TensorIteratorEENKUlvE_clEvENKUlvE0_clEvEUlffE_NS0_6memory8policies11unroll_baseILi512ESt5arrayIPcLm3EE23TrivialOffsetCalculatorILi2EjESD_ILi1EjENS7_12LoadWithCastILi2EEENS7_13StoreWithCastILi1EEELi32ELi1EEEEEvT0_T1_.private_seg_size)
	.set _ZN2at6native39vectorized_templated_elementwise_kernelILi8EZZZNS0_12prelu_kernelERNS_14TensorIteratorEENKUlvE_clEvENKUlvE0_clEvEUlffE_St5arrayIPcLm3EE23TrivialOffsetCalculatorILi2EjESA_ILi1EjENS0_6memory12LoadWithCastILi2EEENSD_13StoreWithCastILi1EEEN3c108BFloat16EJSJ_fEEEviT0_T1_T2_T3_T4_T5_.uses_vcc, or(1, .L_ZN2at6native25elementwise_kernel_helperILb1EZZZNS0_12prelu_kernelERNS_14TensorIteratorEENKUlvE_clEvENKUlvE0_clEvEUlffE_NS0_6memory8policies11unroll_baseILi512ESt5arrayIPcLm3EE23TrivialOffsetCalculatorILi2EjESD_ILi1EjENS7_12LoadWithCastILi2EEENS7_13StoreWithCastILi1EEELi32ELi1EEEEEvT0_T1_.uses_vcc)
	.set _ZN2at6native39vectorized_templated_elementwise_kernelILi8EZZZNS0_12prelu_kernelERNS_14TensorIteratorEENKUlvE_clEvENKUlvE0_clEvEUlffE_St5arrayIPcLm3EE23TrivialOffsetCalculatorILi2EjESA_ILi1EjENS0_6memory12LoadWithCastILi2EEENSD_13StoreWithCastILi1EEEN3c108BFloat16EJSJ_fEEEviT0_T1_T2_T3_T4_T5_.uses_flat_scratch, or(0, .L_ZN2at6native25elementwise_kernel_helperILb1EZZZNS0_12prelu_kernelERNS_14TensorIteratorEENKUlvE_clEvENKUlvE0_clEvEUlffE_NS0_6memory8policies11unroll_baseILi512ESt5arrayIPcLm3EE23TrivialOffsetCalculatorILi2EjESD_ILi1EjENS7_12LoadWithCastILi2EEENS7_13StoreWithCastILi1EEELi32ELi1EEEEEvT0_T1_.uses_flat_scratch)
	.set _ZN2at6native39vectorized_templated_elementwise_kernelILi8EZZZNS0_12prelu_kernelERNS_14TensorIteratorEENKUlvE_clEvENKUlvE0_clEvEUlffE_St5arrayIPcLm3EE23TrivialOffsetCalculatorILi2EjESA_ILi1EjENS0_6memory12LoadWithCastILi2EEENSD_13StoreWithCastILi1EEEN3c108BFloat16EJSJ_fEEEviT0_T1_T2_T3_T4_T5_.has_dyn_sized_stack, or(0, .L_ZN2at6native25elementwise_kernel_helperILb1EZZZNS0_12prelu_kernelERNS_14TensorIteratorEENKUlvE_clEvENKUlvE0_clEvEUlffE_NS0_6memory8policies11unroll_baseILi512ESt5arrayIPcLm3EE23TrivialOffsetCalculatorILi2EjESD_ILi1EjENS7_12LoadWithCastILi2EEENS7_13StoreWithCastILi1EEELi32ELi1EEEEEvT0_T1_.has_dyn_sized_stack)
	.set _ZN2at6native39vectorized_templated_elementwise_kernelILi8EZZZNS0_12prelu_kernelERNS_14TensorIteratorEENKUlvE_clEvENKUlvE0_clEvEUlffE_St5arrayIPcLm3EE23TrivialOffsetCalculatorILi2EjESA_ILi1EjENS0_6memory12LoadWithCastILi2EEENSD_13StoreWithCastILi1EEEN3c108BFloat16EJSJ_fEEEviT0_T1_T2_T3_T4_T5_.has_recursion, or(0, .L_ZN2at6native25elementwise_kernel_helperILb1EZZZNS0_12prelu_kernelERNS_14TensorIteratorEENKUlvE_clEvENKUlvE0_clEvEUlffE_NS0_6memory8policies11unroll_baseILi512ESt5arrayIPcLm3EE23TrivialOffsetCalculatorILi2EjESD_ILi1EjENS7_12LoadWithCastILi2EEENS7_13StoreWithCastILi1EEELi32ELi1EEEEEvT0_T1_.has_recursion)
	.set _ZN2at6native39vectorized_templated_elementwise_kernelILi8EZZZNS0_12prelu_kernelERNS_14TensorIteratorEENKUlvE_clEvENKUlvE0_clEvEUlffE_St5arrayIPcLm3EE23TrivialOffsetCalculatorILi2EjESA_ILi1EjENS0_6memory12LoadWithCastILi2EEENSD_13StoreWithCastILi1EEEN3c108BFloat16EJSJ_fEEEviT0_T1_T2_T3_T4_T5_.has_indirect_call, or(0, .L_ZN2at6native25elementwise_kernel_helperILb1EZZZNS0_12prelu_kernelERNS_14TensorIteratorEENKUlvE_clEvENKUlvE0_clEvEUlffE_NS0_6memory8policies11unroll_baseILi512ESt5arrayIPcLm3EE23TrivialOffsetCalculatorILi2EjESD_ILi1EjENS7_12LoadWithCastILi2EEENS7_13StoreWithCastILi1EEELi32ELi1EEEEEvT0_T1_.has_indirect_call)
	.section	.AMDGPU.csdata,"",@progbits
; Kernel info:
; codeLenInByte = 4104
; TotalNumSgprs: 98
; NumVgprs: 120
; ScratchSize: 272
; MemoryBound: 0
; FloatMode: 240
; IeeeMode: 1
; LDSByteSize: 0 bytes/workgroup (compile time only)
; SGPRBlocks: 0
; VGPRBlocks: 7
; NumSGPRsForWavesPerEU: 98
; NumVGPRsForWavesPerEU: 120
; NamedBarCnt: 0
; Occupancy: 8
; WaveLimiterHint : 0
; COMPUTE_PGM_RSRC2:SCRATCH_EN: 1
; COMPUTE_PGM_RSRC2:USER_SGPR: 2
; COMPUTE_PGM_RSRC2:TRAP_HANDLER: 0
; COMPUTE_PGM_RSRC2:TGID_X_EN: 1
; COMPUTE_PGM_RSRC2:TGID_Y_EN: 0
; COMPUTE_PGM_RSRC2:TGID_Z_EN: 0
; COMPUTE_PGM_RSRC2:TIDIG_COMP_CNT: 0
	.section	.text._ZN2at6native39vectorized_templated_elementwise_kernelILi4EZZZNS0_12prelu_kernelERNS_14TensorIteratorEENKUlvE_clEvENKUlvE0_clEvEUlffE_St5arrayIPcLm3EE23TrivialOffsetCalculatorILi2EjESA_ILi1EjENS0_6memory12LoadWithCastILi2EEENSD_13StoreWithCastILi1EEEN3c108BFloat16EJSJ_fEEEviT0_T1_T2_T3_T4_T5_,"axG",@progbits,_ZN2at6native39vectorized_templated_elementwise_kernelILi4EZZZNS0_12prelu_kernelERNS_14TensorIteratorEENKUlvE_clEvENKUlvE0_clEvEUlffE_St5arrayIPcLm3EE23TrivialOffsetCalculatorILi2EjESA_ILi1EjENS0_6memory12LoadWithCastILi2EEENSD_13StoreWithCastILi1EEEN3c108BFloat16EJSJ_fEEEviT0_T1_T2_T3_T4_T5_,comdat
	.globl	_ZN2at6native39vectorized_templated_elementwise_kernelILi4EZZZNS0_12prelu_kernelERNS_14TensorIteratorEENKUlvE_clEvENKUlvE0_clEvEUlffE_St5arrayIPcLm3EE23TrivialOffsetCalculatorILi2EjESA_ILi1EjENS0_6memory12LoadWithCastILi2EEENSD_13StoreWithCastILi1EEEN3c108BFloat16EJSJ_fEEEviT0_T1_T2_T3_T4_T5_ ; -- Begin function _ZN2at6native39vectorized_templated_elementwise_kernelILi4EZZZNS0_12prelu_kernelERNS_14TensorIteratorEENKUlvE_clEvENKUlvE0_clEvEUlffE_St5arrayIPcLm3EE23TrivialOffsetCalculatorILi2EjESA_ILi1EjENS0_6memory12LoadWithCastILi2EEENSD_13StoreWithCastILi1EEEN3c108BFloat16EJSJ_fEEEviT0_T1_T2_T3_T4_T5_
	.p2align	8
	.type	_ZN2at6native39vectorized_templated_elementwise_kernelILi4EZZZNS0_12prelu_kernelERNS_14TensorIteratorEENKUlvE_clEvENKUlvE0_clEvEUlffE_St5arrayIPcLm3EE23TrivialOffsetCalculatorILi2EjESA_ILi1EjENS0_6memory12LoadWithCastILi2EEENSD_13StoreWithCastILi1EEEN3c108BFloat16EJSJ_fEEEviT0_T1_T2_T3_T4_T5_,@function
_ZN2at6native39vectorized_templated_elementwise_kernelILi4EZZZNS0_12prelu_kernelERNS_14TensorIteratorEENKUlvE_clEvENKUlvE0_clEvEUlffE_St5arrayIPcLm3EE23TrivialOffsetCalculatorILi2EjESA_ILi1EjENS0_6memory12LoadWithCastILi2EEENSD_13StoreWithCastILi1EEEN3c108BFloat16EJSJ_fEEEviT0_T1_T2_T3_T4_T5_: ; @_ZN2at6native39vectorized_templated_elementwise_kernelILi4EZZZNS0_12prelu_kernelERNS_14TensorIteratorEENKUlvE_clEvENKUlvE0_clEvEUlffE_St5arrayIPcLm3EE23TrivialOffsetCalculatorILi2EjESA_ILi1EjENS0_6memory12LoadWithCastILi2EEENSD_13StoreWithCastILi1EEEN3c108BFloat16EJSJ_fEEEviT0_T1_T2_T3_T4_T5_
; %bb.0:
	s_clause 0x2
	s_load_b32 s2, s[0:1], 0x38
	s_load_b32 s3, s[0:1], 0x0
	s_load_b64 s[28:29], s[0:1], 0x18
	s_bfe_u32 s4, ttmp6, 0x4000c
	s_load_b128 s[24:27], s[0:1], 0x8
	s_add_co_i32 s4, s4, 1
	s_and_b32 s5, ttmp6, 15
	s_mul_i32 s4, ttmp9, s4
	s_getreg_b32 s6, hwreg(HW_REG_IB_STS2, 6, 4)
	s_add_co_i32 s5, s5, s4
	s_cmp_eq_u32 s6, 0
	s_mov_b32 s32, 0
	s_cselect_b32 s4, ttmp9, s5
	s_delay_alu instid0(SALU_CYCLE_1) | instskip(SKIP_2) | instid1(SALU_CYCLE_1)
	s_not_b32 s4, s4
	s_wait_kmcnt 0x0
	s_add_co_i32 s2, s2, s4
	s_lshl_b32 s4, s2, 14
	s_mov_b32 s2, -1
	s_sub_co_i32 s33, s3, s4
	s_delay_alu instid0(SALU_CYCLE_1)
	s_cmp_gt_i32 s33, 0x3fff
	s_cbranch_scc1 .LBB22_3
; %bb.1:
	s_and_not1_b32 vcc_lo, exec_lo, s2
	s_cbranch_vccz .LBB22_4
.LBB22_2:
	s_sendmsg sendmsg(MSG_DEALLOC_VGPRS)
	s_endpgm
.LBB22_3:
	s_ashr_i32 s5, s4, 31
	s_delay_alu instid0(SALU_CYCLE_1)
	s_lshl_b64 s[30:31], s[4:5], 1
	s_lshl_b64 s[4:5], s[4:5], 2
	s_add_nc_u64 s[2:3], s[26:27], s[30:31]
	s_add_nc_u64 s[34:35], s[28:29], s[4:5]
	s_clause 0xd
	global_load_b64 v[14:15], v0, s[2:3] scale_offset
	global_load_b64 v[16:17], v0, s[2:3] offset:4096 scale_offset
	global_load_b64 v[18:19], v0, s[2:3] offset:8192 scale_offset
	;; [unrolled: 1-line block ×5, first 2 shown]
	global_load_b128 v[2:5], v0, s[34:35] scale_offset
	global_load_b128 v[6:9], v0, s[34:35] offset:8192 scale_offset
	global_load_b128 v[10:13], v0, s[34:35] offset:16384 scale_offset
	;; [unrolled: 1-line block ×4, first 2 shown]
	global_load_b64 v[50:51], v0, s[2:3] offset:24576 scale_offset
	global_load_b128 v[46:49], v0, s[34:35] offset:40960 scale_offset
	global_load_b64 v[52:53], v0, s[2:3] offset:28672 scale_offset
	s_wait_loadcnt 0x7
	v_dual_lshrrev_b32 v1, 16, v3 :: v_dual_lshlrev_b32 v54, 16, v14
	v_lshlrev_b32_e32 v56, 16, v15
	v_and_b32_e32 v55, 0xffff0000, v14
	v_lshrrev_b32_e32 v14, 16, v2
	v_and_b32_e32 v57, 0xffff0000, v15
	v_dual_lshlrev_b32 v58, 16, v16 :: v_dual_lshlrev_b32 v36, 16, v17
	v_and_b32_e32 v59, 0xffff0000, v16
	v_dual_lshrrev_b32 v15, 16, v5 :: v_dual_lshrrev_b32 v16, 16, v4
	v_and_b32_e32 v14, 1, v14
	v_and_b32_e32 v37, 0xffff0000, v17
	v_dual_lshlrev_b32 v34, 16, v18 :: v_dual_lshlrev_b32 v32, 16, v19
	v_and_b32_e32 v35, 0xffff0000, v18
	v_and_b32_e32 v33, 0xffff0000, v19
	v_dual_lshlrev_b32 v30, 16, v20 :: v_dual_lshlrev_b32 v28, 16, v21
	v_and_b32_e32 v31, 0xffff0000, v20
	v_dual_lshlrev_b32 v20, 16, v24 :: v_dual_lshlrev_b32 v18, 16, v25
	v_and_b32_e32 v19, 0xffff0000, v25
	s_wait_loadcnt 0x6
	v_dual_lshrrev_b32 v17, 16, v7 :: v_dual_bitop2_b32 v1, 1, v1 bitop3:0x40
	v_dual_lshrrev_b32 v25, 16, v9 :: v_dual_bitop2_b32 v16, 1, v16 bitop3:0x40
	v_add3_u32 v14, v2, v14, 0x7fff
	v_cmp_o_f32_e64 s8, v2, v2
	v_lshrrev_b32_e32 v2, 16, v8
	v_and_b32_e32 v29, 0xffff0000, v21
	v_and_b32_e32 v21, 0xffff0000, v24
	v_dual_lshrrev_b32 v24, 16, v6 :: v_dual_bitop2_b32 v15, 1, v15 bitop3:0x40
	v_add3_u32 v1, v3, v1, 0x7fff
	v_cmp_o_f32_e64 s7, v3, v3
	v_cmp_o_f32_e64 s10, v4, v4
	s_wait_loadcnt 0x5
	v_lshrrev_b32_e32 v3, 16, v11
	v_add3_u32 v16, v4, v16, 0x7fff
	v_and_b32_e32 v4, 1, v17
	v_and_b32_e32 v2, 1, v2
	v_add3_u32 v15, v5, v15, 0x7fff
	v_cmp_o_f32_e64 s9, v5, v5
	v_and_b32_e32 v62, 0xffff0000, v16
	v_lshrrev_b32_e32 v16, 16, v13
	v_add3_u32 v2, v8, v2, 0x7fff
	v_and_b32_e32 v61, 0xffff0000, v15
	v_and_b32_e32 v5, 1, v24
	;; [unrolled: 1-line block ×5, first 2 shown]
	v_lshrrev_b32_e32 v2, 16, v12
	v_and_b32_e32 v60, 0xffff0000, v14
	v_lshrrev_b32_e32 v14, 16, v10
	v_add3_u32 v4, v7, v4, 0x7fff
	v_add3_u32 v5, v6, v5, 0x7fff
	v_cmp_o_f32_e64 s12, v6, v6
	s_wait_loadcnt 0x4
	v_lshrrev_b32_e32 v6, 16, v38
	v_and_b32_e32 v2, 1, v2
	v_add3_u32 v3, v11, v3, 0x7fff
	v_and_b32_e32 v24, 0xffff0000, v4
	v_and_b32_e32 v25, 0xffff0000, v5
	v_dual_lshrrev_b32 v4, 16, v39 :: v_dual_bitop2_b32 v5, 1, v14 bitop3:0x40
	s_delay_alu instid0(VALU_DEP_4)
	v_and_b32_e32 v65, 0xffff0000, v3
	s_wait_loadcnt 0x3
	v_lshrrev_b32_e32 v3, 16, v43
	v_add3_u32 v2, v12, v2, 0x7fff
	v_cmp_o_f32_e64 s11, v7, v7
	v_add3_u32 v5, v10, v5, 0x7fff
	s_wait_loadcnt 0x2
	v_dual_lshlrev_b32 v16, 16, v51 :: v_dual_bitop2_b32 v7, 1, v16 bitop3:0x40
	v_and_b32_e32 v68, 0xffff0000, v2
	v_lshrrev_b32_e32 v2, 16, v40
	v_and_b32_e32 v66, 0xffff0000, v5
	v_and_b32_e32 v5, 1, v6
	s_wait_xcnt 0x0
	v_cmp_o_f32_e64 s2, v8, v8
	v_dual_lshrrev_b32 v8, 16, v41 :: v_dual_bitop2_b32 v2, 1, v2 bitop3:0x40
	v_add3_u32 v7, v13, v7, 0x7fff
	v_dual_lshrrev_b32 v6, 16, v42 :: v_dual_bitop2_b32 v4, 1, v4 bitop3:0x40
	v_add3_u32 v5, v38, v5, 0x7fff
	s_delay_alu instid0(VALU_DEP_4) | instskip(NEXT) | instid1(VALU_DEP_4)
	v_add3_u32 v2, v40, v2, 0x7fff
	v_and_b32_e32 v67, 0xffff0000, v7
	v_dual_lshrrev_b32 v8, 16, v45 :: v_dual_bitop2_b32 v7, 1, v8 bitop3:0x40
	v_and_b32_e32 v3, 1, v3
	s_delay_alu instid0(VALU_DEP_4)
	v_and_b32_e32 v72, 0xffff0000, v2
	v_lshrrev_b32_e32 v2, 16, v44
	v_add3_u32 v15, v9, v15, 0x7fff
	v_add3_u32 v4, v39, v4, 0x7fff
	v_and_b32_e32 v70, 0xffff0000, v5
	v_dual_lshlrev_b32 v14, 16, v50 :: v_dual_bitop2_b32 v5, 1, v8 bitop3:0x40
	v_and_b32_e32 v2, 1, v2
	v_add3_u32 v3, v43, v3, 0x7fff
	v_and_b32_e32 v63, 0xffff0000, v15
	v_and_b32_e32 v69, 0xffff0000, v4
	;; [unrolled: 1-line block ×3, first 2 shown]
	v_add3_u32 v2, v44, v2, 0x7fff
	v_and_b32_e32 v15, 0xffff0000, v50
	v_add3_u32 v5, v45, v5, 0x7fff
	v_and_b32_e32 v50, 0xffff0000, v3
	s_wait_loadcnt 0x1
	v_lshrrev_b32_e32 v3, 16, v46
	v_and_b32_e32 v75, 0xffff0000, v2
	v_lshrrev_b32_e32 v2, 16, v47
	v_and_b32_e32 v74, 0xffff0000, v5
	s_delay_alu instid0(VALU_DEP_4) | instskip(SKIP_1) | instid1(VALU_DEP_4)
	v_dual_lshrrev_b32 v5, 16, v48 :: v_dual_bitop2_b32 v3, 1, v3 bitop3:0x40
	v_and_b32_e32 v1, 0xffff0000, v1
	v_and_b32_e32 v2, 1, v2
	v_cmp_o_f32_e64 s4, v10, v10
	v_cmp_o_f32_e64 s6, v12, v12
	s_wait_loadcnt 0x0
	v_dual_lshlrev_b32 v12, 16, v52 :: v_dual_lshlrev_b32 v10, 16, v53
	v_add3_u32 v2, v47, v2, 0x7fff
	v_add3_u32 v3, v46, v3, 0x7fff
	;; [unrolled: 1-line block ×3, first 2 shown]
	v_and_b32_e32 v17, 0xffff0000, v51
	v_cmp_lt_f32_e64 s23, 0, v55
	v_and_b32_e32 v51, 0xffff0000, v2
	v_and_b32_e32 v76, 0xffff0000, v3
	v_cndmask_b32_e64 v3, 0x7fc00000, v1, s7
	v_cndmask_b32_e64 v2, 0x7fc00000, v60, s8
	v_and_b32_e32 v73, 0xffff0000, v4
	v_lshrrev_b32_e32 v4, 16, v49
	v_cmp_o_f32_e64 s5, v13, v13
	v_and_b32_e32 v13, 0xffff0000, v52
	v_pk_mul_f32 v[2:3], v[2:3], v[54:55]
	v_cmp_o_f32_e64 s3, v11, v11
	v_and_b32_e32 v4, 1, v4
	v_and_b32_e32 v11, 0xffff0000, v53
	v_add3_u32 v7, v41, v7, 0x7fff
	v_cndmask_b32_e64 v52, v3, v55, s23
	v_cmp_lt_f32_e64 s23, 0, v54
	v_and_b32_e32 v5, 1, v5
	v_add3_u32 v4, v49, v4, 0x7fff
	v_and_b32_e32 v71, 0xffff0000, v7
	v_cndmask_b32_e64 v7, 0x7fc00000, v61, s9
	v_cndmask_b32_e64 v53, v2, v54, s23
	v_add3_u32 v5, v48, v5, 0x7fff
	v_and_b32_e32 v77, 0xffff0000, v4
	v_cndmask_b32_e64 v6, 0x7fc00000, v62, s10
	v_cmp_lt_f32_e64 s9, 0, v57
	v_cmp_o_f32_e32 vcc_lo, v9, v9
	v_and_b32_e32 v1, 0xffff0000, v5
	global_load_b128 v[2:5], v0, s[34:35] offset:49152 scale_offset
	v_pk_mul_f32 v[6:7], v[6:7], v[56:57]
	v_cndmask_b32_e64 v9, 0x7fc00000, v24, s11
	v_cndmask_b32_e64 v8, 0x7fc00000, v25, s12
	v_cndmask_b32_e32 v25, 0x7fc00000, v63, vcc_lo
	v_cndmask_b32_e64 v24, 0x7fc00000, v64, s2
	v_cndmask_b32_e64 v54, v7, v57, s9
	v_cmp_lt_f32_e64 s9, 0, v56
	v_pk_mul_f32 v[8:9], v[8:9], v[58:59]
	v_cmp_lt_f32_e32 vcc_lo, 0, v37
	v_pk_mul_f32 v[24:25], v[24:25], v[36:37]
	v_cmp_o_f32_e64 s8, v48, v48
	v_cndmask_b32_e64 v55, v6, v56, s9
	v_cmp_lt_f32_e64 s9, 0, v59
	v_cmp_o_f32_e64 s13, v39, v39
	v_cmp_o_f32_e64 s14, v38, v38
	v_cndmask_b32_e64 v48, 0x7fc00000, v1, s8
	v_cmp_o_f32_e64 s15, v41, v41
	v_cndmask_b32_e64 v56, v9, v59, s9
	v_cmp_lt_f32_e64 s9, 0, v58
	v_cndmask_b32_e64 v39, 0x7fc00000, v69, s13
	v_cndmask_b32_e64 v38, 0x7fc00000, v70, s14
	v_cmp_o_f32_e64 s16, v40, v40
	v_cndmask_b32_e64 v41, 0x7fc00000, v71, s15
	v_cndmask_b32_e64 v57, v8, v58, s9
	global_load_b128 v[6:9], v0, s[34:35] offset:57344 scale_offset
	v_cndmask_b32_e32 v58, v25, v37, vcc_lo
	v_cmp_lt_f32_e32 vcc_lo, 0, v36
	v_cndmask_b32_e64 v25, 0x7fc00000, v65, s3
	v_cndmask_b32_e64 v37, 0x7fc00000, v67, s5
	v_pk_mul_f32 v[38:39], v[38:39], v[30:31]
	v_cndmask_b32_e64 v40, 0x7fc00000, v72, s16
	v_cndmask_b32_e32 v59, v24, v36, vcc_lo
	v_cndmask_b32_e64 v24, 0x7fc00000, v66, s4
	v_cmp_lt_f32_e32 vcc_lo, 0, v35
	v_cndmask_b32_e64 v36, 0x7fc00000, v68, s6
	v_cmp_o_f32_e64 s17, v43, v43
	v_cmp_o_f32_e64 s18, v42, v42
	v_pk_mul_f32 v[24:25], v[24:25], v[34:35]
	v_pk_mul_f32 v[40:41], v[40:41], v[28:29]
	;; [unrolled: 1-line block ×3, first 2 shown]
	v_lshlrev_b32_e32 v26, 16, v22
	v_and_b32_e32 v27, 0xffff0000, v22
	v_cndmask_b32_e32 v1, v25, v35, vcc_lo
	v_cmp_lt_f32_e32 vcc_lo, 0, v34
	v_cndmask_b32_e64 v43, 0x7fc00000, v50, s17
	v_cndmask_b32_e64 v42, 0x7fc00000, v73, s18
	v_lshlrev_b32_e32 v22, 16, v23
	v_cmp_o_f32_e64 s19, v45, v45
	v_cndmask_b32_e32 v24, v24, v34, vcc_lo
	v_cmp_lt_f32_e32 vcc_lo, 0, v33
	v_cmp_o_f32_e64 s20, v44, v44
	v_pk_mul_f32 v[42:43], v[42:43], v[26:27]
	v_and_b32_e32 v23, 0xffff0000, v23
	v_cndmask_b32_e64 v45, 0x7fc00000, v74, s19
	v_cndmask_b32_e32 v25, v37, v33, vcc_lo
	v_cmp_lt_f32_e32 vcc_lo, 0, v32
	v_cndmask_b32_e64 v44, 0x7fc00000, v75, s20
	v_cmp_o_f32_e64 s21, v47, v47
	v_cmp_o_f32_e64 s22, v46, v46
	;; [unrolled: 1-line block ×3, first 2 shown]
	v_cndmask_b32_e32 v32, v36, v32, vcc_lo
	v_cmp_lt_f32_e32 vcc_lo, 0, v31
	v_pk_mul_f32 v[44:45], v[44:45], v[22:23]
	v_cndmask_b32_e64 v47, 0x7fc00000, v51, s21
	v_cndmask_b32_e64 v46, 0x7fc00000, v76, s22
	;; [unrolled: 1-line block ×3, first 2 shown]
	v_cndmask_b32_e32 v31, v39, v31, vcc_lo
	v_cmp_lt_f32_e32 vcc_lo, 0, v30
	v_bfe_u32 v37, v57, 16, 1
	v_pk_mul_f32 v[46:47], v[46:47], v[20:21]
	v_pk_mul_f32 v[48:49], v[48:49], v[18:19]
	v_cmp_o_f32_e64 s4, v53, v53
	v_cndmask_b32_e32 v30, v38, v30, vcc_lo
	v_cmp_lt_f32_e32 vcc_lo, 0, v29
	v_add3_u32 v37, v57, v37, 0x7fff
	v_cmp_o_f32_e64 s3, v52, v52
	v_bfe_u32 v38, v56, 16, 1
	v_cmp_o_f32_e64 s2, v55, v55
	v_cndmask_b32_e32 v29, v41, v29, vcc_lo
	v_cmp_lt_f32_e32 vcc_lo, 0, v28
	v_bfe_u32 v41, v24, 16, 1
	v_add3_u32 v38, v56, v38, 0x7fff
	v_cmp_o_f32_e64 s7, v56, v56
	v_bfe_u32 v39, v59, 16, 1
	v_cndmask_b32_e32 v28, v40, v28, vcc_lo
	v_cmp_lt_f32_e32 vcc_lo, 0, v27
	v_add3_u32 v41, v24, v41, 0x7fff
	v_and_b32_e32 v38, 0xffff0000, v38
	v_add3_u32 v39, v59, v39, 0x7fff
	v_bfe_u32 v40, v58, 16, 1
	v_cndmask_b32_e32 v27, v43, v27, vcc_lo
	v_cmp_lt_f32_e32 vcc_lo, 0, v26
	v_bfe_u32 v43, v32, 16, 1
	v_lshrrev_b32_e32 v39, 16, v39
	v_cndmask_b32_e64 v38, 0x7fc00000, v38, s7
	v_add3_u32 v40, v58, v40, 0x7fff
	v_cndmask_b32_e32 v26, v42, v26, vcc_lo
	v_cmp_lt_f32_e32 vcc_lo, 0, v23
	v_add3_u32 v43, v32, v43, 0x7fff
	v_lshrrev_b32_e32 v37, 16, v37
	v_bfe_u32 v42, v1, 16, 1
	v_bfe_u32 v50, v27, 16, 1
	v_cndmask_b32_e32 v23, v45, v23, vcc_lo
	v_cmp_lt_f32_e32 vcc_lo, 0, v22
	v_lshrrev_b32_e32 v43, 16, v43
	v_add3_u32 v42, v1, v42, 0x7fff
	v_bfe_u32 v45, v30, 16, 1
	v_add3_u32 v50, v27, v50, 0x7fff
	v_cndmask_b32_e32 v22, v44, v22, vcc_lo
	v_cmp_lt_f32_e32 vcc_lo, 0, v21
	v_bfe_u32 v44, v25, 16, 1
	v_and_b32_e32 v42, 0xffff0000, v42
	v_add3_u32 v45, v30, v45, 0x7fff
	v_bfe_u32 v51, v22, 16, 1
	v_cndmask_b32_e32 v33, v47, v21, vcc_lo
	v_cmp_lt_f32_e32 vcc_lo, 0, v20
	v_bfe_u32 v21, v54, 16, 1
	v_add3_u32 v44, v25, v44, 0x7fff
	v_bfe_u32 v47, v28, 16, 1
	v_add3_u32 v51, v22, v51, 0x7fff
	v_cndmask_b32_e32 v34, v46, v20, vcc_lo
	v_cmp_lt_f32_e32 vcc_lo, 0, v19
	v_add3_u32 v21, v54, v21, 0x7fff
	v_and_b32_e32 v44, 0xffff0000, v44
	v_add3_u32 v47, v28, v47, 0x7fff
	v_dual_lshrrev_b32 v41, 16, v41 :: v_dual_cndmask_b32 v35, v49, v19, vcc_lo
	v_cmp_lt_f32_e32 vcc_lo, 0, v18
	v_and_b32_e32 v21, 0xffff0000, v21
	v_bfe_u32 v46, v31, 16, 1
	v_lshrrev_b32_e32 v47, 16, v47
	v_bfe_u32 v19, v52, 16, 1
	v_cndmask_b32_e32 v36, v48, v18, vcc_lo
	v_cmp_o_f32_e32 vcc_lo, v54, v54
	v_bfe_u32 v18, v53, 16, 1
	v_bfe_u32 v48, v29, 16, 1
	v_add3_u32 v46, v31, v46, 0x7fff
	v_add3_u32 v19, v52, v19, 0x7fff
	v_cndmask_b32_e32 v21, 0x7fc00000, v21, vcc_lo
	v_cmp_o_f32_e32 vcc_lo, v57, v57
	v_add3_u32 v18, v53, v18, 0x7fff
	v_bfe_u32 v53, v34, 16, 1
	v_add3_u32 v48, v29, v48, 0x7fff
	v_bfe_u32 v52, v23, 16, 1
	v_cndmask_b32_e32 v37, 0x7fc0, v37, vcc_lo
	v_cmp_o_f32_e32 vcc_lo, v25, v25
	v_add3_u32 v53, v34, v53, 0x7fff
	v_and_b32_e32 v48, 0xffff0000, v48
	v_and_b32_e32 v46, 0xffff0000, v46
	v_add3_u32 v52, v23, v52, 0x7fff
	v_cndmask_b32_e32 v25, 0x7fc00000, v44, vcc_lo
	v_cmp_o_f32_e32 vcc_lo, v32, v32
	v_lshrrev_b32_e32 v53, 16, v53
	v_dual_lshrrev_b32 v45, 16, v45 :: v_dual_lshrrev_b32 v51, 16, v51
	v_and_b32_e32 v52, 0xffff0000, v52
	v_cndmask_b32_e32 v32, 0x7fc0, v43, vcc_lo
	v_cmp_o_f32_e32 vcc_lo, v1, v1
	v_bfe_u32 v20, v55, 16, 1
	v_bfe_u32 v49, v26, 16, 1
	v_and_b32_e32 v50, 0xffff0000, v50
	v_bfe_u32 v56, v35, 16, 1
	v_cndmask_b32_e32 v1, 0x7fc00000, v42, vcc_lo
	v_cmp_o_f32_e32 vcc_lo, v24, v24
	v_add3_u32 v20, v55, v20, 0x7fff
	v_bfe_u32 v55, v36, 16, 1
	v_add3_u32 v49, v26, v49, 0x7fff
	v_bfe_u32 v54, v33, 16, 1
	v_cndmask_b32_e32 v24, 0x7fc0, v41, vcc_lo
	v_cmp_o_f32_e32 vcc_lo, v29, v29
	v_add3_u32 v55, v36, v55, 0x7fff
	v_lshrrev_b32_e32 v49, 16, v49
	v_add3_u32 v56, v35, v56, 0x7fff
	v_or_b32_e32 v1, v1, v24
	v_cndmask_b32_e32 v29, 0x7fc00000, v48, vcc_lo
	v_cmp_o_f32_e32 vcc_lo, v28, v28
	v_lshrrev_b32_e32 v55, 16, v55
	v_add3_u32 v54, v33, v54, 0x7fff
	v_and_b32_e32 v56, 0xffff0000, v56
	v_and_b32_e32 v19, 0xffff0000, v19
	v_cndmask_b32_e32 v28, 0x7fc0, v47, vcc_lo
	v_cmp_o_f32_e32 vcc_lo, v31, v31
	v_and_b32_e32 v54, 0xffff0000, v54
	v_lshrrev_b32_e32 v18, 16, v18
	v_cndmask_b32_e64 v19, 0x7fc00000, v19, s3
	v_dual_cndmask_b32 v31, 0x7fc00000, v46 :: v_dual_lshrrev_b32 v20, 16, v20
	v_cmp_o_f32_e32 vcc_lo, v30, v30
	s_delay_alu instid0(VALU_DEP_4) | instskip(SKIP_1) | instid1(VALU_DEP_4)
	v_cndmask_b32_e64 v18, 0x7fc0, v18, s4
	v_and_b32_e32 v40, 0xffff0000, v40
	v_cndmask_b32_e64 v20, 0x7fc0, v20, s2
	v_cmp_o_f32_e64 s5, v58, v58
	v_cndmask_b32_e32 v30, 0x7fc0, v45, vcc_lo
	v_cmp_o_f32_e32 vcc_lo, v23, v23
	v_or3_b32 v23, 0, v32, v25
	v_or3_b32 v25, 0, v28, v29
	v_cmp_o_f32_e64 s6, v59, v59
	v_or_b32_e32 v24, v31, v30
	v_cndmask_b32_e32 v41, 0x7fc00000, v52, vcc_lo
	v_cmp_o_f32_e32 vcc_lo, v22, v22
	v_cndmask_b32_e64 v40, 0x7fc00000, v40, s5
	v_cndmask_b32_e64 v39, 0x7fc0, v39, s6
	s_add_nc_u64 s[10:11], s[24:25], s[30:31]
	v_cndmask_b32_e32 v22, 0x7fc0, v51, vcc_lo
	v_cmp_o_f32_e32 vcc_lo, v27, v27
	v_cndmask_b32_e32 v27, 0x7fc00000, v50, vcc_lo
	v_cmp_o_f32_e32 vcc_lo, v26, v26
	v_cndmask_b32_e32 v26, 0x7fc0, v49, vcc_lo
	v_cmp_o_f32_e32 vcc_lo, v35, v35
	s_delay_alu instid0(VALU_DEP_2)
	v_or_b32_e32 v26, v27, v26
	v_or3_b32 v27, 0, v22, v41
	v_or3_b32 v22, v1, 0, 0
	v_cndmask_b32_e32 v30, 0x7fc00000, v56, vcc_lo
	v_cmp_o_f32_e32 vcc_lo, v33, v33
	v_cndmask_b32_e32 v32, 0x7fc00000, v54, vcc_lo
	s_wait_loadcnt 0x1
	v_dual_lshrrev_b32 v60, 16, v3 :: v_dual_lshrrev_b32 v61, 16, v2
	v_lshrrev_b32_e32 v29, 16, v5
	v_cmp_o_f32_e32 vcc_lo, v3, v3
	v_lshrrev_b32_e32 v31, 16, v4
	s_delay_alu instid0(VALU_DEP_4) | instskip(SKIP_2) | instid1(VALU_DEP_4)
	v_and_b32_e32 v1, 1, v60
	v_and_b32_e32 v28, 1, v61
	v_and_b32_e32 v29, 1, v29
	v_and_b32_e32 v31, 1, v31
	s_delay_alu instid0(VALU_DEP_4) | instskip(NEXT) | instid1(VALU_DEP_4)
	v_add3_u32 v1, v3, v1, 0x7fff
	v_add3_u32 v28, v2, v28, 0x7fff
	s_delay_alu instid0(VALU_DEP_4) | instskip(NEXT) | instid1(VALU_DEP_3)
	v_add3_u32 v29, v5, v29, 0x7fff
	v_and_b32_e32 v1, 0xffff0000, v1
	s_delay_alu instid0(VALU_DEP_3) | instskip(NEXT) | instid1(VALU_DEP_2)
	v_and_b32_e32 v28, 0xffff0000, v28
	v_cndmask_b32_e32 v3, 0x7fc00000, v1, vcc_lo
	v_cmp_o_f32_e32 vcc_lo, v2, v2
	v_add3_u32 v1, v4, v31, 0x7fff
	s_wait_loadcnt 0x0
	v_dual_cndmask_b32 v2, 0x7fc00000, v28 :: v_dual_lshrrev_b32 v31, 16, v9
	v_cmp_o_f32_e32 vcc_lo, v34, v34
	v_and_b32_e32 v28, 0xffff0000, v29
	v_and_b32_e32 v1, 0xffff0000, v1
	s_delay_alu instid0(VALU_DEP_4)
	v_pk_mul_f32 v[2:3], v[2:3], v[14:15]
	v_cndmask_b32_e32 v29, 0x7fc0, v53, vcc_lo
	v_cmp_o_f32_e32 vcc_lo, v5, v5
	v_cndmask_b32_e32 v5, 0x7fc00000, v28, vcc_lo
	v_cmp_o_f32_e32 vcc_lo, v4, v4
	;; [unrolled: 2-line block ×3, first 2 shown]
	s_delay_alu instid0(VALU_DEP_2)
	v_pk_mul_f32 v[4:5], v[4:5], v[16:17]
	v_cndmask_b32_e32 v1, 0x7fc0, v55, vcc_lo
	v_cmp_lt_f32_e32 vcc_lo, 0, v14
	v_cndmask_b32_e32 v14, v2, v14, vcc_lo
	v_cmp_lt_f32_e32 vcc_lo, 0, v15
	v_dual_lshrrev_b32 v29, 16, v7 :: v_dual_bitop2_b32 v2, v32, v29 bitop3:0x54
	v_lshrrev_b32_e32 v32, 16, v8
	s_delay_alu instid0(VALU_DEP_4)
	v_bfe_u32 v28, v14, 16, 1
	v_cndmask_b32_e32 v15, v3, v15, vcc_lo
	v_cmp_lt_f32_e32 vcc_lo, 0, v16
	v_or_b32_e32 v18, v19, v18
	v_or3_b32 v3, 0, v1, v30
	v_add3_u32 v1, v14, v28, 0x7fff
	v_dual_lshrrev_b32 v30, 16, v6 :: v_dual_cndmask_b32 v4, v4, v16, vcc_lo
	v_cmp_lt_f32_e32 vcc_lo, 0, v17
	v_and_b32_e32 v29, 1, v29
	v_bfe_u32 v16, v15, 16, 1
	s_delay_alu instid0(VALU_DEP_4) | instskip(SKIP_2) | instid1(VALU_DEP_4)
	v_dual_lshrrev_b32 v1, 16, v1 :: v_dual_bitop2_b32 v30, 1, v30 bitop3:0x40
	v_cndmask_b32_e32 v5, v5, v17, vcc_lo
	v_bfe_u32 v17, v4, 16, 1
	v_add3_u32 v16, v15, v16, 0x7fff
	v_or3_b32 v19, 0, v20, v21
	v_or3_b32 v18, v18, 0, 0
	v_bfe_u32 v28, v5, 16, 1
	v_add3_u32 v17, v4, v17, 0x7fff
	v_cmp_o_f32_e32 vcc_lo, v5, v5
	v_and_b32_e32 v16, 0xffff0000, v16
	v_or3_b32 v21, 0, v39, v40
	v_add3_u32 v28, v5, v28, 0x7fff
	v_lshrrev_b32_e32 v17, 16, v17
	v_add3_u32 v5, v7, v29, 0x7fff
	v_add3_u32 v29, v6, v30, 0x7fff
	v_and_b32_e32 v30, 1, v31
	v_and_b32_e32 v28, 0xffff0000, v28
	;; [unrolled: 1-line block ×3, first 2 shown]
	v_or3_b32 v26, v26, 0, 0
	v_and_b32_e32 v29, 0xffff0000, v29
	v_add3_u32 v30, v9, v30, 0x7fff
	v_cndmask_b32_e32 v28, 0x7fc00000, v28, vcc_lo
	v_cmp_o_f32_e32 vcc_lo, v4, v4
	v_and_b32_e32 v4, 0xffff0000, v5
	v_add3_u32 v31, v8, v31, 0x7fff
	v_or3_b32 v2, v2, 0, 0
	v_or3_b32 v24, v24, 0, 0
	v_cndmask_b32_e32 v17, 0x7fc0, v17, vcc_lo
	v_cmp_o_f32_e32 vcc_lo, v7, v7
	v_and_b32_e32 v7, 0xffff0000, v30
	v_and_b32_e32 v30, 0xffff0000, v31
	v_cndmask_b32_e32 v5, 0x7fc00000, v4, vcc_lo
	v_cmp_o_f32_e32 vcc_lo, v6, v6
	v_cndmask_b32_e32 v4, 0x7fc00000, v29, vcc_lo
	v_cmp_o_f32_e32 vcc_lo, v9, v9
	s_delay_alu instid0(VALU_DEP_2) | instskip(SKIP_4) | instid1(VALU_DEP_2)
	v_pk_mul_f32 v[4:5], v[4:5], v[12:13]
	v_cndmask_b32_e32 v7, 0x7fc00000, v7, vcc_lo
	v_cmp_o_f32_e32 vcc_lo, v8, v8
	v_cndmask_b32_e32 v6, 0x7fc00000, v30, vcc_lo
	v_cmp_o_f32_e32 vcc_lo, v15, v15
	v_pk_mul_f32 v[6:7], v[6:7], v[10:11]
	v_cndmask_b32_e32 v8, 0x7fc00000, v16, vcc_lo
	v_cmp_o_f32_e32 vcc_lo, v14, v14
	v_cndmask_b32_e32 v1, 0x7fc0, v1, vcc_lo
	v_cmp_lt_f32_e32 vcc_lo, 0, v13
	s_delay_alu instid0(VALU_DEP_2)
	v_or_b32_e32 v1, v8, v1
	v_cndmask_b32_e32 v9, v5, v13, vcc_lo
	v_cmp_lt_f32_e32 vcc_lo, 0, v12
	v_or_b32_e32 v20, v38, v37
	v_or3_b32 v5, 0, v17, v28
	v_cndmask_b32_e32 v12, v4, v12, vcc_lo
	v_cmp_lt_f32_e32 vcc_lo, 0, v10
	v_bfe_u32 v4, v9, 16, 1
	v_or3_b32 v20, v20, 0, 0
	s_clause 0x3
	global_store_b64 v0, v[18:19], s[10:11] scale_offset
	global_store_b64 v0, v[20:21], s[10:11] offset:4096 scale_offset
	global_store_b64 v0, v[22:23], s[10:11] offset:8192 scale_offset
	global_store_b64 v0, v[24:25], s[10:11] offset:12288 scale_offset
	v_cndmask_b32_e32 v6, v6, v10, vcc_lo
	v_cmp_lt_f32_e32 vcc_lo, 0, v11
	v_bfe_u32 v8, v12, 16, 1
	v_add3_u32 v13, v9, v4, 0x7fff
	v_or3_b32 v4, v1, 0, 0
	v_bfe_u32 v10, v6, 16, 1
	v_cndmask_b32_e32 v7, v7, v11, vcc_lo
	v_add3_u32 v8, v12, v8, 0x7fff
	v_and_b32_e32 v1, 0xffff0000, v13
	v_cmp_o_f32_e32 vcc_lo, v9, v9
	v_add3_u32 v10, v6, v10, 0x7fff
	v_bfe_u32 v11, v7, 16, 1
	s_delay_alu instid0(VALU_DEP_4) | instskip(SKIP_1) | instid1(VALU_DEP_3)
	v_dual_cndmask_b32 v1, 0x7fc00000, v1 :: v_dual_lshrrev_b32 v8, 16, v8
	v_cmp_o_f32_e32 vcc_lo, v12, v12
	v_add3_u32 v11, v7, v11, 0x7fff
	v_lshrrev_b32_e32 v10, 16, v10
	s_delay_alu instid0(VALU_DEP_4) | instskip(NEXT) | instid1(VALU_DEP_3)
	v_cndmask_b32_e32 v8, 0x7fc0, v8, vcc_lo
	v_and_b32_e32 v11, 0xffff0000, v11
	v_cmp_o_f32_e32 vcc_lo, v7, v7
	s_delay_alu instid0(VALU_DEP_3) | instskip(NEXT) | instid1(VALU_DEP_3)
	v_or_b32_e32 v1, v1, v8
	v_cndmask_b32_e32 v7, 0x7fc00000, v11, vcc_lo
	v_cmp_o_f32_e32 vcc_lo, v6, v6
	v_cndmask_b32_e32 v6, 0x7fc0, v10, vcc_lo
	s_delay_alu instid0(VALU_DEP_1)
	v_or3_b32 v7, 0, v6, v7
	v_or3_b32 v6, v1, 0, 0
	s_clause 0x3
	global_store_b64 v0, v[26:27], s[10:11] offset:16384 scale_offset
	global_store_b64 v0, v[2:3], s[10:11] offset:20480 scale_offset
	;; [unrolled: 1-line block ×4, first 2 shown]
	s_cbranch_execnz .LBB22_2
.LBB22_4:
	s_clause 0x1
	s_load_b32 s2, s[0:1], 0x24
	s_load_b128 s[4:7], s[0:1], 0x28
	v_dual_mov_b32 v31, v0 :: v_dual_mov_b32 v0, s24
	v_dual_mov_b32 v1, s25 :: v_dual_mov_b32 v2, s26
	;; [unrolled: 1-line block ×4, first 2 shown]
	s_add_nc_u64 s[8:9], s[0:1], 56
	s_wait_xcnt 0x0
	s_get_pc_i64 s[0:1]
	s_add_nc_u64 s[0:1], s[0:1], _ZN2at6native25elementwise_kernel_helperILb1EZZZNS0_12prelu_kernelERNS_14TensorIteratorEENKUlvE_clEvENKUlvE0_clEvEUlffE_NS0_6memory8policies11unroll_baseILi512ESt5arrayIPcLm3EE23TrivialOffsetCalculatorILi2EjESD_ILi1EjENS7_12LoadWithCastILi2EEENS7_13StoreWithCastILi1EEELi32ELi1EEEEEvT0_T1_@rel64+4
	s_wait_kmcnt 0x0
	s_bfe_u32 s3, s2, 0x80008
	v_dual_mov_b32 v7, s2 :: v_dual_mov_b32 v9, s4
	v_dual_mov_b32 v10, s5 :: v_dual_mov_b32 v11, s6
	;; [unrolled: 1-line block ×3, first 2 shown]
	s_swap_pc_i64 s[30:31], s[0:1]
	s_endpgm
	.section	.rodata,"a",@progbits
	.p2align	6, 0x0
	.amdhsa_kernel _ZN2at6native39vectorized_templated_elementwise_kernelILi4EZZZNS0_12prelu_kernelERNS_14TensorIteratorEENKUlvE_clEvENKUlvE0_clEvEUlffE_St5arrayIPcLm3EE23TrivialOffsetCalculatorILi2EjESA_ILi1EjENS0_6memory12LoadWithCastILi2EEENSD_13StoreWithCastILi1EEEN3c108BFloat16EJSJ_fEEEviT0_T1_T2_T3_T4_T5_
		.amdhsa_group_segment_fixed_size 0
		.amdhsa_private_segment_fixed_size 272
		.amdhsa_kernarg_size 312
		.amdhsa_user_sgpr_count 2
		.amdhsa_user_sgpr_dispatch_ptr 0
		.amdhsa_user_sgpr_queue_ptr 0
		.amdhsa_user_sgpr_kernarg_segment_ptr 1
		.amdhsa_user_sgpr_dispatch_id 0
		.amdhsa_user_sgpr_kernarg_preload_length 0
		.amdhsa_user_sgpr_kernarg_preload_offset 0
		.amdhsa_user_sgpr_private_segment_size 0
		.amdhsa_wavefront_size32 1
		.amdhsa_uses_dynamic_stack 0
		.amdhsa_enable_private_segment 1
		.amdhsa_system_sgpr_workgroup_id_x 1
		.amdhsa_system_sgpr_workgroup_id_y 0
		.amdhsa_system_sgpr_workgroup_id_z 0
		.amdhsa_system_sgpr_workgroup_info 0
		.amdhsa_system_vgpr_workitem_id 0
		.amdhsa_next_free_vgpr 120
		.amdhsa_next_free_sgpr 96
		.amdhsa_named_barrier_count 0
		.amdhsa_reserve_vcc 1
		.amdhsa_float_round_mode_32 0
		.amdhsa_float_round_mode_16_64 0
		.amdhsa_float_denorm_mode_32 3
		.amdhsa_float_denorm_mode_16_64 3
		.amdhsa_fp16_overflow 0
		.amdhsa_memory_ordered 1
		.amdhsa_forward_progress 1
		.amdhsa_inst_pref_size 34
		.amdhsa_round_robin_scheduling 0
		.amdhsa_exception_fp_ieee_invalid_op 0
		.amdhsa_exception_fp_denorm_src 0
		.amdhsa_exception_fp_ieee_div_zero 0
		.amdhsa_exception_fp_ieee_overflow 0
		.amdhsa_exception_fp_ieee_underflow 0
		.amdhsa_exception_fp_ieee_inexact 0
		.amdhsa_exception_int_div_zero 0
	.end_amdhsa_kernel
	.section	.text._ZN2at6native39vectorized_templated_elementwise_kernelILi4EZZZNS0_12prelu_kernelERNS_14TensorIteratorEENKUlvE_clEvENKUlvE0_clEvEUlffE_St5arrayIPcLm3EE23TrivialOffsetCalculatorILi2EjESA_ILi1EjENS0_6memory12LoadWithCastILi2EEENSD_13StoreWithCastILi1EEEN3c108BFloat16EJSJ_fEEEviT0_T1_T2_T3_T4_T5_,"axG",@progbits,_ZN2at6native39vectorized_templated_elementwise_kernelILi4EZZZNS0_12prelu_kernelERNS_14TensorIteratorEENKUlvE_clEvENKUlvE0_clEvEUlffE_St5arrayIPcLm3EE23TrivialOffsetCalculatorILi2EjESA_ILi1EjENS0_6memory12LoadWithCastILi2EEENSD_13StoreWithCastILi1EEEN3c108BFloat16EJSJ_fEEEviT0_T1_T2_T3_T4_T5_,comdat
.Lfunc_end22:
	.size	_ZN2at6native39vectorized_templated_elementwise_kernelILi4EZZZNS0_12prelu_kernelERNS_14TensorIteratorEENKUlvE_clEvENKUlvE0_clEvEUlffE_St5arrayIPcLm3EE23TrivialOffsetCalculatorILi2EjESA_ILi1EjENS0_6memory12LoadWithCastILi2EEENSD_13StoreWithCastILi1EEEN3c108BFloat16EJSJ_fEEEviT0_T1_T2_T3_T4_T5_, .Lfunc_end22-_ZN2at6native39vectorized_templated_elementwise_kernelILi4EZZZNS0_12prelu_kernelERNS_14TensorIteratorEENKUlvE_clEvENKUlvE0_clEvEUlffE_St5arrayIPcLm3EE23TrivialOffsetCalculatorILi2EjESA_ILi1EjENS0_6memory12LoadWithCastILi2EEENSD_13StoreWithCastILi1EEEN3c108BFloat16EJSJ_fEEEviT0_T1_T2_T3_T4_T5_
                                        ; -- End function
	.set _ZN2at6native39vectorized_templated_elementwise_kernelILi4EZZZNS0_12prelu_kernelERNS_14TensorIteratorEENKUlvE_clEvENKUlvE0_clEvEUlffE_St5arrayIPcLm3EE23TrivialOffsetCalculatorILi2EjESA_ILi1EjENS0_6memory12LoadWithCastILi2EEENSD_13StoreWithCastILi1EEEN3c108BFloat16EJSJ_fEEEviT0_T1_T2_T3_T4_T5_.num_vgpr, max(78, .L_ZN2at6native25elementwise_kernel_helperILb1EZZZNS0_12prelu_kernelERNS_14TensorIteratorEENKUlvE_clEvENKUlvE0_clEvEUlffE_NS0_6memory8policies11unroll_baseILi512ESt5arrayIPcLm3EE23TrivialOffsetCalculatorILi2EjESD_ILi1EjENS7_12LoadWithCastILi2EEENS7_13StoreWithCastILi1EEELi32ELi1EEEEEvT0_T1_.num_vgpr)
	.set _ZN2at6native39vectorized_templated_elementwise_kernelILi4EZZZNS0_12prelu_kernelERNS_14TensorIteratorEENKUlvE_clEvENKUlvE0_clEvEUlffE_St5arrayIPcLm3EE23TrivialOffsetCalculatorILi2EjESA_ILi1EjENS0_6memory12LoadWithCastILi2EEENSD_13StoreWithCastILi1EEEN3c108BFloat16EJSJ_fEEEviT0_T1_T2_T3_T4_T5_.num_agpr, max(0, .L_ZN2at6native25elementwise_kernel_helperILb1EZZZNS0_12prelu_kernelERNS_14TensorIteratorEENKUlvE_clEvENKUlvE0_clEvEUlffE_NS0_6memory8policies11unroll_baseILi512ESt5arrayIPcLm3EE23TrivialOffsetCalculatorILi2EjESD_ILi1EjENS7_12LoadWithCastILi2EEENS7_13StoreWithCastILi1EEELi32ELi1EEEEEvT0_T1_.num_agpr)
	.set _ZN2at6native39vectorized_templated_elementwise_kernelILi4EZZZNS0_12prelu_kernelERNS_14TensorIteratorEENKUlvE_clEvENKUlvE0_clEvEUlffE_St5arrayIPcLm3EE23TrivialOffsetCalculatorILi2EjESA_ILi1EjENS0_6memory12LoadWithCastILi2EEENSD_13StoreWithCastILi1EEEN3c108BFloat16EJSJ_fEEEviT0_T1_T2_T3_T4_T5_.numbered_sgpr, max(36, .L_ZN2at6native25elementwise_kernel_helperILb1EZZZNS0_12prelu_kernelERNS_14TensorIteratorEENKUlvE_clEvENKUlvE0_clEvEUlffE_NS0_6memory8policies11unroll_baseILi512ESt5arrayIPcLm3EE23TrivialOffsetCalculatorILi2EjESD_ILi1EjENS7_12LoadWithCastILi2EEENS7_13StoreWithCastILi1EEELi32ELi1EEEEEvT0_T1_.numbered_sgpr)
	.set _ZN2at6native39vectorized_templated_elementwise_kernelILi4EZZZNS0_12prelu_kernelERNS_14TensorIteratorEENKUlvE_clEvENKUlvE0_clEvEUlffE_St5arrayIPcLm3EE23TrivialOffsetCalculatorILi2EjESA_ILi1EjENS0_6memory12LoadWithCastILi2EEENSD_13StoreWithCastILi1EEEN3c108BFloat16EJSJ_fEEEviT0_T1_T2_T3_T4_T5_.num_named_barrier, max(0, .L_ZN2at6native25elementwise_kernel_helperILb1EZZZNS0_12prelu_kernelERNS_14TensorIteratorEENKUlvE_clEvENKUlvE0_clEvEUlffE_NS0_6memory8policies11unroll_baseILi512ESt5arrayIPcLm3EE23TrivialOffsetCalculatorILi2EjESD_ILi1EjENS7_12LoadWithCastILi2EEENS7_13StoreWithCastILi1EEELi32ELi1EEEEEvT0_T1_.num_named_barrier)
	.set _ZN2at6native39vectorized_templated_elementwise_kernelILi4EZZZNS0_12prelu_kernelERNS_14TensorIteratorEENKUlvE_clEvENKUlvE0_clEvEUlffE_St5arrayIPcLm3EE23TrivialOffsetCalculatorILi2EjESA_ILi1EjENS0_6memory12LoadWithCastILi2EEENSD_13StoreWithCastILi1EEEN3c108BFloat16EJSJ_fEEEviT0_T1_T2_T3_T4_T5_.private_seg_size, 0+max(.L_ZN2at6native25elementwise_kernel_helperILb1EZZZNS0_12prelu_kernelERNS_14TensorIteratorEENKUlvE_clEvENKUlvE0_clEvEUlffE_NS0_6memory8policies11unroll_baseILi512ESt5arrayIPcLm3EE23TrivialOffsetCalculatorILi2EjESD_ILi1EjENS7_12LoadWithCastILi2EEENS7_13StoreWithCastILi1EEELi32ELi1EEEEEvT0_T1_.private_seg_size)
	.set _ZN2at6native39vectorized_templated_elementwise_kernelILi4EZZZNS0_12prelu_kernelERNS_14TensorIteratorEENKUlvE_clEvENKUlvE0_clEvEUlffE_St5arrayIPcLm3EE23TrivialOffsetCalculatorILi2EjESA_ILi1EjENS0_6memory12LoadWithCastILi2EEENSD_13StoreWithCastILi1EEEN3c108BFloat16EJSJ_fEEEviT0_T1_T2_T3_T4_T5_.uses_vcc, or(1, .L_ZN2at6native25elementwise_kernel_helperILb1EZZZNS0_12prelu_kernelERNS_14TensorIteratorEENKUlvE_clEvENKUlvE0_clEvEUlffE_NS0_6memory8policies11unroll_baseILi512ESt5arrayIPcLm3EE23TrivialOffsetCalculatorILi2EjESD_ILi1EjENS7_12LoadWithCastILi2EEENS7_13StoreWithCastILi1EEELi32ELi1EEEEEvT0_T1_.uses_vcc)
	.set _ZN2at6native39vectorized_templated_elementwise_kernelILi4EZZZNS0_12prelu_kernelERNS_14TensorIteratorEENKUlvE_clEvENKUlvE0_clEvEUlffE_St5arrayIPcLm3EE23TrivialOffsetCalculatorILi2EjESA_ILi1EjENS0_6memory12LoadWithCastILi2EEENSD_13StoreWithCastILi1EEEN3c108BFloat16EJSJ_fEEEviT0_T1_T2_T3_T4_T5_.uses_flat_scratch, or(0, .L_ZN2at6native25elementwise_kernel_helperILb1EZZZNS0_12prelu_kernelERNS_14TensorIteratorEENKUlvE_clEvENKUlvE0_clEvEUlffE_NS0_6memory8policies11unroll_baseILi512ESt5arrayIPcLm3EE23TrivialOffsetCalculatorILi2EjESD_ILi1EjENS7_12LoadWithCastILi2EEENS7_13StoreWithCastILi1EEELi32ELi1EEEEEvT0_T1_.uses_flat_scratch)
	.set _ZN2at6native39vectorized_templated_elementwise_kernelILi4EZZZNS0_12prelu_kernelERNS_14TensorIteratorEENKUlvE_clEvENKUlvE0_clEvEUlffE_St5arrayIPcLm3EE23TrivialOffsetCalculatorILi2EjESA_ILi1EjENS0_6memory12LoadWithCastILi2EEENSD_13StoreWithCastILi1EEEN3c108BFloat16EJSJ_fEEEviT0_T1_T2_T3_T4_T5_.has_dyn_sized_stack, or(0, .L_ZN2at6native25elementwise_kernel_helperILb1EZZZNS0_12prelu_kernelERNS_14TensorIteratorEENKUlvE_clEvENKUlvE0_clEvEUlffE_NS0_6memory8policies11unroll_baseILi512ESt5arrayIPcLm3EE23TrivialOffsetCalculatorILi2EjESD_ILi1EjENS7_12LoadWithCastILi2EEENS7_13StoreWithCastILi1EEELi32ELi1EEEEEvT0_T1_.has_dyn_sized_stack)
	.set _ZN2at6native39vectorized_templated_elementwise_kernelILi4EZZZNS0_12prelu_kernelERNS_14TensorIteratorEENKUlvE_clEvENKUlvE0_clEvEUlffE_St5arrayIPcLm3EE23TrivialOffsetCalculatorILi2EjESA_ILi1EjENS0_6memory12LoadWithCastILi2EEENSD_13StoreWithCastILi1EEEN3c108BFloat16EJSJ_fEEEviT0_T1_T2_T3_T4_T5_.has_recursion, or(0, .L_ZN2at6native25elementwise_kernel_helperILb1EZZZNS0_12prelu_kernelERNS_14TensorIteratorEENKUlvE_clEvENKUlvE0_clEvEUlffE_NS0_6memory8policies11unroll_baseILi512ESt5arrayIPcLm3EE23TrivialOffsetCalculatorILi2EjESD_ILi1EjENS7_12LoadWithCastILi2EEENS7_13StoreWithCastILi1EEELi32ELi1EEEEEvT0_T1_.has_recursion)
	.set _ZN2at6native39vectorized_templated_elementwise_kernelILi4EZZZNS0_12prelu_kernelERNS_14TensorIteratorEENKUlvE_clEvENKUlvE0_clEvEUlffE_St5arrayIPcLm3EE23TrivialOffsetCalculatorILi2EjESA_ILi1EjENS0_6memory12LoadWithCastILi2EEENSD_13StoreWithCastILi1EEEN3c108BFloat16EJSJ_fEEEviT0_T1_T2_T3_T4_T5_.has_indirect_call, or(0, .L_ZN2at6native25elementwise_kernel_helperILb1EZZZNS0_12prelu_kernelERNS_14TensorIteratorEENKUlvE_clEvENKUlvE0_clEvEUlffE_NS0_6memory8policies11unroll_baseILi512ESt5arrayIPcLm3EE23TrivialOffsetCalculatorILi2EjESD_ILi1EjENS7_12LoadWithCastILi2EEENS7_13StoreWithCastILi1EEELi32ELi1EEEEEvT0_T1_.has_indirect_call)
	.section	.AMDGPU.csdata,"",@progbits
; Kernel info:
; codeLenInByte = 4324
; TotalNumSgprs: 98
; NumVgprs: 120
; ScratchSize: 272
; MemoryBound: 0
; FloatMode: 240
; IeeeMode: 1
; LDSByteSize: 0 bytes/workgroup (compile time only)
; SGPRBlocks: 0
; VGPRBlocks: 7
; NumSGPRsForWavesPerEU: 98
; NumVGPRsForWavesPerEU: 120
; NamedBarCnt: 0
; Occupancy: 8
; WaveLimiterHint : 1
; COMPUTE_PGM_RSRC2:SCRATCH_EN: 1
; COMPUTE_PGM_RSRC2:USER_SGPR: 2
; COMPUTE_PGM_RSRC2:TRAP_HANDLER: 0
; COMPUTE_PGM_RSRC2:TGID_X_EN: 1
; COMPUTE_PGM_RSRC2:TGID_Y_EN: 0
; COMPUTE_PGM_RSRC2:TGID_Z_EN: 0
; COMPUTE_PGM_RSRC2:TIDIG_COMP_CNT: 0
	.section	.text._ZN2at6native39vectorized_templated_elementwise_kernelILi2EZZZNS0_12prelu_kernelERNS_14TensorIteratorEENKUlvE_clEvENKUlvE0_clEvEUlffE_St5arrayIPcLm3EE23TrivialOffsetCalculatorILi2EjESA_ILi1EjENS0_6memory12LoadWithCastILi2EEENSD_13StoreWithCastILi1EEEN3c108BFloat16EJSJ_fEEEviT0_T1_T2_T3_T4_T5_,"axG",@progbits,_ZN2at6native39vectorized_templated_elementwise_kernelILi2EZZZNS0_12prelu_kernelERNS_14TensorIteratorEENKUlvE_clEvENKUlvE0_clEvEUlffE_St5arrayIPcLm3EE23TrivialOffsetCalculatorILi2EjESA_ILi1EjENS0_6memory12LoadWithCastILi2EEENSD_13StoreWithCastILi1EEEN3c108BFloat16EJSJ_fEEEviT0_T1_T2_T3_T4_T5_,comdat
	.globl	_ZN2at6native39vectorized_templated_elementwise_kernelILi2EZZZNS0_12prelu_kernelERNS_14TensorIteratorEENKUlvE_clEvENKUlvE0_clEvEUlffE_St5arrayIPcLm3EE23TrivialOffsetCalculatorILi2EjESA_ILi1EjENS0_6memory12LoadWithCastILi2EEENSD_13StoreWithCastILi1EEEN3c108BFloat16EJSJ_fEEEviT0_T1_T2_T3_T4_T5_ ; -- Begin function _ZN2at6native39vectorized_templated_elementwise_kernelILi2EZZZNS0_12prelu_kernelERNS_14TensorIteratorEENKUlvE_clEvENKUlvE0_clEvEUlffE_St5arrayIPcLm3EE23TrivialOffsetCalculatorILi2EjESA_ILi1EjENS0_6memory12LoadWithCastILi2EEENSD_13StoreWithCastILi1EEEN3c108BFloat16EJSJ_fEEEviT0_T1_T2_T3_T4_T5_
	.p2align	8
	.type	_ZN2at6native39vectorized_templated_elementwise_kernelILi2EZZZNS0_12prelu_kernelERNS_14TensorIteratorEENKUlvE_clEvENKUlvE0_clEvEUlffE_St5arrayIPcLm3EE23TrivialOffsetCalculatorILi2EjESA_ILi1EjENS0_6memory12LoadWithCastILi2EEENSD_13StoreWithCastILi1EEEN3c108BFloat16EJSJ_fEEEviT0_T1_T2_T3_T4_T5_,@function
_ZN2at6native39vectorized_templated_elementwise_kernelILi2EZZZNS0_12prelu_kernelERNS_14TensorIteratorEENKUlvE_clEvENKUlvE0_clEvEUlffE_St5arrayIPcLm3EE23TrivialOffsetCalculatorILi2EjESA_ILi1EjENS0_6memory12LoadWithCastILi2EEENSD_13StoreWithCastILi1EEEN3c108BFloat16EJSJ_fEEEviT0_T1_T2_T3_T4_T5_: ; @_ZN2at6native39vectorized_templated_elementwise_kernelILi2EZZZNS0_12prelu_kernelERNS_14TensorIteratorEENKUlvE_clEvENKUlvE0_clEvEUlffE_St5arrayIPcLm3EE23TrivialOffsetCalculatorILi2EjESA_ILi1EjENS0_6memory12LoadWithCastILi2EEENSD_13StoreWithCastILi1EEEN3c108BFloat16EJSJ_fEEEviT0_T1_T2_T3_T4_T5_
; %bb.0:
	s_clause 0x2
	s_load_b32 s2, s[0:1], 0x38
	s_load_b32 s3, s[0:1], 0x0
	s_load_b64 s[20:21], s[0:1], 0x18
	s_bfe_u32 s4, ttmp6, 0x4000c
	s_load_b128 s[16:19], s[0:1], 0x8
	s_add_co_i32 s4, s4, 1
	s_and_b32 s5, ttmp6, 15
	s_mul_i32 s4, ttmp9, s4
	s_getreg_b32 s6, hwreg(HW_REG_IB_STS2, 6, 4)
	s_add_co_i32 s5, s5, s4
	s_cmp_eq_u32 s6, 0
	s_mov_b32 s32, 0
	s_cselect_b32 s4, ttmp9, s5
	s_delay_alu instid0(SALU_CYCLE_1) | instskip(SKIP_2) | instid1(SALU_CYCLE_1)
	s_not_b32 s4, s4
	s_wait_kmcnt 0x0
	s_add_co_i32 s2, s2, s4
	s_lshl_b32 s2, s2, 14
	s_delay_alu instid0(SALU_CYCLE_1)
	s_sub_co_i32 s24, s3, s2
	s_mov_b32 s3, -1
	s_cmp_gt_i32 s24, 0x3fff
	s_cbranch_scc1 .LBB23_3
; %bb.1:
	s_and_not1_b32 vcc_lo, exec_lo, s3
	s_cbranch_vccz .LBB23_4
.LBB23_2:
	s_sendmsg sendmsg(MSG_DEALLOC_VGPRS)
	s_endpgm
.LBB23_3:
	s_ashr_i32 s3, s2, 31
	s_delay_alu instid0(SALU_CYCLE_1)
	s_lshl_b64 s[14:15], s[2:3], 1
	s_lshl_b64 s[2:3], s[2:3], 2
	s_add_nc_u64 s[6:7], s[18:19], s[14:15]
	s_add_nc_u64 s[4:5], s[20:21], s[2:3]
	s_clause 0x1b
	global_load_b32 v1, v0, s[6:7] scale_offset
	global_load_b32 v2, v0, s[6:7] offset:2048 scale_offset
	global_load_b32 v3, v0, s[6:7] offset:4096 scale_offset
	;; [unrolled: 1-line block ×8, first 2 shown]
	global_load_b64 v[8:9], v0, s[4:5] scale_offset
	global_load_b32 v23, v0, s[6:7] offset:18432 scale_offset
	global_load_b32 v52, v0, s[6:7] offset:20480 scale_offset
	global_load_b64 v[10:11], v0, s[4:5] offset:4096 scale_offset
	global_load_b32 v53, v0, s[6:7] offset:22528 scale_offset
	global_load_b64 v[46:47], v0, s[4:5] offset:8192 scale_offset
	global_load_b32 v54, v0, s[6:7] offset:24576 scale_offset
	global_load_b64 v[12:13], v0, s[4:5] offset:16384 scale_offset
	global_load_b64 v[44:45], v0, s[4:5] offset:20480 scale_offset
	global_load_b64 v[42:43], v0, s[4:5] offset:24576 scale_offset
	;; [unrolled: 1-line block ×6, first 2 shown]
	global_load_b32 v55, v0, s[6:7] offset:26624 scale_offset
	global_load_b64 v[30:31], v0, s[4:5] offset:40960 scale_offset
	global_load_b32 v56, v0, s[6:7] offset:28672 scale_offset
	global_load_b64 v[4:5], v0, s[4:5] offset:45056 scale_offset
	global_load_b32 v57, v0, s[6:7] offset:30720 scale_offset
	s_add_nc_u64 s[22:23], s[16:17], s[14:15]
	s_wait_loadcnt 0x12
	v_cmp_o_f32_e32 vcc_lo, v9, v9
	s_wait_loadcnt 0x11
	v_and_b32_e32 v27, 0xffff0000, v23
	v_cmp_o_f32_e64 s2, v8, v8
	v_lshlrev_b32_e32 v26, 16, v23
	s_wait_loadcnt 0x10
	v_and_b32_e32 v23, 0xffff0000, v52
	s_wait_loadcnt 0x9
	s_wait_xcnt 0x0
	v_cmp_o_f32_e64 s6, v42, v42
	v_dual_lshlrev_b32 v48, 16, v1 :: v_dual_lshlrev_b32 v50, 16, v2
	v_and_b32_e32 v51, 0xffff0000, v2
	v_lshrrev_b32_e32 v2, 16, v8
	v_and_b32_e32 v49, 0xffff0000, v1
	v_dual_lshlrev_b32 v28, 16, v7 :: v_dual_lshlrev_b32 v24, 16, v16
	v_and_b32_e32 v25, 0xffff0000, v16
	v_dual_lshlrev_b32 v16, 16, v22 :: v_dual_lshrrev_b32 v1, 16, v9
	v_and_b32_e32 v2, 1, v2
	v_and_b32_e32 v15, 0xffff0000, v3
	v_dual_lshlrev_b32 v14, 16, v3 :: v_dual_lshlrev_b32 v34, 16, v6
	v_and_b32_e32 v35, 0xffff0000, v6
	v_and_b32_e32 v29, 0xffff0000, v7
	;; [unrolled: 1-line block ×3, first 2 shown]
	v_lshlrev_b32_e32 v20, 16, v17
	v_and_b32_e32 v17, 0xffff0000, v22
	v_dual_lshlrev_b32 v22, 16, v52 :: v_dual_bitop2_b32 v1, 1, v1 bitop3:0x40
	v_lshrrev_b32_e32 v52, 16, v11
	v_add3_u32 v59, v8, v2, 0x7fff
	s_clause 0x1
	global_load_b64 v[6:7], v0, s[4:5] offset:49152 scale_offset
	global_load_b64 v[2:3], v0, s[4:5] offset:53248 scale_offset
	v_lshrrev_b32_e32 v58, 16, v10
	v_add3_u32 v1, v9, v1, 0x7fff
	v_and_b32_e32 v52, 1, v52
	v_and_b32_e32 v59, 0xffff0000, v59
	;; [unrolled: 1-line block ×3, first 2 shown]
	v_dual_lshlrev_b32 v8, 16, v53 :: v_dual_bitop2_b32 v58, 1, v58 bitop3:0x40
	v_and_b32_e32 v1, 0xffff0000, v1
	v_add3_u32 v60, v11, v52, 0x7fff
	v_cndmask_b32_e64 v52, 0x7fc00000, v59, s2
	s_delay_alu instid0(VALU_DEP_4)
	v_add3_u32 v58, v10, v58, 0x7fff
	v_cmp_o_f32_e64 s2, v10, v10
	v_cndmask_b32_e32 v53, 0x7fc00000, v1, vcc_lo
	v_and_b32_e32 v59, 0xffff0000, v60
	v_cmp_o_f32_e32 vcc_lo, v11, v11
	v_and_b32_e32 v58, 0xffff0000, v58
	v_lshrrev_b32_e32 v60, 16, v46
	v_pk_mul_f32 v[10:11], v[52:53], v[48:49]
	v_cmp_lt_f32_e64 s3, 0, v15
	v_cndmask_b32_e32 v53, 0x7fc00000, v59, vcc_lo
	v_cmp_lt_f32_e32 vcc_lo, 0, v49
	v_lshrrev_b32_e32 v1, 16, v47
	v_cndmask_b32_e64 v52, 0x7fc00000, v58, s2
	v_and_b32_e32 v60, 1, v60
	v_cmp_o_f32_e64 s2, v46, v46
	v_cndmask_b32_e32 v58, v11, v49, vcc_lo
	v_cmp_lt_f32_e32 vcc_lo, 0, v48
	v_and_b32_e32 v1, 1, v1
	v_and_b32_e32 v11, 0xffff0000, v54
	s_wait_loadcnt 0xa
	v_cmp_o_f32_e64 s7, v41, v41
	v_cmp_o_f32_e64 s8, v40, v40
	v_dual_cndmask_b32 v59, v10, v48 :: v_dual_lshlrev_b32 v10, 16, v54
	v_pk_mul_f32 v[48:49], v[52:53], v[50:51]
	v_cmp_lt_f32_e32 vcc_lo, 0, v51
	v_add3_u32 v1, v47, v1, 0x7fff
	v_lshrrev_b32_e32 v52, 16, v13
	v_add3_u32 v53, v46, v60, 0x7fff
	v_dual_lshrrev_b32 v54, 16, v44 :: v_dual_lshrrev_b32 v60, 16, v43
	v_cndmask_b32_e32 v51, v49, v51, vcc_lo
	v_cmp_lt_f32_e32 vcc_lo, 0, v50
	v_and_b32_e32 v1, 0xffff0000, v1
	v_and_b32_e32 v53, 0xffff0000, v53
	v_dual_lshrrev_b32 v49, 16, v45 :: v_dual_bitop2_b32 v52, 1, v52 bitop3:0x40
	v_cndmask_b32_e32 v50, v48, v50, vcc_lo
	v_cmp_o_f32_e32 vcc_lo, v47, v47
	s_delay_alu instid0(VALU_DEP_4)
	v_cndmask_b32_e64 v46, 0x7fc00000, v53, s2
	v_dual_lshrrev_b32 v48, 16, v12 :: v_dual_bitop2_b32 v53, 1, v54 bitop3:0x40
	v_and_b32_e32 v54, 1, v60
	v_cndmask_b32_e32 v47, 0x7fc00000, v1, vcc_lo
	v_lshrrev_b32_e32 v1, 16, v42
	v_add3_u32 v52, v13, v52, 0x7fff
	v_cmp_o_f32_e32 vcc_lo, v13, v13
	v_cmp_o_f32_e64 s2, v12, v12
	v_add3_u32 v53, v44, v53, 0x7fff
	v_and_b32_e32 v1, 1, v1
	s_wait_loadcnt 0x9
	v_cmp_o_f32_e64 s9, v39, v39
	v_cmp_o_f32_e64 s10, v38, v38
	s_wait_loadcnt 0x8
	v_cmp_o_f32_e64 s11, v36, v36
	v_cmp_o_f32_e64 s12, v37, v37
	v_add3_u32 v1, v42, v1, 0x7fff
	v_lshrrev_b32_e32 v42, 16, v39
	v_pk_mul_f32 v[46:47], v[46:47], v[14:15]
	v_and_b32_e32 v48, 1, v48
	v_cmp_lt_f32_e64 s13, 0, v35
	v_and_b32_e32 v52, 0xffff0000, v52
	s_delay_alu instid0(VALU_DEP_4)
	v_dual_cndmask_b32 v60, v47, v15, s3 :: v_dual_bitop2_b32 v42, 1, v42 bitop3:0x40
	v_cmp_lt_f32_e64 s3, 0, v14
	v_and_b32_e32 v49, 1, v49
	v_add3_u32 v48, v12, v48, 0x7fff
	v_and_b32_e32 v1, 0xffff0000, v1
	s_wait_loadcnt 0x5
	v_cmp_o_f32_e64 s14, v30, v30
	v_cndmask_b32_e64 v61, v46, v14, s3
	s_clause 0x1
	global_load_b64 v[14:15], v0, s[4:5] offset:57344 scale_offset
	global_load_b64 v[12:13], v0, s[4:5] offset:61440 scale_offset
	v_add3_u32 v49, v45, v49, 0x7fff
	v_cmp_o_f32_e64 s3, v45, v45
	s_wait_xcnt 0x0
	v_cmp_o_f32_e64 s4, v44, v44
	v_dual_lshrrev_b32 v44, 16, v41 :: v_dual_lshrrev_b32 v45, 16, v40
	v_add3_u32 v46, v43, v54, 0x7fff
	v_cmp_o_f32_e64 s5, v43, v43
	s_delay_alu instid0(VALU_DEP_3) | instskip(NEXT) | instid1(VALU_DEP_4)
	v_dual_lshrrev_b32 v43, 16, v38 :: v_dual_bitop2_b32 v44, 1, v44 bitop3:0x40
	v_and_b32_e32 v45, 1, v45
	v_and_b32_e32 v47, 0xffff0000, v49
	;; [unrolled: 1-line block ×3, first 2 shown]
	s_delay_alu instid0(VALU_DEP_4)
	v_and_b32_e32 v43, 1, v43
	v_and_b32_e32 v48, 0xffff0000, v48
	v_add3_u32 v45, v40, v45, 0x7fff
	v_lshrrev_b32_e32 v40, 16, v37
	v_add3_u32 v44, v41, v44, 0x7fff
	v_lshrrev_b32_e32 v41, 16, v36
	;; [unrolled: 2-line block ×3, first 2 shown]
	v_add3_u32 v42, v39, v42, 0x7fff
	v_and_b32_e32 v39, 1, v40
	v_dual_lshrrev_b32 v41, 16, v32 :: v_dual_bitop2_b32 v40, 1, v41 bitop3:0x40
	s_delay_alu instid0(VALU_DEP_4) | instskip(NEXT) | instid1(VALU_DEP_4)
	v_and_b32_e32 v38, 1, v38
	v_and_b32_e32 v53, 0xffff0000, v42
	;; [unrolled: 1-line block ×3, first 2 shown]
	s_delay_alu instid0(VALU_DEP_4)
	v_add3_u32 v40, v36, v40, 0x7fff
	v_lshlrev_b32_e32 v36, 16, v55
	v_add3_u32 v39, v37, v39, 0x7fff
	v_add3_u32 v42, v33, v38, 0x7fff
	v_and_b32_e32 v19, 0xffff0000, v18
	v_and_b32_e32 v40, 0xffff0000, v40
	v_lshlrev_b32_e32 v18, 16, v18
	v_and_b32_e32 v38, 0xffff0000, v39
	v_and_b32_e32 v44, 0xffff0000, v44
	v_and_b32_e32 v45, 0xffff0000, v45
	v_and_b32_e32 v54, 0xffff0000, v43
	v_and_b32_e32 v37, 0xffff0000, v55
	v_cndmask_b32_e64 v39, 0x7fc00000, v38, s12
	v_cndmask_b32_e64 v38, 0x7fc00000, v40, s11
	v_lshrrev_b32_e32 v40, 16, v31
	v_cmp_o_f32_e64 s12, v32, v32
	v_cmp_o_f32_e64 s11, v33, v33
	s_wait_loadcnt 0x6
	v_and_b32_e32 v33, 0xffff0000, v56
	v_pk_mul_f32 v[38:39], v[38:39], v[34:35]
	v_and_b32_e32 v41, 1, v41
	v_and_b32_e32 v55, 0xffff0000, v42
	v_cndmask_b32_e64 v43, 0x7fc00000, v44, s7
	v_cndmask_b32_e64 v42, 0x7fc00000, v45, s8
	v_cndmask_b32_e64 v63, v39, v35, s13
	v_cmp_lt_f32_e64 s13, 0, v34
	v_add3_u32 v41, v32, v41, 0x7fff
	v_dual_lshrrev_b32 v32, 16, v30 :: v_dual_bitop2_b32 v35, 1, v40 bitop3:0x40
	v_cndmask_b32_e64 v40, 0x7fc00000, v1, s6
	s_wait_loadcnt 0x5
	v_dual_cndmask_b32 v64, v38, v34, s13 :: v_dual_lshrrev_b32 v34, 16, v5
	s_delay_alu instid0(VALU_DEP_3)
	v_and_b32_e32 v38, 1, v32
	v_lshlrev_b32_e32 v32, 16, v56
	v_and_b32_e32 v62, 0xffff0000, v41
	v_cndmask_b32_e64 v41, 0x7fc00000, v46, s5
	v_and_b32_e32 v34, 1, v34
	v_add3_u32 v38, v30, v38, 0x7fff
	s_wait_loadcnt 0x4
	v_lshlrev_b32_e32 v30, 16, v57
	v_add3_u32 v35, v31, v35, 0x7fff
	v_pk_mul_f32 v[40:41], v[40:41], v[20:21]
	v_add3_u32 v34, v5, v34, 0x7fff
	v_lshrrev_b32_e32 v39, 16, v4
	v_and_b32_e32 v65, 0xffff0000, v38
	v_and_b32_e32 v56, 0xffff0000, v35
	v_cndmask_b32_e32 v35, 0x7fc00000, v52, vcc_lo
	v_and_b32_e32 v66, 0xffff0000, v34
	v_cndmask_b32_e64 v34, 0x7fc00000, v48, s2
	v_cmp_lt_f32_e32 vcc_lo, 0, v29
	v_cmp_o_f32_e64 s13, v31, v31
	v_and_b32_e32 v31, 0xffff0000, v57
	v_cndmask_b32_e64 v38, 0x7fc00000, v49, s4
	v_pk_mul_f32 v[34:35], v[34:35], v[28:29]
	v_pk_mul_f32 v[42:43], v[42:43], v[18:19]
	v_cndmask_b32_e64 v45, 0x7fc00000, v53, s9
	v_cndmask_b32_e64 v44, 0x7fc00000, v54, s10
	;; [unrolled: 1-line block ×3, first 2 shown]
	v_cndmask_b32_e32 v1, v35, v29, vcc_lo
	v_cmp_lt_f32_e32 vcc_lo, 0, v28
	v_and_b32_e32 v39, 1, v39
	v_pk_mul_f32 v[44:45], v[44:45], v[16:17]
	v_cndmask_b32_e64 v49, 0x7fc00000, v56, s13
	v_cndmask_b32_e64 v48, 0x7fc00000, v65, s14
	v_cndmask_b32_e32 v28, v34, v28, vcc_lo
	v_add3_u32 v57, v4, v39, 0x7fff
	v_cndmask_b32_e64 v39, 0x7fc00000, v47, s3
	v_cmp_lt_f32_e32 vcc_lo, 0, v25
	v_cndmask_b32_e64 v47, 0x7fc00000, v55, s11
	v_pk_mul_f32 v[48:49], v[48:49], v[22:23]
	v_bfe_u32 v29, v59, 16, 1
	v_pk_mul_f32 v[38:39], v[38:39], v[24:25]
	v_bfe_u32 v34, v58, 16, 1
	;; [unrolled: 2-line block ×3, first 2 shown]
	v_add3_u32 v29, v59, v29, 0x7fff
	v_cndmask_b32_e32 v25, v39, v25, vcc_lo
	v_cmp_lt_f32_e32 vcc_lo, 0, v24
	v_add3_u32 v34, v58, v34, 0x7fff
	v_add3_u32 v35, v50, v35, 0x7fff
	v_bfe_u32 v39, v61, 16, 1
	v_cmp_o_f32_e64 s3, v51, v51
	v_cndmask_b32_e32 v24, v38, v24, vcc_lo
	v_cmp_lt_f32_e32 vcc_lo, 0, v21
	v_and_b32_e32 v34, 0xffff0000, v34
	v_add3_u32 v39, v61, v39, 0x7fff
	v_bfe_u32 v38, v51, 16, 1
	v_cmp_o_f32_e64 s4, v50, v50
	v_cndmask_b32_e32 v21, v41, v21, vcc_lo
	v_cmp_lt_f32_e32 vcc_lo, 0, v20
	v_bfe_u32 v41, v64, 16, 1
	v_lshrrev_b32_e32 v29, 16, v29
	v_add3_u32 v38, v51, v38, 0x7fff
	v_cmp_o_f32_e64 s2, v59, v59
	v_cndmask_b32_e32 v20, v40, v20, vcc_lo
	v_cmp_lt_f32_e32 vcc_lo, 0, v19
	v_add3_u32 v41, v64, v41, 0x7fff
	v_lshrrev_b32_e32 v35, 16, v35
	v_bfe_u32 v40, v60, 16, 1
	v_and_b32_e32 v38, 0xffff0000, v38
	v_cndmask_b32_e32 v19, v43, v19, vcc_lo
	v_cmp_lt_f32_e32 vcc_lo, 0, v18
	v_bfe_u32 v43, v28, 16, 1
	v_lshrrev_b32_e32 v41, 16, v41
	v_add3_u32 v40, v60, v40, 0x7fff
	v_bfe_u32 v52, v19, 16, 1
	v_cndmask_b32_e32 v18, v42, v18, vcc_lo
	v_cmp_lt_f32_e32 vcc_lo, 0, v17
	v_add3_u32 v43, v28, v43, 0x7fff
	v_bfe_u32 v42, v63, 16, 1
	v_add3_u32 v52, v19, v52, 0x7fff
	v_and_b32_e32 v40, 0xffff0000, v40
	v_cndmask_b32_e32 v17, v45, v17, vcc_lo
	v_cmp_lt_f32_e32 vcc_lo, 0, v16
	v_bfe_u32 v45, v24, 16, 1
	v_and_b32_e32 v52, 0xffff0000, v52
	v_add3_u32 v42, v63, v42, 0x7fff
	v_bfe_u32 v51, v17, 16, 1
	v_cndmask_b32_e32 v16, v44, v16, vcc_lo
	v_cmp_lt_f32_e32 vcc_lo, 0, v27
	v_bfe_u32 v44, v1, 16, 1
	v_add3_u32 v45, v24, v45, 0x7fff
	v_lshrrev_b32_e32 v39, 16, v39
	v_add3_u32 v51, v17, v51, 0x7fff
	v_cndmask_b32_e32 v27, v47, v27, vcc_lo
	v_cmp_lt_f32_e32 vcc_lo, 0, v26
	v_add3_u32 v44, v1, v44, 0x7fff
	v_bfe_u32 v47, v20, 16, 1
	v_lshrrev_b32_e32 v45, 16, v45
	v_bfe_u32 v53, v16, 16, 1
	v_cndmask_b32_e32 v26, v46, v26, vcc_lo
	v_cmp_lt_f32_e32 vcc_lo, 0, v23
	v_bfe_u32 v46, v25, 16, 1
	v_and_b32_e32 v44, 0xffff0000, v44
	v_add3_u32 v47, v20, v47, 0x7fff
	v_add3_u32 v53, v16, v53, 0x7fff
	v_cndmask_b32_e32 v23, v49, v23, vcc_lo
	v_cmp_lt_f32_e32 vcc_lo, 0, v22
	v_bfe_u32 v49, v18, 16, 1
	v_add3_u32 v46, v25, v46, 0x7fff
	v_dual_lshrrev_b32 v47, 16, v47 :: v_dual_lshrrev_b32 v53, 16, v53
	v_cndmask_b32_e32 v22, v48, v22, vcc_lo
	v_cmp_o_f32_e32 vcc_lo, v58, v58
	v_add3_u32 v49, v18, v49, 0x7fff
	v_lshrrev_b32_e32 v43, 16, v43
	v_bfe_u32 v48, v21, 16, 1
	v_bfe_u32 v55, v22, 16, 1
	v_cndmask_b32_e32 v34, 0x7fc00000, v34, vcc_lo
	v_cmp_o_f32_e32 vcc_lo, v64, v64
	v_and_b32_e32 v46, 0xffff0000, v46
	v_lshrrev_b32_e32 v49, 16, v49
	v_add3_u32 v55, v22, v55, 0x7fff
	v_add3_u32 v48, v21, v48, 0x7fff
	v_cndmask_b32_e32 v41, 0x7fc0, v41, vcc_lo
	v_cmp_o_f32_e32 vcc_lo, v1, v1
	v_bfe_u32 v54, v27, 16, 1
	v_lshrrev_b32_e32 v55, 16, v55
	v_and_b32_e32 v48, 0xffff0000, v48
	v_and_b32_e32 v51, 0xffff0000, v51
	v_cndmask_b32_e32 v1, 0x7fc00000, v44, vcc_lo
	v_cmp_o_f32_e32 vcc_lo, v28, v28
	v_bfe_u32 v50, v26, 16, 1
	v_add3_u32 v54, v27, v54, 0x7fff
	v_cmp_o_f32_e64 s5, v60, v60
	v_cmp_o_f32_e64 s6, v61, v61
	v_cndmask_b32_e32 v28, 0x7fc0, v43, vcc_lo
	v_cmp_o_f32_e32 vcc_lo, v25, v25
	v_add3_u32 v50, v26, v50, 0x7fff
	v_and_b32_e32 v54, 0xffff0000, v54
	v_and_b32_e32 v42, 0xffff0000, v42
	v_cmp_o_f32_e64 s7, v63, v63
	v_cndmask_b32_e32 v25, 0x7fc00000, v46, vcc_lo
	v_cmp_o_f32_e32 vcc_lo, v24, v24
	v_lshrrev_b32_e32 v50, 16, v50
	v_cndmask_b32_e64 v29, 0x7fc0, v29, s2
	v_cndmask_b32_e64 v38, 0x7fc00000, v38, s3
	;; [unrolled: 1-line block ×3, first 2 shown]
	v_cndmask_b32_e32 v24, 0x7fc0, v45, vcc_lo
	v_cmp_o_f32_e32 vcc_lo, v21, v21
	v_cndmask_b32_e64 v40, 0x7fc00000, v40, s5
	v_cndmask_b32_e64 v39, 0x7fc0, v39, s6
	;; [unrolled: 1-line block ×3, first 2 shown]
	v_bfe_u32 v56, v23, 16, 1
	v_cndmask_b32_e32 v21, 0x7fc00000, v48, vcc_lo
	v_cmp_o_f32_e32 vcc_lo, v20, v20
	v_or_b32_e32 v29, v34, v29
	v_or_b32_e32 v34, v38, v35
	;; [unrolled: 1-line block ×4, first 2 shown]
	v_cndmask_b32_e32 v20, 0x7fc0, v47, vcc_lo
	v_cmp_o_f32_e32 vcc_lo, v19, v19
	v_or_b32_e32 v1, v1, v28
	v_add3_u32 v56, v23, v56, 0x7fff
	s_delay_alu instid0(VALU_DEP_4) | instskip(SKIP_2) | instid1(VALU_DEP_4)
	v_or_b32_e32 v20, v21, v20
	v_cndmask_b32_e32 v19, 0x7fc00000, v52, vcc_lo
	v_cmp_o_f32_e32 vcc_lo, v18, v18
	v_and_b32_e32 v56, 0xffff0000, v56
	v_cndmask_b32_e32 v18, 0x7fc0, v49, vcc_lo
	v_cmp_o_f32_e32 vcc_lo, v17, v17
	s_delay_alu instid0(VALU_DEP_2) | instskip(SKIP_4) | instid1(VALU_DEP_2)
	v_or_b32_e32 v18, v19, v18
	v_cndmask_b32_e32 v17, 0x7fc00000, v51, vcc_lo
	v_cmp_o_f32_e32 vcc_lo, v16, v16
	v_cndmask_b32_e32 v16, 0x7fc0, v53, vcc_lo
	v_cmp_o_f32_e32 vcc_lo, v27, v27
	v_or_b32_e32 v16, v17, v16
	v_cndmask_b32_e32 v27, 0x7fc00000, v54, vcc_lo
	v_cmp_o_f32_e32 vcc_lo, v26, v26
	s_wait_loadcnt 0x3
	v_dual_lshrrev_b32 v17, 16, v7 :: v_dual_bitop2_b32 v24, v25, v24 bitop3:0x54
	s_clause 0x7
	global_store_b32 v0, v29, s[22:23] scale_offset
	global_store_b32 v0, v34, s[22:23] offset:2048 scale_offset
	global_store_b32 v0, v35, s[22:23] offset:4096 scale_offset
	;; [unrolled: 1-line block ×7, first 2 shown]
	s_wait_xcnt 0x3
	v_and_b32_e32 v1, 0xffff0000, v57
	v_cndmask_b32_e32 v26, 0x7fc0, v50, vcc_lo
	v_cmp_o_f32_e32 vcc_lo, v5, v5
	s_wait_xcnt 0x0
	v_lshrrev_b32_e32 v18, 16, v6
	v_cndmask_b32_e32 v5, 0x7fc00000, v66, vcc_lo
	v_cmp_o_f32_e32 vcc_lo, v4, v4
	s_delay_alu instid0(VALU_DEP_3) | instskip(SKIP_3) | instid1(VALU_DEP_4)
	v_and_b32_e32 v18, 1, v18
	v_cndmask_b32_e32 v4, 0x7fc00000, v1, vcc_lo
	v_cmp_o_f32_e32 vcc_lo, v23, v23
	v_and_b32_e32 v1, 1, v17
	v_add3_u32 v18, v6, v18, 0x7fff
	s_delay_alu instid0(VALU_DEP_4)
	v_pk_mul_f32 v[4:5], v[4:5], v[8:9]
	v_cndmask_b32_e32 v17, 0x7fc00000, v56, vcc_lo
	v_cmp_o_f32_e32 vcc_lo, v22, v22
	v_add3_u32 v1, v7, v1, 0x7fff
	v_cndmask_b32_e32 v19, 0x7fc0, v55, vcc_lo
	v_cmp_lt_f32_e32 vcc_lo, 0, v8
	s_delay_alu instid0(VALU_DEP_3) | instskip(NEXT) | instid1(VALU_DEP_3)
	v_and_b32_e32 v1, 0xffff0000, v1
	v_dual_cndmask_b32 v8, v4, v8, vcc_lo :: v_dual_bitop2_b32 v17, v17, v19 bitop3:0x54
	v_cmp_lt_f32_e32 vcc_lo, 0, v9
	v_and_b32_e32 v4, 0xffff0000, v18
	s_delay_alu instid0(VALU_DEP_3)
	v_bfe_u32 v18, v8, 16, 1
	v_cndmask_b32_e32 v9, v5, v9, vcc_lo
	v_cmp_o_f32_e32 vcc_lo, v7, v7
	v_cndmask_b32_e32 v5, 0x7fc00000, v1, vcc_lo
	v_cmp_o_f32_e32 vcc_lo, v6, v6
	v_add3_u32 v1, v8, v18, 0x7fff
	v_bfe_u32 v6, v9, 16, 1
	s_wait_loadcnt 0x2
	v_lshrrev_b32_e32 v18, 16, v3
	v_cndmask_b32_e32 v4, 0x7fc00000, v4, vcc_lo
	v_cmp_lt_f32_e32 vcc_lo, 0, v11
	v_add3_u32 v6, v9, v6, 0x7fff
	v_lshrrev_b32_e32 v1, 16, v1
	s_delay_alu instid0(VALU_DEP_4) | instskip(NEXT) | instid1(VALU_DEP_3)
	v_pk_mul_f32 v[4:5], v[4:5], v[10:11]
	v_and_b32_e32 v6, 0xffff0000, v6
	s_delay_alu instid0(VALU_DEP_2) | instskip(SKIP_4) | instid1(VALU_DEP_3)
	v_cndmask_b32_e32 v5, v5, v11, vcc_lo
	v_cmp_lt_f32_e32 vcc_lo, 0, v10
	v_lshrrev_b32_e32 v11, 16, v2
	v_cndmask_b32_e32 v4, v4, v10, vcc_lo
	v_and_b32_e32 v10, 1, v18
	v_and_b32_e32 v11, 1, v11
	v_cmp_o_f32_e32 vcc_lo, v9, v9
	v_bfe_u32 v18, v5, 16, 1
	v_bfe_u32 v19, v4, 16, 1
	v_add3_u32 v10, v3, v10, 0x7fff
	v_add3_u32 v11, v2, v11, 0x7fff
	v_cndmask_b32_e32 v6, 0x7fc00000, v6, vcc_lo
	v_cmp_o_f32_e32 vcc_lo, v3, v3
	v_add3_u32 v18, v5, v18, 0x7fff
	v_and_b32_e32 v9, 0xffff0000, v10
	v_and_b32_e32 v11, 0xffff0000, v11
	v_add3_u32 v10, v4, v19, 0x7fff
	s_delay_alu instid0(VALU_DEP_4) | instskip(NEXT) | instid1(VALU_DEP_4)
	v_and_b32_e32 v18, 0xffff0000, v18
	v_cndmask_b32_e32 v3, 0x7fc00000, v9, vcc_lo
	v_cmp_o_f32_e32 vcc_lo, v2, v2
	v_cndmask_b32_e32 v2, 0x7fc00000, v11, vcc_lo
	v_cmp_o_f32_e32 vcc_lo, v8, v8
	v_lshrrev_b32_e32 v8, 16, v10
	s_delay_alu instid0(VALU_DEP_3) | instskip(SKIP_3) | instid1(VALU_DEP_2)
	v_pk_mul_f32 v[2:3], v[2:3], v[36:37]
	v_cndmask_b32_e32 v1, 0x7fc0, v1, vcc_lo
	v_cmp_o_f32_e32 vcc_lo, v5, v5
	s_wait_loadcnt 0x1
	v_dual_lshrrev_b32 v5, 16, v15 :: v_dual_bitop2_b32 v1, v6, v1 bitop3:0x54
	v_cndmask_b32_e32 v9, 0x7fc00000, v18, vcc_lo
	v_cmp_o_f32_e32 vcc_lo, v4, v4
	s_wait_loadcnt 0x0
	v_dual_lshrrev_b32 v4, 16, v14 :: v_dual_lshrrev_b32 v18, 16, v12
	v_cndmask_b32_e32 v8, 0x7fc0, v8, vcc_lo
	v_cmp_lt_f32_e32 vcc_lo, 0, v36
	s_delay_alu instid0(VALU_DEP_3) | instskip(NEXT) | instid1(VALU_DEP_3)
	v_and_b32_e32 v18, 1, v18
	v_or_b32_e32 v6, v9, v8
	v_dual_cndmask_b32 v10, v2, v36, vcc_lo :: v_dual_bitop2_b32 v2, 1, v5 bitop3:0x40
	v_cmp_lt_f32_e32 vcc_lo, 0, v37
	v_lshrrev_b32_e32 v5, 16, v13
	s_delay_alu instid0(VALU_DEP_3) | instskip(SKIP_1) | instid1(VALU_DEP_3)
	v_add3_u32 v2, v15, v2, 0x7fff
	v_dual_cndmask_b32 v11, v3, v37, vcc_lo :: v_dual_bitop2_b32 v3, 1, v4 bitop3:0x40
	v_and_b32_e32 v5, 1, v5
	v_cmp_o_f32_e32 vcc_lo, v15, v15
	s_delay_alu instid0(VALU_DEP_4)
	v_and_b32_e32 v2, 0xffff0000, v2
	v_bfe_u32 v4, v10, 16, 1
	v_add3_u32 v3, v14, v3, 0x7fff
	v_add3_u32 v5, v13, v5, 0x7fff
	;; [unrolled: 1-line block ×3, first 2 shown]
	v_bfe_u32 v19, v11, 16, 1
	s_delay_alu instid0(VALU_DEP_4)
	v_and_b32_e32 v20, 0xffff0000, v3
	v_cndmask_b32_e32 v3, 0x7fc00000, v2, vcc_lo
	v_cmp_o_f32_e32 vcc_lo, v14, v14
	v_add3_u32 v14, v10, v4, 0x7fff
	v_and_b32_e32 v4, 0xffff0000, v5
	v_and_b32_e32 v15, 0xffff0000, v15
	v_add3_u32 v18, v11, v19, 0x7fff
	v_cndmask_b32_e32 v2, 0x7fc00000, v20, vcc_lo
	v_cmp_o_f32_e32 vcc_lo, v13, v13
	v_lshrrev_b32_e32 v14, 16, v14
	s_delay_alu instid0(VALU_DEP_3)
	v_pk_mul_f32 v[2:3], v[2:3], v[32:33]
	v_cndmask_b32_e32 v5, 0x7fc00000, v4, vcc_lo
	v_cmp_o_f32_e32 vcc_lo, v12, v12
	v_cndmask_b32_e32 v4, 0x7fc00000, v15, vcc_lo
	v_cmp_lt_f32_e32 vcc_lo, 0, v32
	v_cndmask_b32_e32 v12, v2, v32, vcc_lo
	v_cmp_lt_f32_e32 vcc_lo, 0, v33
	v_cndmask_b32_e32 v13, v3, v33, vcc_lo
	v_pk_mul_f32 v[2:3], v[4:5], v[30:31]
	v_cmp_lt_f32_e32 vcc_lo, 0, v31
	v_and_b32_e32 v4, 0xffff0000, v18
	v_bfe_u32 v5, v12, 16, 1
	v_bfe_u32 v15, v13, 16, 1
	v_cndmask_b32_e32 v3, v3, v31, vcc_lo
	v_cmp_lt_f32_e32 vcc_lo, 0, v30
	s_delay_alu instid0(VALU_DEP_4)
	v_add3_u32 v5, v12, v5, 0x7fff
	v_cndmask_b32_e32 v2, v2, v30, vcc_lo
	v_cmp_o_f32_e32 vcc_lo, v11, v11
	v_add3_u32 v11, v13, v15, 0x7fff
	v_bfe_u32 v15, v3, 16, 1
	v_lshrrev_b32_e32 v5, 16, v5
	v_bfe_u32 v18, v2, 16, 1
	v_cndmask_b32_e32 v4, 0x7fc00000, v4, vcc_lo
	v_cmp_o_f32_e32 vcc_lo, v10, v10
	v_and_b32_e32 v11, 0xffff0000, v11
	v_cndmask_b32_e32 v10, 0x7fc0, v14, vcc_lo
	v_cmp_o_f32_e32 vcc_lo, v13, v13
	v_add3_u32 v14, v3, v15, 0x7fff
	v_add3_u32 v15, v2, v18, 0x7fff
	s_delay_alu instid0(VALU_DEP_4)
	v_or_b32_e32 v4, v4, v10
	v_cndmask_b32_e32 v11, 0x7fc00000, v11, vcc_lo
	v_cmp_o_f32_e32 vcc_lo, v12, v12
	v_and_b32_e32 v13, 0xffff0000, v14
	v_dual_lshrrev_b32 v14, 16, v15 :: v_dual_bitop2_b32 v7, v27, v26 bitop3:0x54
	v_cndmask_b32_e32 v5, 0x7fc0, v5, vcc_lo
	v_cmp_o_f32_e32 vcc_lo, v3, v3
	s_delay_alu instid0(VALU_DEP_2) | instskip(SKIP_3) | instid1(VALU_DEP_1)
	v_or_b32_e32 v5, v11, v5
	v_cndmask_b32_e32 v3, 0x7fc00000, v13, vcc_lo
	v_cmp_o_f32_e32 vcc_lo, v2, v2
	v_cndmask_b32_e32 v2, 0x7fc0, v14, vcc_lo
	v_or_b32_e32 v2, v3, v2
	s_clause 0x7
	global_store_b32 v0, v16, s[22:23] offset:16384 scale_offset
	global_store_b32 v0, v7, s[22:23] offset:18432 scale_offset
	;; [unrolled: 1-line block ×8, first 2 shown]
	s_cbranch_execnz .LBB23_2
.LBB23_4:
	s_clause 0x1
	s_load_b32 s2, s[0:1], 0x24
	s_load_b128 s[4:7], s[0:1], 0x28
	v_dual_mov_b32 v31, v0 :: v_dual_mov_b32 v0, s16
	v_dual_mov_b32 v1, s17 :: v_dual_mov_b32 v2, s18
	;; [unrolled: 1-line block ×4, first 2 shown]
	s_add_nc_u64 s[8:9], s[0:1], 56
	s_wait_xcnt 0x0
	s_get_pc_i64 s[0:1]
	s_add_nc_u64 s[0:1], s[0:1], _ZN2at6native25elementwise_kernel_helperILb1EZZZNS0_12prelu_kernelERNS_14TensorIteratorEENKUlvE_clEvENKUlvE0_clEvEUlffE_NS0_6memory8policies11unroll_baseILi512ESt5arrayIPcLm3EE23TrivialOffsetCalculatorILi2EjESD_ILi1EjENS7_12LoadWithCastILi2EEENS7_13StoreWithCastILi1EEELi32ELi1EEEEEvT0_T1_@rel64+4
	s_wait_kmcnt 0x0
	s_bfe_u32 s3, s2, 0x80008
	v_dual_mov_b32 v7, s2 :: v_dual_mov_b32 v9, s4
	v_dual_mov_b32 v10, s5 :: v_dual_mov_b32 v11, s6
	;; [unrolled: 1-line block ×3, first 2 shown]
	s_swap_pc_i64 s[30:31], s[0:1]
	s_endpgm
	.section	.rodata,"a",@progbits
	.p2align	6, 0x0
	.amdhsa_kernel _ZN2at6native39vectorized_templated_elementwise_kernelILi2EZZZNS0_12prelu_kernelERNS_14TensorIteratorEENKUlvE_clEvENKUlvE0_clEvEUlffE_St5arrayIPcLm3EE23TrivialOffsetCalculatorILi2EjESA_ILi1EjENS0_6memory12LoadWithCastILi2EEENSD_13StoreWithCastILi1EEEN3c108BFloat16EJSJ_fEEEviT0_T1_T2_T3_T4_T5_
		.amdhsa_group_segment_fixed_size 0
		.amdhsa_private_segment_fixed_size 272
		.amdhsa_kernarg_size 312
		.amdhsa_user_sgpr_count 2
		.amdhsa_user_sgpr_dispatch_ptr 0
		.amdhsa_user_sgpr_queue_ptr 0
		.amdhsa_user_sgpr_kernarg_segment_ptr 1
		.amdhsa_user_sgpr_dispatch_id 0
		.amdhsa_user_sgpr_kernarg_preload_length 0
		.amdhsa_user_sgpr_kernarg_preload_offset 0
		.amdhsa_user_sgpr_private_segment_size 0
		.amdhsa_wavefront_size32 1
		.amdhsa_uses_dynamic_stack 0
		.amdhsa_enable_private_segment 1
		.amdhsa_system_sgpr_workgroup_id_x 1
		.amdhsa_system_sgpr_workgroup_id_y 0
		.amdhsa_system_sgpr_workgroup_id_z 0
		.amdhsa_system_sgpr_workgroup_info 0
		.amdhsa_system_vgpr_workitem_id 0
		.amdhsa_next_free_vgpr 120
		.amdhsa_next_free_sgpr 96
		.amdhsa_named_barrier_count 0
		.amdhsa_reserve_vcc 1
		.amdhsa_float_round_mode_32 0
		.amdhsa_float_round_mode_16_64 0
		.amdhsa_float_denorm_mode_32 3
		.amdhsa_float_denorm_mode_16_64 3
		.amdhsa_fp16_overflow 0
		.amdhsa_memory_ordered 1
		.amdhsa_forward_progress 1
		.amdhsa_inst_pref_size 36
		.amdhsa_round_robin_scheduling 0
		.amdhsa_exception_fp_ieee_invalid_op 0
		.amdhsa_exception_fp_denorm_src 0
		.amdhsa_exception_fp_ieee_div_zero 0
		.amdhsa_exception_fp_ieee_overflow 0
		.amdhsa_exception_fp_ieee_underflow 0
		.amdhsa_exception_fp_ieee_inexact 0
		.amdhsa_exception_int_div_zero 0
	.end_amdhsa_kernel
	.section	.text._ZN2at6native39vectorized_templated_elementwise_kernelILi2EZZZNS0_12prelu_kernelERNS_14TensorIteratorEENKUlvE_clEvENKUlvE0_clEvEUlffE_St5arrayIPcLm3EE23TrivialOffsetCalculatorILi2EjESA_ILi1EjENS0_6memory12LoadWithCastILi2EEENSD_13StoreWithCastILi1EEEN3c108BFloat16EJSJ_fEEEviT0_T1_T2_T3_T4_T5_,"axG",@progbits,_ZN2at6native39vectorized_templated_elementwise_kernelILi2EZZZNS0_12prelu_kernelERNS_14TensorIteratorEENKUlvE_clEvENKUlvE0_clEvEUlffE_St5arrayIPcLm3EE23TrivialOffsetCalculatorILi2EjESA_ILi1EjENS0_6memory12LoadWithCastILi2EEENSD_13StoreWithCastILi1EEEN3c108BFloat16EJSJ_fEEEviT0_T1_T2_T3_T4_T5_,comdat
.Lfunc_end23:
	.size	_ZN2at6native39vectorized_templated_elementwise_kernelILi2EZZZNS0_12prelu_kernelERNS_14TensorIteratorEENKUlvE_clEvENKUlvE0_clEvEUlffE_St5arrayIPcLm3EE23TrivialOffsetCalculatorILi2EjESA_ILi1EjENS0_6memory12LoadWithCastILi2EEENSD_13StoreWithCastILi1EEEN3c108BFloat16EJSJ_fEEEviT0_T1_T2_T3_T4_T5_, .Lfunc_end23-_ZN2at6native39vectorized_templated_elementwise_kernelILi2EZZZNS0_12prelu_kernelERNS_14TensorIteratorEENKUlvE_clEvENKUlvE0_clEvEUlffE_St5arrayIPcLm3EE23TrivialOffsetCalculatorILi2EjESA_ILi1EjENS0_6memory12LoadWithCastILi2EEENSD_13StoreWithCastILi1EEEN3c108BFloat16EJSJ_fEEEviT0_T1_T2_T3_T4_T5_
                                        ; -- End function
	.set _ZN2at6native39vectorized_templated_elementwise_kernelILi2EZZZNS0_12prelu_kernelERNS_14TensorIteratorEENKUlvE_clEvENKUlvE0_clEvEUlffE_St5arrayIPcLm3EE23TrivialOffsetCalculatorILi2EjESA_ILi1EjENS0_6memory12LoadWithCastILi2EEENSD_13StoreWithCastILi1EEEN3c108BFloat16EJSJ_fEEEviT0_T1_T2_T3_T4_T5_.num_vgpr, max(67, .L_ZN2at6native25elementwise_kernel_helperILb1EZZZNS0_12prelu_kernelERNS_14TensorIteratorEENKUlvE_clEvENKUlvE0_clEvEUlffE_NS0_6memory8policies11unroll_baseILi512ESt5arrayIPcLm3EE23TrivialOffsetCalculatorILi2EjESD_ILi1EjENS7_12LoadWithCastILi2EEENS7_13StoreWithCastILi1EEELi32ELi1EEEEEvT0_T1_.num_vgpr)
	.set _ZN2at6native39vectorized_templated_elementwise_kernelILi2EZZZNS0_12prelu_kernelERNS_14TensorIteratorEENKUlvE_clEvENKUlvE0_clEvEUlffE_St5arrayIPcLm3EE23TrivialOffsetCalculatorILi2EjESA_ILi1EjENS0_6memory12LoadWithCastILi2EEENSD_13StoreWithCastILi1EEEN3c108BFloat16EJSJ_fEEEviT0_T1_T2_T3_T4_T5_.num_agpr, max(0, .L_ZN2at6native25elementwise_kernel_helperILb1EZZZNS0_12prelu_kernelERNS_14TensorIteratorEENKUlvE_clEvENKUlvE0_clEvEUlffE_NS0_6memory8policies11unroll_baseILi512ESt5arrayIPcLm3EE23TrivialOffsetCalculatorILi2EjESD_ILi1EjENS7_12LoadWithCastILi2EEENS7_13StoreWithCastILi1EEELi32ELi1EEEEEvT0_T1_.num_agpr)
	.set _ZN2at6native39vectorized_templated_elementwise_kernelILi2EZZZNS0_12prelu_kernelERNS_14TensorIteratorEENKUlvE_clEvENKUlvE0_clEvEUlffE_St5arrayIPcLm3EE23TrivialOffsetCalculatorILi2EjESA_ILi1EjENS0_6memory12LoadWithCastILi2EEENSD_13StoreWithCastILi1EEEN3c108BFloat16EJSJ_fEEEviT0_T1_T2_T3_T4_T5_.numbered_sgpr, max(33, .L_ZN2at6native25elementwise_kernel_helperILb1EZZZNS0_12prelu_kernelERNS_14TensorIteratorEENKUlvE_clEvENKUlvE0_clEvEUlffE_NS0_6memory8policies11unroll_baseILi512ESt5arrayIPcLm3EE23TrivialOffsetCalculatorILi2EjESD_ILi1EjENS7_12LoadWithCastILi2EEENS7_13StoreWithCastILi1EEELi32ELi1EEEEEvT0_T1_.numbered_sgpr)
	.set _ZN2at6native39vectorized_templated_elementwise_kernelILi2EZZZNS0_12prelu_kernelERNS_14TensorIteratorEENKUlvE_clEvENKUlvE0_clEvEUlffE_St5arrayIPcLm3EE23TrivialOffsetCalculatorILi2EjESA_ILi1EjENS0_6memory12LoadWithCastILi2EEENSD_13StoreWithCastILi1EEEN3c108BFloat16EJSJ_fEEEviT0_T1_T2_T3_T4_T5_.num_named_barrier, max(0, .L_ZN2at6native25elementwise_kernel_helperILb1EZZZNS0_12prelu_kernelERNS_14TensorIteratorEENKUlvE_clEvENKUlvE0_clEvEUlffE_NS0_6memory8policies11unroll_baseILi512ESt5arrayIPcLm3EE23TrivialOffsetCalculatorILi2EjESD_ILi1EjENS7_12LoadWithCastILi2EEENS7_13StoreWithCastILi1EEELi32ELi1EEEEEvT0_T1_.num_named_barrier)
	.set _ZN2at6native39vectorized_templated_elementwise_kernelILi2EZZZNS0_12prelu_kernelERNS_14TensorIteratorEENKUlvE_clEvENKUlvE0_clEvEUlffE_St5arrayIPcLm3EE23TrivialOffsetCalculatorILi2EjESA_ILi1EjENS0_6memory12LoadWithCastILi2EEENSD_13StoreWithCastILi1EEEN3c108BFloat16EJSJ_fEEEviT0_T1_T2_T3_T4_T5_.private_seg_size, 0+max(.L_ZN2at6native25elementwise_kernel_helperILb1EZZZNS0_12prelu_kernelERNS_14TensorIteratorEENKUlvE_clEvENKUlvE0_clEvEUlffE_NS0_6memory8policies11unroll_baseILi512ESt5arrayIPcLm3EE23TrivialOffsetCalculatorILi2EjESD_ILi1EjENS7_12LoadWithCastILi2EEENS7_13StoreWithCastILi1EEELi32ELi1EEEEEvT0_T1_.private_seg_size)
	.set _ZN2at6native39vectorized_templated_elementwise_kernelILi2EZZZNS0_12prelu_kernelERNS_14TensorIteratorEENKUlvE_clEvENKUlvE0_clEvEUlffE_St5arrayIPcLm3EE23TrivialOffsetCalculatorILi2EjESA_ILi1EjENS0_6memory12LoadWithCastILi2EEENSD_13StoreWithCastILi1EEEN3c108BFloat16EJSJ_fEEEviT0_T1_T2_T3_T4_T5_.uses_vcc, or(1, .L_ZN2at6native25elementwise_kernel_helperILb1EZZZNS0_12prelu_kernelERNS_14TensorIteratorEENKUlvE_clEvENKUlvE0_clEvEUlffE_NS0_6memory8policies11unroll_baseILi512ESt5arrayIPcLm3EE23TrivialOffsetCalculatorILi2EjESD_ILi1EjENS7_12LoadWithCastILi2EEENS7_13StoreWithCastILi1EEELi32ELi1EEEEEvT0_T1_.uses_vcc)
	.set _ZN2at6native39vectorized_templated_elementwise_kernelILi2EZZZNS0_12prelu_kernelERNS_14TensorIteratorEENKUlvE_clEvENKUlvE0_clEvEUlffE_St5arrayIPcLm3EE23TrivialOffsetCalculatorILi2EjESA_ILi1EjENS0_6memory12LoadWithCastILi2EEENSD_13StoreWithCastILi1EEEN3c108BFloat16EJSJ_fEEEviT0_T1_T2_T3_T4_T5_.uses_flat_scratch, or(0, .L_ZN2at6native25elementwise_kernel_helperILb1EZZZNS0_12prelu_kernelERNS_14TensorIteratorEENKUlvE_clEvENKUlvE0_clEvEUlffE_NS0_6memory8policies11unroll_baseILi512ESt5arrayIPcLm3EE23TrivialOffsetCalculatorILi2EjESD_ILi1EjENS7_12LoadWithCastILi2EEENS7_13StoreWithCastILi1EEELi32ELi1EEEEEvT0_T1_.uses_flat_scratch)
	.set _ZN2at6native39vectorized_templated_elementwise_kernelILi2EZZZNS0_12prelu_kernelERNS_14TensorIteratorEENKUlvE_clEvENKUlvE0_clEvEUlffE_St5arrayIPcLm3EE23TrivialOffsetCalculatorILi2EjESA_ILi1EjENS0_6memory12LoadWithCastILi2EEENSD_13StoreWithCastILi1EEEN3c108BFloat16EJSJ_fEEEviT0_T1_T2_T3_T4_T5_.has_dyn_sized_stack, or(0, .L_ZN2at6native25elementwise_kernel_helperILb1EZZZNS0_12prelu_kernelERNS_14TensorIteratorEENKUlvE_clEvENKUlvE0_clEvEUlffE_NS0_6memory8policies11unroll_baseILi512ESt5arrayIPcLm3EE23TrivialOffsetCalculatorILi2EjESD_ILi1EjENS7_12LoadWithCastILi2EEENS7_13StoreWithCastILi1EEELi32ELi1EEEEEvT0_T1_.has_dyn_sized_stack)
	.set _ZN2at6native39vectorized_templated_elementwise_kernelILi2EZZZNS0_12prelu_kernelERNS_14TensorIteratorEENKUlvE_clEvENKUlvE0_clEvEUlffE_St5arrayIPcLm3EE23TrivialOffsetCalculatorILi2EjESA_ILi1EjENS0_6memory12LoadWithCastILi2EEENSD_13StoreWithCastILi1EEEN3c108BFloat16EJSJ_fEEEviT0_T1_T2_T3_T4_T5_.has_recursion, or(0, .L_ZN2at6native25elementwise_kernel_helperILb1EZZZNS0_12prelu_kernelERNS_14TensorIteratorEENKUlvE_clEvENKUlvE0_clEvEUlffE_NS0_6memory8policies11unroll_baseILi512ESt5arrayIPcLm3EE23TrivialOffsetCalculatorILi2EjESD_ILi1EjENS7_12LoadWithCastILi2EEENS7_13StoreWithCastILi1EEELi32ELi1EEEEEvT0_T1_.has_recursion)
	.set _ZN2at6native39vectorized_templated_elementwise_kernelILi2EZZZNS0_12prelu_kernelERNS_14TensorIteratorEENKUlvE_clEvENKUlvE0_clEvEUlffE_St5arrayIPcLm3EE23TrivialOffsetCalculatorILi2EjESA_ILi1EjENS0_6memory12LoadWithCastILi2EEENSD_13StoreWithCastILi1EEEN3c108BFloat16EJSJ_fEEEviT0_T1_T2_T3_T4_T5_.has_indirect_call, or(0, .L_ZN2at6native25elementwise_kernel_helperILb1EZZZNS0_12prelu_kernelERNS_14TensorIteratorEENKUlvE_clEvENKUlvE0_clEvEUlffE_NS0_6memory8policies11unroll_baseILi512ESt5arrayIPcLm3EE23TrivialOffsetCalculatorILi2EjESD_ILi1EjENS7_12LoadWithCastILi2EEENS7_13StoreWithCastILi1EEELi32ELi1EEEEEvT0_T1_.has_indirect_call)
	.section	.AMDGPU.csdata,"",@progbits
; Kernel info:
; codeLenInByte = 4516
; TotalNumSgprs: 98
; NumVgprs: 120
; ScratchSize: 272
; MemoryBound: 0
; FloatMode: 240
; IeeeMode: 1
; LDSByteSize: 0 bytes/workgroup (compile time only)
; SGPRBlocks: 0
; VGPRBlocks: 7
; NumSGPRsForWavesPerEU: 98
; NumVGPRsForWavesPerEU: 120
; NamedBarCnt: 0
; Occupancy: 8
; WaveLimiterHint : 1
; COMPUTE_PGM_RSRC2:SCRATCH_EN: 1
; COMPUTE_PGM_RSRC2:USER_SGPR: 2
; COMPUTE_PGM_RSRC2:TRAP_HANDLER: 0
; COMPUTE_PGM_RSRC2:TGID_X_EN: 1
; COMPUTE_PGM_RSRC2:TGID_Y_EN: 0
; COMPUTE_PGM_RSRC2:TGID_Z_EN: 0
; COMPUTE_PGM_RSRC2:TIDIG_COMP_CNT: 0
	.section	.text._ZN2at6native39vectorized_templated_elementwise_kernelILi8EZZZNS0_12prelu_kernelERNS_14TensorIteratorEENKUlvE_clEvENKUlvE0_clEvEUlffE_St5arrayIPcLm3EE23TrivialOffsetCalculatorILi2EjESA_ILi1EjENS0_6memory12LoadWithCastILi2EEENSD_13StoreWithCastILi1EEEfJfN3c104HalfEEEEviT0_T1_T2_T3_T4_T5_,"axG",@progbits,_ZN2at6native39vectorized_templated_elementwise_kernelILi8EZZZNS0_12prelu_kernelERNS_14TensorIteratorEENKUlvE_clEvENKUlvE0_clEvEUlffE_St5arrayIPcLm3EE23TrivialOffsetCalculatorILi2EjESA_ILi1EjENS0_6memory12LoadWithCastILi2EEENSD_13StoreWithCastILi1EEEfJfN3c104HalfEEEEviT0_T1_T2_T3_T4_T5_,comdat
	.globl	_ZN2at6native39vectorized_templated_elementwise_kernelILi8EZZZNS0_12prelu_kernelERNS_14TensorIteratorEENKUlvE_clEvENKUlvE0_clEvEUlffE_St5arrayIPcLm3EE23TrivialOffsetCalculatorILi2EjESA_ILi1EjENS0_6memory12LoadWithCastILi2EEENSD_13StoreWithCastILi1EEEfJfN3c104HalfEEEEviT0_T1_T2_T3_T4_T5_ ; -- Begin function _ZN2at6native39vectorized_templated_elementwise_kernelILi8EZZZNS0_12prelu_kernelERNS_14TensorIteratorEENKUlvE_clEvENKUlvE0_clEvEUlffE_St5arrayIPcLm3EE23TrivialOffsetCalculatorILi2EjESA_ILi1EjENS0_6memory12LoadWithCastILi2EEENSD_13StoreWithCastILi1EEEfJfN3c104HalfEEEEviT0_T1_T2_T3_T4_T5_
	.p2align	8
	.type	_ZN2at6native39vectorized_templated_elementwise_kernelILi8EZZZNS0_12prelu_kernelERNS_14TensorIteratorEENKUlvE_clEvENKUlvE0_clEvEUlffE_St5arrayIPcLm3EE23TrivialOffsetCalculatorILi2EjESA_ILi1EjENS0_6memory12LoadWithCastILi2EEENSD_13StoreWithCastILi1EEEfJfN3c104HalfEEEEviT0_T1_T2_T3_T4_T5_,@function
_ZN2at6native39vectorized_templated_elementwise_kernelILi8EZZZNS0_12prelu_kernelERNS_14TensorIteratorEENKUlvE_clEvENKUlvE0_clEvEUlffE_St5arrayIPcLm3EE23TrivialOffsetCalculatorILi2EjESA_ILi1EjENS0_6memory12LoadWithCastILi2EEENSD_13StoreWithCastILi1EEEfJfN3c104HalfEEEEviT0_T1_T2_T3_T4_T5_: ; @_ZN2at6native39vectorized_templated_elementwise_kernelILi8EZZZNS0_12prelu_kernelERNS_14TensorIteratorEENKUlvE_clEvENKUlvE0_clEvEUlffE_St5arrayIPcLm3EE23TrivialOffsetCalculatorILi2EjESA_ILi1EjENS0_6memory12LoadWithCastILi2EEENSD_13StoreWithCastILi1EEEfJfN3c104HalfEEEEviT0_T1_T2_T3_T4_T5_
; %bb.0:
	s_clause 0x2
	s_load_b32 s8, s[0:1], 0x38
	s_load_b32 s9, s[0:1], 0x0
	s_load_b64 s[2:3], s[0:1], 0x18
	s_bfe_u32 s10, ttmp6, 0x4000c
	s_load_b128 s[4:7], s[0:1], 0x8
	s_add_co_i32 s10, s10, 1
	s_and_b32 s11, ttmp6, 15
	s_mul_i32 s10, ttmp9, s10
	s_getreg_b32 s12, hwreg(HW_REG_IB_STS2, 6, 4)
	s_add_co_i32 s11, s11, s10
	s_cmp_eq_u32 s12, 0
	s_mov_b32 s32, 0
	s_cselect_b32 s10, ttmp9, s11
	s_delay_alu instid0(SALU_CYCLE_1) | instskip(SKIP_4) | instid1(SALU_CYCLE_1)
	s_not_b32 s10, s10
	s_wait_kmcnt 0x0
	s_add_co_i32 s8, s8, s10
	s_mov_b32 s10, -1
	s_lshl_b32 s8, s8, 14
	s_sub_co_i32 s12, s9, s8
	s_delay_alu instid0(SALU_CYCLE_1)
	s_cmp_gt_i32 s12, 0x3fff
	s_cbranch_scc1 .LBB24_3
; %bb.1:
	s_and_not1_b32 vcc_lo, exec_lo, s10
	s_cbranch_vccz .LBB24_4
.LBB24_2:
	s_sendmsg sendmsg(MSG_DEALLOC_VGPRS)
	s_endpgm
.LBB24_3:
	s_ashr_i32 s9, s8, 31
	s_delay_alu instid0(SALU_CYCLE_1)
	s_lshl_b64 s[10:11], s[8:9], 1
	s_lshl_b64 s[8:9], s[8:9], 2
	s_add_nc_u64 s[10:11], s[2:3], s[10:11]
	s_clause 0x3
	global_load_b128 v[2:5], v0, s[10:11] scale_offset
	global_load_b128 v[6:9], v0, s[10:11] offset:8192 scale_offset
	global_load_b128 v[10:13], v0, s[10:11] offset:16384 scale_offset
	global_load_b128 v[14:17], v0, s[10:11] offset:24576 scale_offset
	v_lshlrev_b32_e32 v1, 5, v0
	s_wait_xcnt 0x0
	s_add_nc_u64 s[10:11], s[6:7], s[8:9]
	s_add_nc_u64 s[8:9], s[4:5], s[8:9]
	s_wait_loadcnt 0x3
	v_cvt_f32_f16_e32 v26, v2
	v_lshrrev_b32_e32 v2, 16, v2
	s_clause 0x1
	global_load_b128 v[18:21], v1, s[10:11] offset:16
	global_load_b128 v[22:25], v1, s[10:11]
	v_cvt_f32_f16_e32 v28, v3
	v_dual_lshrrev_b32 v3, 16, v3 :: v_dual_lshrrev_b32 v31, 16, v4
	v_cvt_f32_f16_e32 v30, v4
	v_cvt_f32_f16_e32 v32, v5
	v_lshrrev_b32_e32 v33, 16, v5
	v_cvt_f32_f16_e32 v27, v2
	v_cvt_f32_f16_e32 v29, v3
	global_load_b128 v[2:5], v1, s[10:11] offset:16384
	s_wait_loadcnt 0x5
	v_cvt_f32_f16_e32 v34, v6
	v_lshrrev_b32_e32 v6, 16, v6
	v_cvt_f32_f16_e32 v36, v7
	v_dual_lshrrev_b32 v7, 16, v7 :: v_dual_lshrrev_b32 v39, 16, v8
	v_cvt_f32_f16_e32 v38, v8
	v_cvt_f32_f16_e32 v40, v9
	v_lshrrev_b32_e32 v41, 16, v9
	v_cvt_f32_f16_e32 v35, v6
	v_cvt_f32_f16_e32 v37, v7
	global_load_b128 v[6:9], v1, s[10:11] offset:16400
	s_wait_loadcnt 0x5
	v_cvt_f32_f16_e32 v42, v10
	v_lshrrev_b32_e32 v10, 16, v10
	v_cvt_f32_f16_e32 v44, v11
	v_lshrrev_b32_e32 v11, 16, v11
	;; [unrolled: 2-line block ×4, first 2 shown]
	s_wait_loadcnt 0x4
	v_cvt_f32_f16_e32 v50, v14
	v_lshrrev_b32_e32 v14, 16, v14
	v_cvt_f32_f16_e32 v52, v15
	v_lshrrev_b32_e32 v15, 16, v15
	v_cvt_f32_f16_e32 v54, v16
	v_lshrrev_b32_e32 v16, 16, v16
	v_cvt_f32_f16_e32 v56, v17
	v_cvt_f32_f16_e32 v43, v10
	;; [unrolled: 1-line block ×12, first 2 shown]
	s_wait_loadcnt 0x2
	v_pk_mul_f32 v[10:11], v[22:23], v[26:27]
	v_pk_mul_f32 v[12:13], v[24:25], v[28:29]
	v_cmp_lt_f32_e32 vcc_lo, 0, v23
	v_lshrrev_b32_e32 v57, 16, v17
	s_clause 0x1
	global_load_b128 v[14:17], v1, s[10:11] offset:32784
	global_load_b128 v[26:29], v1, s[10:11] offset:32768
	v_cndmask_b32_e32 v11, v11, v23, vcc_lo
	v_cmp_lt_f32_e32 vcc_lo, 0, v22
	v_cvt_f32_f16_e32 v57, v57
	v_cndmask_b32_e32 v10, v10, v22, vcc_lo
	v_cmp_lt_f32_e32 vcc_lo, 0, v25
	v_pk_mul_f32 v[22:23], v[18:19], v[30:31]
	v_pk_mul_f32 v[30:31], v[20:21], v[32:33]
	s_wait_loadcnt 0x3
	v_pk_mul_f32 v[32:33], v[2:3], v[34:35]
	v_pk_mul_f32 v[34:35], v[4:5], v[36:37]
	v_cndmask_b32_e32 v13, v13, v25, vcc_lo
	v_cmp_lt_f32_e32 vcc_lo, 0, v24
	s_wait_loadcnt 0x2
	v_pk_mul_f32 v[36:37], v[6:7], v[38:39]
	v_pk_mul_f32 v[38:39], v[8:9], v[40:41]
	v_cndmask_b32_e32 v12, v12, v24, vcc_lo
	v_cmp_lt_f32_e32 vcc_lo, 0, v19
	v_cndmask_b32_e32 v19, v23, v19, vcc_lo
	v_cmp_lt_f32_e32 vcc_lo, 0, v18
	v_cndmask_b32_e32 v18, v22, v18, vcc_lo
	global_load_b128 v[22:25], v1, s[10:11] offset:49152
	v_cmp_lt_f32_e32 vcc_lo, 0, v21
	v_cndmask_b32_e32 v21, v31, v21, vcc_lo
	v_cmp_lt_f32_e32 vcc_lo, 0, v20
	v_cndmask_b32_e32 v20, v30, v20, vcc_lo
	;; [unrolled: 2-line block ×4, first 2 shown]
	global_load_b128 v[30:33], v1, s[10:11] offset:49168
	v_cmp_lt_f32_e32 vcc_lo, 0, v5
	s_wait_xcnt 0x0
	v_cndmask_b32_e32 v5, v35, v5, vcc_lo
	v_cmp_lt_f32_e32 vcc_lo, 0, v4
	v_cndmask_b32_e32 v4, v34, v4, vcc_lo
	v_cmp_lt_f32_e32 vcc_lo, 0, v7
	;; [unrolled: 2-line block ×5, first 2 shown]
	s_wait_loadcnt 0x2
	v_pk_mul_f32 v[40:41], v[26:27], v[42:43]
	v_cndmask_b32_e32 v8, v38, v8, vcc_lo
	v_cmp_lt_f32_e32 vcc_lo, 0, v27
	v_pk_mul_f32 v[42:43], v[28:29], v[44:45]
	v_pk_mul_f32 v[44:45], v[14:15], v[46:47]
	;; [unrolled: 1-line block ×3, first 2 shown]
	v_cndmask_b32_e32 v27, v41, v27, vcc_lo
	v_cmp_lt_f32_e32 vcc_lo, 0, v26
	v_cndmask_b32_e32 v26, v40, v26, vcc_lo
	v_cmp_lt_f32_e32 vcc_lo, 0, v29
	;; [unrolled: 2-line block ×5, first 2 shown]
	s_wait_loadcnt 0x1
	v_pk_mul_f32 v[48:49], v[22:23], v[50:51]
	v_pk_mul_f32 v[50:51], v[24:25], v[52:53]
	v_cndmask_b32_e32 v14, v44, v14, vcc_lo
	v_cmp_lt_f32_e32 vcc_lo, 0, v17
	v_cndmask_b32_e32 v17, v47, v17, vcc_lo
	v_cmp_lt_f32_e32 vcc_lo, 0, v16
	;; [unrolled: 2-line block ×4, first 2 shown]
	s_wait_loadcnt 0x0
	v_pk_mul_f32 v[52:53], v[30:31], v[54:55]
	v_pk_mul_f32 v[54:55], v[32:33], v[56:57]
	v_cndmask_b32_e32 v22, v48, v22, vcc_lo
	v_cmp_lt_f32_e32 vcc_lo, 0, v25
	v_cndmask_b32_e32 v25, v51, v25, vcc_lo
	v_cmp_lt_f32_e32 vcc_lo, 0, v24
	;; [unrolled: 2-line block ×6, first 2 shown]
	v_cndmask_b32_e32 v32, v54, v32, vcc_lo
	s_clause 0x7
	global_store_b128 v1, v[10:13], s[8:9]
	global_store_b128 v1, v[18:21], s[8:9] offset:16
	global_store_b128 v1, v[2:5], s[8:9] offset:16384
	;; [unrolled: 1-line block ×7, first 2 shown]
	s_cbranch_execnz .LBB24_2
.LBB24_4:
	s_clause 0x1
	s_load_b32 s10, s[0:1], 0x24
	s_load_b128 s[16:19], s[0:1], 0x28
	v_dual_mov_b32 v31, v0 :: v_dual_mov_b32 v0, s4
	v_dual_mov_b32 v1, s5 :: v_dual_mov_b32 v2, s6
	;; [unrolled: 1-line block ×4, first 2 shown]
	s_add_nc_u64 s[8:9], s[0:1], 56
	s_wait_xcnt 0x0
	s_get_pc_i64 s[0:1]
	s_add_nc_u64 s[0:1], s[0:1], _ZN2at6native25elementwise_kernel_helperILb1EZZZNS0_12prelu_kernelERNS_14TensorIteratorEENKUlvE_clEvENKUlvE0_clEvEUlffE_NS0_6memory8policies11unroll_baseILi512ESt5arrayIPcLm3EE23TrivialOffsetCalculatorILi2EjESD_ILi1EjENS7_12LoadWithCastILi2EEENS7_13StoreWithCastILi1EEELi32ELi1EEEEEvT0_T1_@rel64+4
	s_wait_kmcnt 0x0
	s_bfe_u32 s11, s10, 0x80008
	v_dual_mov_b32 v7, s10 :: v_dual_mov_b32 v9, s16
	v_dual_mov_b32 v10, s17 :: v_dual_mov_b32 v11, s18
	;; [unrolled: 1-line block ×3, first 2 shown]
	s_swap_pc_i64 s[30:31], s[0:1]
	s_endpgm
	.section	.rodata,"a",@progbits
	.p2align	6, 0x0
	.amdhsa_kernel _ZN2at6native39vectorized_templated_elementwise_kernelILi8EZZZNS0_12prelu_kernelERNS_14TensorIteratorEENKUlvE_clEvENKUlvE0_clEvEUlffE_St5arrayIPcLm3EE23TrivialOffsetCalculatorILi2EjESA_ILi1EjENS0_6memory12LoadWithCastILi2EEENSD_13StoreWithCastILi1EEEfJfN3c104HalfEEEEviT0_T1_T2_T3_T4_T5_
		.amdhsa_group_segment_fixed_size 0
		.amdhsa_private_segment_fixed_size 272
		.amdhsa_kernarg_size 312
		.amdhsa_user_sgpr_count 2
		.amdhsa_user_sgpr_dispatch_ptr 0
		.amdhsa_user_sgpr_queue_ptr 0
		.amdhsa_user_sgpr_kernarg_segment_ptr 1
		.amdhsa_user_sgpr_dispatch_id 0
		.amdhsa_user_sgpr_kernarg_preload_length 0
		.amdhsa_user_sgpr_kernarg_preload_offset 0
		.amdhsa_user_sgpr_private_segment_size 0
		.amdhsa_wavefront_size32 1
		.amdhsa_uses_dynamic_stack 0
		.amdhsa_enable_private_segment 1
		.amdhsa_system_sgpr_workgroup_id_x 1
		.amdhsa_system_sgpr_workgroup_id_y 0
		.amdhsa_system_sgpr_workgroup_id_z 0
		.amdhsa_system_sgpr_workgroup_info 0
		.amdhsa_system_vgpr_workitem_id 0
		.amdhsa_next_free_vgpr 120
		.amdhsa_next_free_sgpr 96
		.amdhsa_named_barrier_count 0
		.amdhsa_reserve_vcc 1
		.amdhsa_float_round_mode_32 0
		.amdhsa_float_round_mode_16_64 0
		.amdhsa_float_denorm_mode_32 3
		.amdhsa_float_denorm_mode_16_64 3
		.amdhsa_fp16_overflow 0
		.amdhsa_memory_ordered 1
		.amdhsa_forward_progress 1
		.amdhsa_inst_pref_size 10
		.amdhsa_round_robin_scheduling 0
		.amdhsa_exception_fp_ieee_invalid_op 0
		.amdhsa_exception_fp_denorm_src 0
		.amdhsa_exception_fp_ieee_div_zero 0
		.amdhsa_exception_fp_ieee_overflow 0
		.amdhsa_exception_fp_ieee_underflow 0
		.amdhsa_exception_fp_ieee_inexact 0
		.amdhsa_exception_int_div_zero 0
	.end_amdhsa_kernel
	.section	.text._ZN2at6native39vectorized_templated_elementwise_kernelILi8EZZZNS0_12prelu_kernelERNS_14TensorIteratorEENKUlvE_clEvENKUlvE0_clEvEUlffE_St5arrayIPcLm3EE23TrivialOffsetCalculatorILi2EjESA_ILi1EjENS0_6memory12LoadWithCastILi2EEENSD_13StoreWithCastILi1EEEfJfN3c104HalfEEEEviT0_T1_T2_T3_T4_T5_,"axG",@progbits,_ZN2at6native39vectorized_templated_elementwise_kernelILi8EZZZNS0_12prelu_kernelERNS_14TensorIteratorEENKUlvE_clEvENKUlvE0_clEvEUlffE_St5arrayIPcLm3EE23TrivialOffsetCalculatorILi2EjESA_ILi1EjENS0_6memory12LoadWithCastILi2EEENSD_13StoreWithCastILi1EEEfJfN3c104HalfEEEEviT0_T1_T2_T3_T4_T5_,comdat
.Lfunc_end24:
	.size	_ZN2at6native39vectorized_templated_elementwise_kernelILi8EZZZNS0_12prelu_kernelERNS_14TensorIteratorEENKUlvE_clEvENKUlvE0_clEvEUlffE_St5arrayIPcLm3EE23TrivialOffsetCalculatorILi2EjESA_ILi1EjENS0_6memory12LoadWithCastILi2EEENSD_13StoreWithCastILi1EEEfJfN3c104HalfEEEEviT0_T1_T2_T3_T4_T5_, .Lfunc_end24-_ZN2at6native39vectorized_templated_elementwise_kernelILi8EZZZNS0_12prelu_kernelERNS_14TensorIteratorEENKUlvE_clEvENKUlvE0_clEvEUlffE_St5arrayIPcLm3EE23TrivialOffsetCalculatorILi2EjESA_ILi1EjENS0_6memory12LoadWithCastILi2EEENSD_13StoreWithCastILi1EEEfJfN3c104HalfEEEEviT0_T1_T2_T3_T4_T5_
                                        ; -- End function
	.set _ZN2at6native39vectorized_templated_elementwise_kernelILi8EZZZNS0_12prelu_kernelERNS_14TensorIteratorEENKUlvE_clEvENKUlvE0_clEvEUlffE_St5arrayIPcLm3EE23TrivialOffsetCalculatorILi2EjESA_ILi1EjENS0_6memory12LoadWithCastILi2EEENSD_13StoreWithCastILi1EEEfJfN3c104HalfEEEEviT0_T1_T2_T3_T4_T5_.num_vgpr, max(58, .L_ZN2at6native25elementwise_kernel_helperILb1EZZZNS0_12prelu_kernelERNS_14TensorIteratorEENKUlvE_clEvENKUlvE0_clEvEUlffE_NS0_6memory8policies11unroll_baseILi512ESt5arrayIPcLm3EE23TrivialOffsetCalculatorILi2EjESD_ILi1EjENS7_12LoadWithCastILi2EEENS7_13StoreWithCastILi1EEELi32ELi1EEEEEvT0_T1_.num_vgpr)
	.set _ZN2at6native39vectorized_templated_elementwise_kernelILi8EZZZNS0_12prelu_kernelERNS_14TensorIteratorEENKUlvE_clEvENKUlvE0_clEvEUlffE_St5arrayIPcLm3EE23TrivialOffsetCalculatorILi2EjESA_ILi1EjENS0_6memory12LoadWithCastILi2EEENSD_13StoreWithCastILi1EEEfJfN3c104HalfEEEEviT0_T1_T2_T3_T4_T5_.num_agpr, max(0, .L_ZN2at6native25elementwise_kernel_helperILb1EZZZNS0_12prelu_kernelERNS_14TensorIteratorEENKUlvE_clEvENKUlvE0_clEvEUlffE_NS0_6memory8policies11unroll_baseILi512ESt5arrayIPcLm3EE23TrivialOffsetCalculatorILi2EjESD_ILi1EjENS7_12LoadWithCastILi2EEENS7_13StoreWithCastILi1EEELi32ELi1EEEEEvT0_T1_.num_agpr)
	.set _ZN2at6native39vectorized_templated_elementwise_kernelILi8EZZZNS0_12prelu_kernelERNS_14TensorIteratorEENKUlvE_clEvENKUlvE0_clEvEUlffE_St5arrayIPcLm3EE23TrivialOffsetCalculatorILi2EjESA_ILi1EjENS0_6memory12LoadWithCastILi2EEENSD_13StoreWithCastILi1EEEfJfN3c104HalfEEEEviT0_T1_T2_T3_T4_T5_.numbered_sgpr, max(33, .L_ZN2at6native25elementwise_kernel_helperILb1EZZZNS0_12prelu_kernelERNS_14TensorIteratorEENKUlvE_clEvENKUlvE0_clEvEUlffE_NS0_6memory8policies11unroll_baseILi512ESt5arrayIPcLm3EE23TrivialOffsetCalculatorILi2EjESD_ILi1EjENS7_12LoadWithCastILi2EEENS7_13StoreWithCastILi1EEELi32ELi1EEEEEvT0_T1_.numbered_sgpr)
	.set _ZN2at6native39vectorized_templated_elementwise_kernelILi8EZZZNS0_12prelu_kernelERNS_14TensorIteratorEENKUlvE_clEvENKUlvE0_clEvEUlffE_St5arrayIPcLm3EE23TrivialOffsetCalculatorILi2EjESA_ILi1EjENS0_6memory12LoadWithCastILi2EEENSD_13StoreWithCastILi1EEEfJfN3c104HalfEEEEviT0_T1_T2_T3_T4_T5_.num_named_barrier, max(0, .L_ZN2at6native25elementwise_kernel_helperILb1EZZZNS0_12prelu_kernelERNS_14TensorIteratorEENKUlvE_clEvENKUlvE0_clEvEUlffE_NS0_6memory8policies11unroll_baseILi512ESt5arrayIPcLm3EE23TrivialOffsetCalculatorILi2EjESD_ILi1EjENS7_12LoadWithCastILi2EEENS7_13StoreWithCastILi1EEELi32ELi1EEEEEvT0_T1_.num_named_barrier)
	.set _ZN2at6native39vectorized_templated_elementwise_kernelILi8EZZZNS0_12prelu_kernelERNS_14TensorIteratorEENKUlvE_clEvENKUlvE0_clEvEUlffE_St5arrayIPcLm3EE23TrivialOffsetCalculatorILi2EjESA_ILi1EjENS0_6memory12LoadWithCastILi2EEENSD_13StoreWithCastILi1EEEfJfN3c104HalfEEEEviT0_T1_T2_T3_T4_T5_.private_seg_size, 0+max(.L_ZN2at6native25elementwise_kernel_helperILb1EZZZNS0_12prelu_kernelERNS_14TensorIteratorEENKUlvE_clEvENKUlvE0_clEvEUlffE_NS0_6memory8policies11unroll_baseILi512ESt5arrayIPcLm3EE23TrivialOffsetCalculatorILi2EjESD_ILi1EjENS7_12LoadWithCastILi2EEENS7_13StoreWithCastILi1EEELi32ELi1EEEEEvT0_T1_.private_seg_size)
	.set _ZN2at6native39vectorized_templated_elementwise_kernelILi8EZZZNS0_12prelu_kernelERNS_14TensorIteratorEENKUlvE_clEvENKUlvE0_clEvEUlffE_St5arrayIPcLm3EE23TrivialOffsetCalculatorILi2EjESA_ILi1EjENS0_6memory12LoadWithCastILi2EEENSD_13StoreWithCastILi1EEEfJfN3c104HalfEEEEviT0_T1_T2_T3_T4_T5_.uses_vcc, or(1, .L_ZN2at6native25elementwise_kernel_helperILb1EZZZNS0_12prelu_kernelERNS_14TensorIteratorEENKUlvE_clEvENKUlvE0_clEvEUlffE_NS0_6memory8policies11unroll_baseILi512ESt5arrayIPcLm3EE23TrivialOffsetCalculatorILi2EjESD_ILi1EjENS7_12LoadWithCastILi2EEENS7_13StoreWithCastILi1EEELi32ELi1EEEEEvT0_T1_.uses_vcc)
	.set _ZN2at6native39vectorized_templated_elementwise_kernelILi8EZZZNS0_12prelu_kernelERNS_14TensorIteratorEENKUlvE_clEvENKUlvE0_clEvEUlffE_St5arrayIPcLm3EE23TrivialOffsetCalculatorILi2EjESA_ILi1EjENS0_6memory12LoadWithCastILi2EEENSD_13StoreWithCastILi1EEEfJfN3c104HalfEEEEviT0_T1_T2_T3_T4_T5_.uses_flat_scratch, or(0, .L_ZN2at6native25elementwise_kernel_helperILb1EZZZNS0_12prelu_kernelERNS_14TensorIteratorEENKUlvE_clEvENKUlvE0_clEvEUlffE_NS0_6memory8policies11unroll_baseILi512ESt5arrayIPcLm3EE23TrivialOffsetCalculatorILi2EjESD_ILi1EjENS7_12LoadWithCastILi2EEENS7_13StoreWithCastILi1EEELi32ELi1EEEEEvT0_T1_.uses_flat_scratch)
	.set _ZN2at6native39vectorized_templated_elementwise_kernelILi8EZZZNS0_12prelu_kernelERNS_14TensorIteratorEENKUlvE_clEvENKUlvE0_clEvEUlffE_St5arrayIPcLm3EE23TrivialOffsetCalculatorILi2EjESA_ILi1EjENS0_6memory12LoadWithCastILi2EEENSD_13StoreWithCastILi1EEEfJfN3c104HalfEEEEviT0_T1_T2_T3_T4_T5_.has_dyn_sized_stack, or(0, .L_ZN2at6native25elementwise_kernel_helperILb1EZZZNS0_12prelu_kernelERNS_14TensorIteratorEENKUlvE_clEvENKUlvE0_clEvEUlffE_NS0_6memory8policies11unroll_baseILi512ESt5arrayIPcLm3EE23TrivialOffsetCalculatorILi2EjESD_ILi1EjENS7_12LoadWithCastILi2EEENS7_13StoreWithCastILi1EEELi32ELi1EEEEEvT0_T1_.has_dyn_sized_stack)
	.set _ZN2at6native39vectorized_templated_elementwise_kernelILi8EZZZNS0_12prelu_kernelERNS_14TensorIteratorEENKUlvE_clEvENKUlvE0_clEvEUlffE_St5arrayIPcLm3EE23TrivialOffsetCalculatorILi2EjESA_ILi1EjENS0_6memory12LoadWithCastILi2EEENSD_13StoreWithCastILi1EEEfJfN3c104HalfEEEEviT0_T1_T2_T3_T4_T5_.has_recursion, or(0, .L_ZN2at6native25elementwise_kernel_helperILb1EZZZNS0_12prelu_kernelERNS_14TensorIteratorEENKUlvE_clEvENKUlvE0_clEvEUlffE_NS0_6memory8policies11unroll_baseILi512ESt5arrayIPcLm3EE23TrivialOffsetCalculatorILi2EjESD_ILi1EjENS7_12LoadWithCastILi2EEENS7_13StoreWithCastILi1EEELi32ELi1EEEEEvT0_T1_.has_recursion)
	.set _ZN2at6native39vectorized_templated_elementwise_kernelILi8EZZZNS0_12prelu_kernelERNS_14TensorIteratorEENKUlvE_clEvENKUlvE0_clEvEUlffE_St5arrayIPcLm3EE23TrivialOffsetCalculatorILi2EjESA_ILi1EjENS0_6memory12LoadWithCastILi2EEENSD_13StoreWithCastILi1EEEfJfN3c104HalfEEEEviT0_T1_T2_T3_T4_T5_.has_indirect_call, or(0, .L_ZN2at6native25elementwise_kernel_helperILb1EZZZNS0_12prelu_kernelERNS_14TensorIteratorEENKUlvE_clEvENKUlvE0_clEvEUlffE_NS0_6memory8policies11unroll_baseILi512ESt5arrayIPcLm3EE23TrivialOffsetCalculatorILi2EjESD_ILi1EjENS7_12LoadWithCastILi2EEENS7_13StoreWithCastILi1EEELi32ELi1EEEEEvT0_T1_.has_indirect_call)
	.section	.AMDGPU.csdata,"",@progbits
; Kernel info:
; codeLenInByte = 1188
; TotalNumSgprs: 98
; NumVgprs: 120
; ScratchSize: 272
; MemoryBound: 0
; FloatMode: 240
; IeeeMode: 1
; LDSByteSize: 0 bytes/workgroup (compile time only)
; SGPRBlocks: 0
; VGPRBlocks: 7
; NumSGPRsForWavesPerEU: 98
; NumVGPRsForWavesPerEU: 120
; NamedBarCnt: 0
; Occupancy: 8
; WaveLimiterHint : 0
; COMPUTE_PGM_RSRC2:SCRATCH_EN: 1
; COMPUTE_PGM_RSRC2:USER_SGPR: 2
; COMPUTE_PGM_RSRC2:TRAP_HANDLER: 0
; COMPUTE_PGM_RSRC2:TGID_X_EN: 1
; COMPUTE_PGM_RSRC2:TGID_Y_EN: 0
; COMPUTE_PGM_RSRC2:TGID_Z_EN: 0
; COMPUTE_PGM_RSRC2:TIDIG_COMP_CNT: 0
	.section	.text._ZN2at6native39vectorized_templated_elementwise_kernelILi4EZZZNS0_12prelu_kernelERNS_14TensorIteratorEENKUlvE_clEvENKUlvE0_clEvEUlffE_St5arrayIPcLm3EE23TrivialOffsetCalculatorILi2EjESA_ILi1EjENS0_6memory12LoadWithCastILi2EEENSD_13StoreWithCastILi1EEEfJfN3c104HalfEEEEviT0_T1_T2_T3_T4_T5_,"axG",@progbits,_ZN2at6native39vectorized_templated_elementwise_kernelILi4EZZZNS0_12prelu_kernelERNS_14TensorIteratorEENKUlvE_clEvENKUlvE0_clEvEUlffE_St5arrayIPcLm3EE23TrivialOffsetCalculatorILi2EjESA_ILi1EjENS0_6memory12LoadWithCastILi2EEENSD_13StoreWithCastILi1EEEfJfN3c104HalfEEEEviT0_T1_T2_T3_T4_T5_,comdat
	.globl	_ZN2at6native39vectorized_templated_elementwise_kernelILi4EZZZNS0_12prelu_kernelERNS_14TensorIteratorEENKUlvE_clEvENKUlvE0_clEvEUlffE_St5arrayIPcLm3EE23TrivialOffsetCalculatorILi2EjESA_ILi1EjENS0_6memory12LoadWithCastILi2EEENSD_13StoreWithCastILi1EEEfJfN3c104HalfEEEEviT0_T1_T2_T3_T4_T5_ ; -- Begin function _ZN2at6native39vectorized_templated_elementwise_kernelILi4EZZZNS0_12prelu_kernelERNS_14TensorIteratorEENKUlvE_clEvENKUlvE0_clEvEUlffE_St5arrayIPcLm3EE23TrivialOffsetCalculatorILi2EjESA_ILi1EjENS0_6memory12LoadWithCastILi2EEENSD_13StoreWithCastILi1EEEfJfN3c104HalfEEEEviT0_T1_T2_T3_T4_T5_
	.p2align	8
	.type	_ZN2at6native39vectorized_templated_elementwise_kernelILi4EZZZNS0_12prelu_kernelERNS_14TensorIteratorEENKUlvE_clEvENKUlvE0_clEvEUlffE_St5arrayIPcLm3EE23TrivialOffsetCalculatorILi2EjESA_ILi1EjENS0_6memory12LoadWithCastILi2EEENSD_13StoreWithCastILi1EEEfJfN3c104HalfEEEEviT0_T1_T2_T3_T4_T5_,@function
_ZN2at6native39vectorized_templated_elementwise_kernelILi4EZZZNS0_12prelu_kernelERNS_14TensorIteratorEENKUlvE_clEvENKUlvE0_clEvEUlffE_St5arrayIPcLm3EE23TrivialOffsetCalculatorILi2EjESA_ILi1EjENS0_6memory12LoadWithCastILi2EEENSD_13StoreWithCastILi1EEEfJfN3c104HalfEEEEviT0_T1_T2_T3_T4_T5_: ; @_ZN2at6native39vectorized_templated_elementwise_kernelILi4EZZZNS0_12prelu_kernelERNS_14TensorIteratorEENKUlvE_clEvENKUlvE0_clEvEUlffE_St5arrayIPcLm3EE23TrivialOffsetCalculatorILi2EjESA_ILi1EjENS0_6memory12LoadWithCastILi2EEENSD_13StoreWithCastILi1EEEfJfN3c104HalfEEEEviT0_T1_T2_T3_T4_T5_
; %bb.0:
	s_clause 0x2
	s_load_b32 s8, s[0:1], 0x38
	s_load_b32 s9, s[0:1], 0x0
	s_load_b64 s[2:3], s[0:1], 0x18
	s_bfe_u32 s10, ttmp6, 0x4000c
	s_load_b128 s[4:7], s[0:1], 0x8
	s_add_co_i32 s10, s10, 1
	s_and_b32 s11, ttmp6, 15
	s_mul_i32 s10, ttmp9, s10
	s_getreg_b32 s12, hwreg(HW_REG_IB_STS2, 6, 4)
	s_add_co_i32 s11, s11, s10
	s_cmp_eq_u32 s12, 0
	s_mov_b32 s32, 0
	s_cselect_b32 s10, ttmp9, s11
	s_delay_alu instid0(SALU_CYCLE_1) | instskip(SKIP_4) | instid1(SALU_CYCLE_1)
	s_not_b32 s10, s10
	s_wait_kmcnt 0x0
	s_add_co_i32 s8, s8, s10
	s_mov_b32 s10, -1
	s_lshl_b32 s8, s8, 14
	s_sub_co_i32 s14, s9, s8
	s_delay_alu instid0(SALU_CYCLE_1)
	s_cmp_gt_i32 s14, 0x3fff
	s_cbranch_scc1 .LBB25_3
; %bb.1:
	s_and_not1_b32 vcc_lo, exec_lo, s10
	s_cbranch_vccz .LBB25_4
.LBB25_2:
	s_sendmsg sendmsg(MSG_DEALLOC_VGPRS)
	s_endpgm
.LBB25_3:
	s_ashr_i32 s9, s8, 31
	s_delay_alu instid0(SALU_CYCLE_1)
	s_lshl_b64 s[10:11], s[8:9], 1
	s_lshl_b64 s[8:9], s[8:9], 2
	s_add_nc_u64 s[10:11], s[2:3], s[10:11]
	s_add_nc_u64 s[12:13], s[6:7], s[8:9]
	s_clause 0xf
	global_load_b64 v[34:35], v0, s[10:11] scale_offset
	global_load_b64 v[36:37], v0, s[10:11] offset:4096 scale_offset
	global_load_b128 v[2:5], v0, s[12:13] scale_offset
	global_load_b64 v[38:39], v0, s[10:11] offset:8192 scale_offset
	global_load_b128 v[6:9], v0, s[12:13] offset:8192 scale_offset
	global_load_b64 v[40:41], v0, s[10:11] offset:12288 scale_offset
	global_load_b64 v[42:43], v0, s[10:11] offset:16384 scale_offset
	;; [unrolled: 1-line block ×3, first 2 shown]
	global_load_b128 v[10:13], v0, s[12:13] offset:16384 scale_offset
	global_load_b64 v[46:47], v0, s[10:11] offset:24576 scale_offset
	global_load_b64 v[48:49], v0, s[10:11] offset:28672 scale_offset
	global_load_b128 v[14:17], v0, s[12:13] offset:24576 scale_offset
	global_load_b128 v[18:21], v0, s[12:13] offset:32768 scale_offset
	;; [unrolled: 1-line block ×5, first 2 shown]
	s_add_nc_u64 s[8:9], s[4:5], s[8:9]
	s_wait_xcnt 0x5
	s_wait_loadcnt 0xe
	v_cvt_f32_f16_e32 v52, v36
	s_wait_loadcnt 0xd
	v_cmp_lt_f32_e32 vcc_lo, 0, v3
	v_lshrrev_b32_e32 v53, 16, v36
	v_cvt_f32_f16_e32 v36, v37
	s_wait_loadcnt 0xc
	v_dual_lshrrev_b32 v37, 16, v37 :: v_dual_lshrrev_b32 v54, 16, v39
	s_wait_loadcnt 0x8
	v_lshrrev_b32_e32 v55, 16, v45
	v_cvt_f32_f16_e32 v53, v53
	s_delay_alu instid0(VALU_DEP_3) | instskip(SKIP_2) | instid1(VALU_DEP_3)
	v_cvt_f32_f16_e32 v37, v37
	s_wait_loadcnt 0x5
	v_lshrrev_b32_e32 v56, 16, v49
	v_pk_mul_f32 v[52:53], v[6:7], v[52:53]
	v_lshrrev_b32_e32 v1, 16, v34
	v_cvt_f32_f16_e32 v50, v34
	v_cvt_f32_f16_e32 v34, v35
	v_pk_mul_f32 v[36:37], v[8:9], v[36:37]
	s_delay_alu instid0(VALU_DEP_4) | instskip(SKIP_1) | instid1(VALU_DEP_2)
	v_cvt_f32_f16_e32 v51, v1
	v_lshrrev_b32_e32 v1, 16, v35
	v_pk_mul_f32 v[50:51], v[2:3], v[50:51]
	s_delay_alu instid0(VALU_DEP_2) | instskip(NEXT) | instid1(VALU_DEP_2)
	v_cvt_f32_f16_e32 v35, v1
	v_dual_lshrrev_b32 v1, 16, v38 :: v_dual_cndmask_b32 v3, v51, v3, vcc_lo
	v_cmp_lt_f32_e32 vcc_lo, 0, v2
	s_delay_alu instid0(VALU_DEP_3) | instskip(NEXT) | instid1(VALU_DEP_3)
	v_pk_mul_f32 v[34:35], v[4:5], v[34:35]
	v_cvt_f32_f16_e32 v51, v1
	v_dual_cndmask_b32 v2, v50, v2 :: v_dual_lshrrev_b32 v1, 16, v44
	v_cmp_lt_f32_e32 vcc_lo, 0, v5
	v_cvt_f32_f16_e32 v50, v38
	v_cvt_f32_f16_e32 v38, v39
	;; [unrolled: 1-line block ×3, first 2 shown]
	v_dual_cndmask_b32 v5, v35, v5 :: v_dual_lshrrev_b32 v54, 16, v48
	v_cmp_lt_f32_e32 vcc_lo, 0, v4
	v_pk_mul_f32 v[50:51], v[10:11], v[50:51]
	s_delay_alu instid0(VALU_DEP_4)
	v_pk_mul_f32 v[38:39], v[12:13], v[38:39]
	v_cndmask_b32_e32 v4, v34, v4, vcc_lo
	v_cmp_lt_f32_e32 vcc_lo, 0, v7
	v_lshrrev_b32_e32 v35, 16, v40
	v_cvt_f32_f16_e32 v34, v40
	v_cvt_f32_f16_e32 v40, v41
	v_dual_lshrrev_b32 v41, 16, v41 :: v_dual_cndmask_b32 v7, v53, v7, vcc_lo
	v_cmp_lt_f32_e32 vcc_lo, 0, v6
	v_cvt_f32_f16_e32 v35, v35
	v_cvt_f32_f16_e32 v53, v1
	s_delay_alu instid0(VALU_DEP_4)
	v_cvt_f32_f16_e32 v41, v41
	v_dual_cndmask_b32 v6, v52, v6 :: v_dual_lshrrev_b32 v1, 16, v47
	v_cmp_lt_f32_e32 vcc_lo, 0, v9
	s_wait_loadcnt 0x4
	v_pk_mul_f32 v[34:35], v[14:15], v[34:35]
	v_pk_mul_f32 v[40:41], v[16:17], v[40:41]
	v_cvt_f32_f16_e32 v52, v44
	v_cvt_f32_f16_e32 v44, v45
	v_cndmask_b32_e32 v9, v37, v9, vcc_lo
	v_cmp_lt_f32_e32 vcc_lo, 0, v8
	v_lshrrev_b32_e32 v37, 16, v42
	s_wait_loadcnt 0x2
	v_pk_mul_f32 v[52:53], v[22:23], v[52:53]
	v_cvt_f32_f16_e32 v45, v55
	v_cvt_f32_f16_e32 v55, v54
	v_cndmask_b32_e32 v8, v36, v8, vcc_lo
	v_cmp_lt_f32_e32 vcc_lo, 0, v11
	v_cvt_f32_f16_e32 v36, v42
	v_cvt_f32_f16_e32 v42, v43
	v_lshrrev_b32_e32 v43, 16, v43
	v_cvt_f32_f16_e32 v37, v37
	v_cndmask_b32_e32 v11, v51, v11, vcc_lo
	v_cmp_lt_f32_e32 vcc_lo, 0, v10
	v_lshrrev_b32_e32 v51, 16, v46
	v_cvt_f32_f16_e32 v43, v43
	v_pk_mul_f32 v[36:37], v[18:19], v[36:37]
	v_pk_mul_f32 v[44:45], v[24:25], v[44:45]
	v_cndmask_b32_e32 v10, v50, v10, vcc_lo
	v_cmp_lt_f32_e32 vcc_lo, 0, v13
	v_pk_mul_f32 v[42:43], v[20:21], v[42:43]
	v_cvt_f32_f16_e32 v50, v46
	v_cvt_f32_f16_e32 v51, v51
	v_cvt_f32_f16_e32 v46, v47
	v_cndmask_b32_e32 v13, v39, v13, vcc_lo
	v_cmp_lt_f32_e32 vcc_lo, 0, v12
	v_cvt_f32_f16_e32 v47, v1
	s_wait_loadcnt 0x1
	v_pk_mul_f32 v[50:51], v[26:27], v[50:51]
	v_cvt_f32_f16_e32 v54, v48
	v_cvt_f32_f16_e32 v48, v49
	v_cndmask_b32_e32 v12, v38, v12, vcc_lo
	v_cmp_lt_f32_e32 vcc_lo, 0, v15
	v_pk_mul_f32 v[46:47], v[28:29], v[46:47]
	s_wait_loadcnt 0x0
	v_pk_mul_f32 v[54:55], v[30:31], v[54:55]
	v_cvt_f32_f16_e32 v49, v56
	v_cndmask_b32_e32 v15, v35, v15, vcc_lo
	v_cmp_lt_f32_e32 vcc_lo, 0, v14
	s_delay_alu instid0(VALU_DEP_3)
	v_pk_mul_f32 v[48:49], v[32:33], v[48:49]
	v_cndmask_b32_e32 v14, v34, v14, vcc_lo
	v_cmp_lt_f32_e32 vcc_lo, 0, v17
	v_cndmask_b32_e32 v17, v41, v17, vcc_lo
	v_cmp_lt_f32_e32 vcc_lo, 0, v16
	;; [unrolled: 2-line block ×18, first 2 shown]
	v_cndmask_b32_e32 v32, v48, v32, vcc_lo
	s_clause 0x7
	global_store_b128 v0, v[2:5], s[8:9] scale_offset
	global_store_b128 v0, v[6:9], s[8:9] offset:8192 scale_offset
	global_store_b128 v0, v[10:13], s[8:9] offset:16384 scale_offset
	;; [unrolled: 1-line block ×7, first 2 shown]
	s_cbranch_execnz .LBB25_2
.LBB25_4:
	s_clause 0x1
	s_load_b32 s10, s[0:1], 0x24
	s_load_b128 s[16:19], s[0:1], 0x28
	v_dual_mov_b32 v31, v0 :: v_dual_mov_b32 v0, s4
	v_dual_mov_b32 v1, s5 :: v_dual_mov_b32 v2, s6
	;; [unrolled: 1-line block ×4, first 2 shown]
	s_add_nc_u64 s[8:9], s[0:1], 56
	s_wait_xcnt 0x0
	s_get_pc_i64 s[0:1]
	s_add_nc_u64 s[0:1], s[0:1], _ZN2at6native25elementwise_kernel_helperILb1EZZZNS0_12prelu_kernelERNS_14TensorIteratorEENKUlvE_clEvENKUlvE0_clEvEUlffE_NS0_6memory8policies11unroll_baseILi512ESt5arrayIPcLm3EE23TrivialOffsetCalculatorILi2EjESD_ILi1EjENS7_12LoadWithCastILi2EEENS7_13StoreWithCastILi1EEELi32ELi1EEEEEvT0_T1_@rel64+4
	s_wait_kmcnt 0x0
	s_bfe_u32 s11, s10, 0x80008
	v_dual_mov_b32 v7, s10 :: v_dual_mov_b32 v9, s16
	v_dual_mov_b32 v10, s17 :: v_dual_mov_b32 v11, s18
	;; [unrolled: 1-line block ×3, first 2 shown]
	s_swap_pc_i64 s[30:31], s[0:1]
	s_endpgm
	.section	.rodata,"a",@progbits
	.p2align	6, 0x0
	.amdhsa_kernel _ZN2at6native39vectorized_templated_elementwise_kernelILi4EZZZNS0_12prelu_kernelERNS_14TensorIteratorEENKUlvE_clEvENKUlvE0_clEvEUlffE_St5arrayIPcLm3EE23TrivialOffsetCalculatorILi2EjESA_ILi1EjENS0_6memory12LoadWithCastILi2EEENSD_13StoreWithCastILi1EEEfJfN3c104HalfEEEEviT0_T1_T2_T3_T4_T5_
		.amdhsa_group_segment_fixed_size 0
		.amdhsa_private_segment_fixed_size 272
		.amdhsa_kernarg_size 312
		.amdhsa_user_sgpr_count 2
		.amdhsa_user_sgpr_dispatch_ptr 0
		.amdhsa_user_sgpr_queue_ptr 0
		.amdhsa_user_sgpr_kernarg_segment_ptr 1
		.amdhsa_user_sgpr_dispatch_id 0
		.amdhsa_user_sgpr_kernarg_preload_length 0
		.amdhsa_user_sgpr_kernarg_preload_offset 0
		.amdhsa_user_sgpr_private_segment_size 0
		.amdhsa_wavefront_size32 1
		.amdhsa_uses_dynamic_stack 0
		.amdhsa_enable_private_segment 1
		.amdhsa_system_sgpr_workgroup_id_x 1
		.amdhsa_system_sgpr_workgroup_id_y 0
		.amdhsa_system_sgpr_workgroup_id_z 0
		.amdhsa_system_sgpr_workgroup_info 0
		.amdhsa_system_vgpr_workitem_id 0
		.amdhsa_next_free_vgpr 120
		.amdhsa_next_free_sgpr 96
		.amdhsa_named_barrier_count 0
		.amdhsa_reserve_vcc 1
		.amdhsa_float_round_mode_32 0
		.amdhsa_float_round_mode_16_64 0
		.amdhsa_float_denorm_mode_32 3
		.amdhsa_float_denorm_mode_16_64 3
		.amdhsa_fp16_overflow 0
		.amdhsa_memory_ordered 1
		.amdhsa_forward_progress 1
		.amdhsa_inst_pref_size 10
		.amdhsa_round_robin_scheduling 0
		.amdhsa_exception_fp_ieee_invalid_op 0
		.amdhsa_exception_fp_denorm_src 0
		.amdhsa_exception_fp_ieee_div_zero 0
		.amdhsa_exception_fp_ieee_overflow 0
		.amdhsa_exception_fp_ieee_underflow 0
		.amdhsa_exception_fp_ieee_inexact 0
		.amdhsa_exception_int_div_zero 0
	.end_amdhsa_kernel
	.section	.text._ZN2at6native39vectorized_templated_elementwise_kernelILi4EZZZNS0_12prelu_kernelERNS_14TensorIteratorEENKUlvE_clEvENKUlvE0_clEvEUlffE_St5arrayIPcLm3EE23TrivialOffsetCalculatorILi2EjESA_ILi1EjENS0_6memory12LoadWithCastILi2EEENSD_13StoreWithCastILi1EEEfJfN3c104HalfEEEEviT0_T1_T2_T3_T4_T5_,"axG",@progbits,_ZN2at6native39vectorized_templated_elementwise_kernelILi4EZZZNS0_12prelu_kernelERNS_14TensorIteratorEENKUlvE_clEvENKUlvE0_clEvEUlffE_St5arrayIPcLm3EE23TrivialOffsetCalculatorILi2EjESA_ILi1EjENS0_6memory12LoadWithCastILi2EEENSD_13StoreWithCastILi1EEEfJfN3c104HalfEEEEviT0_T1_T2_T3_T4_T5_,comdat
.Lfunc_end25:
	.size	_ZN2at6native39vectorized_templated_elementwise_kernelILi4EZZZNS0_12prelu_kernelERNS_14TensorIteratorEENKUlvE_clEvENKUlvE0_clEvEUlffE_St5arrayIPcLm3EE23TrivialOffsetCalculatorILi2EjESA_ILi1EjENS0_6memory12LoadWithCastILi2EEENSD_13StoreWithCastILi1EEEfJfN3c104HalfEEEEviT0_T1_T2_T3_T4_T5_, .Lfunc_end25-_ZN2at6native39vectorized_templated_elementwise_kernelILi4EZZZNS0_12prelu_kernelERNS_14TensorIteratorEENKUlvE_clEvENKUlvE0_clEvEUlffE_St5arrayIPcLm3EE23TrivialOffsetCalculatorILi2EjESA_ILi1EjENS0_6memory12LoadWithCastILi2EEENSD_13StoreWithCastILi1EEEfJfN3c104HalfEEEEviT0_T1_T2_T3_T4_T5_
                                        ; -- End function
	.set _ZN2at6native39vectorized_templated_elementwise_kernelILi4EZZZNS0_12prelu_kernelERNS_14TensorIteratorEENKUlvE_clEvENKUlvE0_clEvEUlffE_St5arrayIPcLm3EE23TrivialOffsetCalculatorILi2EjESA_ILi1EjENS0_6memory12LoadWithCastILi2EEENSD_13StoreWithCastILi1EEEfJfN3c104HalfEEEEviT0_T1_T2_T3_T4_T5_.num_vgpr, max(57, .L_ZN2at6native25elementwise_kernel_helperILb1EZZZNS0_12prelu_kernelERNS_14TensorIteratorEENKUlvE_clEvENKUlvE0_clEvEUlffE_NS0_6memory8policies11unroll_baseILi512ESt5arrayIPcLm3EE23TrivialOffsetCalculatorILi2EjESD_ILi1EjENS7_12LoadWithCastILi2EEENS7_13StoreWithCastILi1EEELi32ELi1EEEEEvT0_T1_.num_vgpr)
	.set _ZN2at6native39vectorized_templated_elementwise_kernelILi4EZZZNS0_12prelu_kernelERNS_14TensorIteratorEENKUlvE_clEvENKUlvE0_clEvEUlffE_St5arrayIPcLm3EE23TrivialOffsetCalculatorILi2EjESA_ILi1EjENS0_6memory12LoadWithCastILi2EEENSD_13StoreWithCastILi1EEEfJfN3c104HalfEEEEviT0_T1_T2_T3_T4_T5_.num_agpr, max(0, .L_ZN2at6native25elementwise_kernel_helperILb1EZZZNS0_12prelu_kernelERNS_14TensorIteratorEENKUlvE_clEvENKUlvE0_clEvEUlffE_NS0_6memory8policies11unroll_baseILi512ESt5arrayIPcLm3EE23TrivialOffsetCalculatorILi2EjESD_ILi1EjENS7_12LoadWithCastILi2EEENS7_13StoreWithCastILi1EEELi32ELi1EEEEEvT0_T1_.num_agpr)
	.set _ZN2at6native39vectorized_templated_elementwise_kernelILi4EZZZNS0_12prelu_kernelERNS_14TensorIteratorEENKUlvE_clEvENKUlvE0_clEvEUlffE_St5arrayIPcLm3EE23TrivialOffsetCalculatorILi2EjESA_ILi1EjENS0_6memory12LoadWithCastILi2EEENSD_13StoreWithCastILi1EEEfJfN3c104HalfEEEEviT0_T1_T2_T3_T4_T5_.numbered_sgpr, max(33, .L_ZN2at6native25elementwise_kernel_helperILb1EZZZNS0_12prelu_kernelERNS_14TensorIteratorEENKUlvE_clEvENKUlvE0_clEvEUlffE_NS0_6memory8policies11unroll_baseILi512ESt5arrayIPcLm3EE23TrivialOffsetCalculatorILi2EjESD_ILi1EjENS7_12LoadWithCastILi2EEENS7_13StoreWithCastILi1EEELi32ELi1EEEEEvT0_T1_.numbered_sgpr)
	.set _ZN2at6native39vectorized_templated_elementwise_kernelILi4EZZZNS0_12prelu_kernelERNS_14TensorIteratorEENKUlvE_clEvENKUlvE0_clEvEUlffE_St5arrayIPcLm3EE23TrivialOffsetCalculatorILi2EjESA_ILi1EjENS0_6memory12LoadWithCastILi2EEENSD_13StoreWithCastILi1EEEfJfN3c104HalfEEEEviT0_T1_T2_T3_T4_T5_.num_named_barrier, max(0, .L_ZN2at6native25elementwise_kernel_helperILb1EZZZNS0_12prelu_kernelERNS_14TensorIteratorEENKUlvE_clEvENKUlvE0_clEvEUlffE_NS0_6memory8policies11unroll_baseILi512ESt5arrayIPcLm3EE23TrivialOffsetCalculatorILi2EjESD_ILi1EjENS7_12LoadWithCastILi2EEENS7_13StoreWithCastILi1EEELi32ELi1EEEEEvT0_T1_.num_named_barrier)
	.set _ZN2at6native39vectorized_templated_elementwise_kernelILi4EZZZNS0_12prelu_kernelERNS_14TensorIteratorEENKUlvE_clEvENKUlvE0_clEvEUlffE_St5arrayIPcLm3EE23TrivialOffsetCalculatorILi2EjESA_ILi1EjENS0_6memory12LoadWithCastILi2EEENSD_13StoreWithCastILi1EEEfJfN3c104HalfEEEEviT0_T1_T2_T3_T4_T5_.private_seg_size, 0+max(.L_ZN2at6native25elementwise_kernel_helperILb1EZZZNS0_12prelu_kernelERNS_14TensorIteratorEENKUlvE_clEvENKUlvE0_clEvEUlffE_NS0_6memory8policies11unroll_baseILi512ESt5arrayIPcLm3EE23TrivialOffsetCalculatorILi2EjESD_ILi1EjENS7_12LoadWithCastILi2EEENS7_13StoreWithCastILi1EEELi32ELi1EEEEEvT0_T1_.private_seg_size)
	.set _ZN2at6native39vectorized_templated_elementwise_kernelILi4EZZZNS0_12prelu_kernelERNS_14TensorIteratorEENKUlvE_clEvENKUlvE0_clEvEUlffE_St5arrayIPcLm3EE23TrivialOffsetCalculatorILi2EjESA_ILi1EjENS0_6memory12LoadWithCastILi2EEENSD_13StoreWithCastILi1EEEfJfN3c104HalfEEEEviT0_T1_T2_T3_T4_T5_.uses_vcc, or(1, .L_ZN2at6native25elementwise_kernel_helperILb1EZZZNS0_12prelu_kernelERNS_14TensorIteratorEENKUlvE_clEvENKUlvE0_clEvEUlffE_NS0_6memory8policies11unroll_baseILi512ESt5arrayIPcLm3EE23TrivialOffsetCalculatorILi2EjESD_ILi1EjENS7_12LoadWithCastILi2EEENS7_13StoreWithCastILi1EEELi32ELi1EEEEEvT0_T1_.uses_vcc)
	.set _ZN2at6native39vectorized_templated_elementwise_kernelILi4EZZZNS0_12prelu_kernelERNS_14TensorIteratorEENKUlvE_clEvENKUlvE0_clEvEUlffE_St5arrayIPcLm3EE23TrivialOffsetCalculatorILi2EjESA_ILi1EjENS0_6memory12LoadWithCastILi2EEENSD_13StoreWithCastILi1EEEfJfN3c104HalfEEEEviT0_T1_T2_T3_T4_T5_.uses_flat_scratch, or(0, .L_ZN2at6native25elementwise_kernel_helperILb1EZZZNS0_12prelu_kernelERNS_14TensorIteratorEENKUlvE_clEvENKUlvE0_clEvEUlffE_NS0_6memory8policies11unroll_baseILi512ESt5arrayIPcLm3EE23TrivialOffsetCalculatorILi2EjESD_ILi1EjENS7_12LoadWithCastILi2EEENS7_13StoreWithCastILi1EEELi32ELi1EEEEEvT0_T1_.uses_flat_scratch)
	.set _ZN2at6native39vectorized_templated_elementwise_kernelILi4EZZZNS0_12prelu_kernelERNS_14TensorIteratorEENKUlvE_clEvENKUlvE0_clEvEUlffE_St5arrayIPcLm3EE23TrivialOffsetCalculatorILi2EjESA_ILi1EjENS0_6memory12LoadWithCastILi2EEENSD_13StoreWithCastILi1EEEfJfN3c104HalfEEEEviT0_T1_T2_T3_T4_T5_.has_dyn_sized_stack, or(0, .L_ZN2at6native25elementwise_kernel_helperILb1EZZZNS0_12prelu_kernelERNS_14TensorIteratorEENKUlvE_clEvENKUlvE0_clEvEUlffE_NS0_6memory8policies11unroll_baseILi512ESt5arrayIPcLm3EE23TrivialOffsetCalculatorILi2EjESD_ILi1EjENS7_12LoadWithCastILi2EEENS7_13StoreWithCastILi1EEELi32ELi1EEEEEvT0_T1_.has_dyn_sized_stack)
	.set _ZN2at6native39vectorized_templated_elementwise_kernelILi4EZZZNS0_12prelu_kernelERNS_14TensorIteratorEENKUlvE_clEvENKUlvE0_clEvEUlffE_St5arrayIPcLm3EE23TrivialOffsetCalculatorILi2EjESA_ILi1EjENS0_6memory12LoadWithCastILi2EEENSD_13StoreWithCastILi1EEEfJfN3c104HalfEEEEviT0_T1_T2_T3_T4_T5_.has_recursion, or(0, .L_ZN2at6native25elementwise_kernel_helperILb1EZZZNS0_12prelu_kernelERNS_14TensorIteratorEENKUlvE_clEvENKUlvE0_clEvEUlffE_NS0_6memory8policies11unroll_baseILi512ESt5arrayIPcLm3EE23TrivialOffsetCalculatorILi2EjESD_ILi1EjENS7_12LoadWithCastILi2EEENS7_13StoreWithCastILi1EEELi32ELi1EEEEEvT0_T1_.has_recursion)
	.set _ZN2at6native39vectorized_templated_elementwise_kernelILi4EZZZNS0_12prelu_kernelERNS_14TensorIteratorEENKUlvE_clEvENKUlvE0_clEvEUlffE_St5arrayIPcLm3EE23TrivialOffsetCalculatorILi2EjESA_ILi1EjENS0_6memory12LoadWithCastILi2EEENSD_13StoreWithCastILi1EEEfJfN3c104HalfEEEEviT0_T1_T2_T3_T4_T5_.has_indirect_call, or(0, .L_ZN2at6native25elementwise_kernel_helperILb1EZZZNS0_12prelu_kernelERNS_14TensorIteratorEENKUlvE_clEvENKUlvE0_clEvEUlffE_NS0_6memory8policies11unroll_baseILi512ESt5arrayIPcLm3EE23TrivialOffsetCalculatorILi2EjESD_ILi1EjENS7_12LoadWithCastILi2EEENS7_13StoreWithCastILi1EEELi32ELi1EEEEEvT0_T1_.has_indirect_call)
	.section	.AMDGPU.csdata,"",@progbits
; Kernel info:
; codeLenInByte = 1248
; TotalNumSgprs: 98
; NumVgprs: 120
; ScratchSize: 272
; MemoryBound: 0
; FloatMode: 240
; IeeeMode: 1
; LDSByteSize: 0 bytes/workgroup (compile time only)
; SGPRBlocks: 0
; VGPRBlocks: 7
; NumSGPRsForWavesPerEU: 98
; NumVGPRsForWavesPerEU: 120
; NamedBarCnt: 0
; Occupancy: 8
; WaveLimiterHint : 1
; COMPUTE_PGM_RSRC2:SCRATCH_EN: 1
; COMPUTE_PGM_RSRC2:USER_SGPR: 2
; COMPUTE_PGM_RSRC2:TRAP_HANDLER: 0
; COMPUTE_PGM_RSRC2:TGID_X_EN: 1
; COMPUTE_PGM_RSRC2:TGID_Y_EN: 0
; COMPUTE_PGM_RSRC2:TGID_Z_EN: 0
; COMPUTE_PGM_RSRC2:TIDIG_COMP_CNT: 0
	.section	.text._ZN2at6native39vectorized_templated_elementwise_kernelILi2EZZZNS0_12prelu_kernelERNS_14TensorIteratorEENKUlvE_clEvENKUlvE0_clEvEUlffE_St5arrayIPcLm3EE23TrivialOffsetCalculatorILi2EjESA_ILi1EjENS0_6memory12LoadWithCastILi2EEENSD_13StoreWithCastILi1EEEfJfN3c104HalfEEEEviT0_T1_T2_T3_T4_T5_,"axG",@progbits,_ZN2at6native39vectorized_templated_elementwise_kernelILi2EZZZNS0_12prelu_kernelERNS_14TensorIteratorEENKUlvE_clEvENKUlvE0_clEvEUlffE_St5arrayIPcLm3EE23TrivialOffsetCalculatorILi2EjESA_ILi1EjENS0_6memory12LoadWithCastILi2EEENSD_13StoreWithCastILi1EEEfJfN3c104HalfEEEEviT0_T1_T2_T3_T4_T5_,comdat
	.globl	_ZN2at6native39vectorized_templated_elementwise_kernelILi2EZZZNS0_12prelu_kernelERNS_14TensorIteratorEENKUlvE_clEvENKUlvE0_clEvEUlffE_St5arrayIPcLm3EE23TrivialOffsetCalculatorILi2EjESA_ILi1EjENS0_6memory12LoadWithCastILi2EEENSD_13StoreWithCastILi1EEEfJfN3c104HalfEEEEviT0_T1_T2_T3_T4_T5_ ; -- Begin function _ZN2at6native39vectorized_templated_elementwise_kernelILi2EZZZNS0_12prelu_kernelERNS_14TensorIteratorEENKUlvE_clEvENKUlvE0_clEvEUlffE_St5arrayIPcLm3EE23TrivialOffsetCalculatorILi2EjESA_ILi1EjENS0_6memory12LoadWithCastILi2EEENSD_13StoreWithCastILi1EEEfJfN3c104HalfEEEEviT0_T1_T2_T3_T4_T5_
	.p2align	8
	.type	_ZN2at6native39vectorized_templated_elementwise_kernelILi2EZZZNS0_12prelu_kernelERNS_14TensorIteratorEENKUlvE_clEvENKUlvE0_clEvEUlffE_St5arrayIPcLm3EE23TrivialOffsetCalculatorILi2EjESA_ILi1EjENS0_6memory12LoadWithCastILi2EEENSD_13StoreWithCastILi1EEEfJfN3c104HalfEEEEviT0_T1_T2_T3_T4_T5_,@function
_ZN2at6native39vectorized_templated_elementwise_kernelILi2EZZZNS0_12prelu_kernelERNS_14TensorIteratorEENKUlvE_clEvENKUlvE0_clEvEUlffE_St5arrayIPcLm3EE23TrivialOffsetCalculatorILi2EjESA_ILi1EjENS0_6memory12LoadWithCastILi2EEENSD_13StoreWithCastILi1EEEfJfN3c104HalfEEEEviT0_T1_T2_T3_T4_T5_: ; @_ZN2at6native39vectorized_templated_elementwise_kernelILi2EZZZNS0_12prelu_kernelERNS_14TensorIteratorEENKUlvE_clEvENKUlvE0_clEvEUlffE_St5arrayIPcLm3EE23TrivialOffsetCalculatorILi2EjESA_ILi1EjENS0_6memory12LoadWithCastILi2EEENSD_13StoreWithCastILi1EEEfJfN3c104HalfEEEEviT0_T1_T2_T3_T4_T5_
; %bb.0:
	s_clause 0x2
	s_load_b32 s8, s[0:1], 0x38
	s_load_b32 s9, s[0:1], 0x0
	s_load_b64 s[2:3], s[0:1], 0x18
	s_bfe_u32 s10, ttmp6, 0x4000c
	s_load_b128 s[4:7], s[0:1], 0x8
	s_add_co_i32 s10, s10, 1
	s_and_b32 s11, ttmp6, 15
	s_mul_i32 s10, ttmp9, s10
	s_getreg_b32 s12, hwreg(HW_REG_IB_STS2, 6, 4)
	s_add_co_i32 s11, s11, s10
	s_cmp_eq_u32 s12, 0
	s_mov_b32 s32, 0
	s_cselect_b32 s10, ttmp9, s11
	s_delay_alu instid0(SALU_CYCLE_1) | instskip(SKIP_4) | instid1(SALU_CYCLE_1)
	s_not_b32 s10, s10
	s_wait_kmcnt 0x0
	s_add_co_i32 s8, s8, s10
	s_mov_b32 s10, -1
	s_lshl_b32 s8, s8, 14
	s_sub_co_i32 s14, s9, s8
	s_delay_alu instid0(SALU_CYCLE_1)
	s_cmp_gt_i32 s14, 0x3fff
	s_cbranch_scc1 .LBB26_3
; %bb.1:
	s_and_not1_b32 vcc_lo, exec_lo, s10
	s_cbranch_vccz .LBB26_4
.LBB26_2:
	s_sendmsg sendmsg(MSG_DEALLOC_VGPRS)
	s_endpgm
.LBB26_3:
	s_ashr_i32 s9, s8, 31
	s_delay_alu instid0(SALU_CYCLE_1)
	s_lshl_b64 s[10:11], s[8:9], 1
	s_lshl_b64 s[8:9], s[8:9], 2
	s_add_nc_u64 s[10:11], s[2:3], s[10:11]
	s_add_nc_u64 s[12:13], s[6:7], s[8:9]
	s_clause 0x1f
	global_load_b32 v1, v0, s[10:11] scale_offset
	global_load_b32 v35, v0, s[10:11] offset:2048 scale_offset
	global_load_b32 v37, v0, s[10:11] offset:4096 scale_offset
	;; [unrolled: 1-line block ×5, first 2 shown]
	global_load_b64 v[2:3], v0, s[12:13] scale_offset
	global_load_b32 v45, v0, s[10:11] offset:12288 scale_offset
	global_load_b64 v[4:5], v0, s[12:13] offset:4096 scale_offset
	global_load_b64 v[6:7], v0, s[12:13] offset:8192 scale_offset
	global_load_b32 v46, v0, s[10:11] offset:14336 scale_offset
	global_load_b64 v[8:9], v0, s[12:13] offset:12288 scale_offset
	global_load_b32 v47, v0, s[10:11] offset:16384 scale_offset
	global_load_b32 v48, v0, s[10:11] offset:18432 scale_offset
	;; [unrolled: 1-line block ×8, first 2 shown]
	; meta instruction
	global_load_b64 v[10:11], v0, s[12:13] offset:16384 scale_offset
	global_load_b64 v[12:13], v0, s[12:13] offset:20480 scale_offset
	;; [unrolled: 1-line block ×12, first 2 shown]
	s_add_nc_u64 s[8:9], s[4:5], s[8:9]
	s_wait_xcnt 0xc
	s_wait_loadcnt 0x1a
	v_cvt_f32_f16_e32 v44, v43
	s_wait_loadcnt 0x19
	v_cmp_lt_f32_e32 vcc_lo, 0, v3
	v_lshrrev_b32_e32 v58, 16, v43
	v_cvt_f32_f16_e32 v34, v1
	v_dual_lshrrev_b32 v1, 16, v1 :: v_dual_lshrrev_b32 v52, 16, v35
	v_cvt_f32_f16_e32 v36, v35
	v_cvt_f32_f16_e32 v38, v37
	v_lshrrev_b32_e32 v54, 16, v37
	s_delay_alu instid0(VALU_DEP_4)
	v_cvt_f32_f16_e32 v35, v1
	v_cvt_f32_f16_e32 v37, v52
	;; [unrolled: 1-line block ×3, first 2 shown]
	v_lshrrev_b32_e32 v1, 16, v39
	v_cvt_f32_f16_e32 v39, v54
	v_pk_mul_f32 v[34:35], v[2:3], v[34:35]
	s_wait_loadcnt 0x17
	v_pk_mul_f32 v[36:37], v[4:5], v[36:37]
	v_cvt_f32_f16_e32 v42, v41
	v_lshrrev_b32_e32 v57, 16, v41
	s_wait_loadcnt 0x16
	v_pk_mul_f32 v[38:39], v[6:7], v[38:39]
	v_cndmask_b32_e32 v3, v35, v3, vcc_lo
	v_cmp_lt_f32_e32 vcc_lo, 0, v2
	v_cvt_f32_f16_e32 v41, v1
	v_cvt_f32_f16_e32 v43, v57
	s_wait_loadcnt 0xe
	v_cvt_f32_f16_e32 v52, v53
	s_wait_loadcnt 0xd
	v_cvt_f32_f16_e32 v54, v55
	v_cndmask_b32_e32 v2, v34, v2, vcc_lo
	v_cmp_lt_f32_e32 vcc_lo, 0, v5
	v_pk_mul_f32 v[40:41], v[8:9], v[40:41]
	s_wait_loadcnt 0xb
	v_pk_mul_f32 v[42:43], v[10:11], v[42:43]
	v_cvt_f32_f16_e32 v34, v45
	v_dual_lshrrev_b32 v1, 16, v46 :: v_dual_cndmask_b32 v5, v37, v5, vcc_lo
	v_cmp_lt_f32_e32 vcc_lo, 0, v4
	v_lshrrev_b32_e32 v35, 16, v45
	v_cvt_f32_f16_e32 v45, v58
	s_delay_alu instid0(VALU_DEP_4)
	v_cvt_f32_f16_e32 v37, v1
	v_dual_lshrrev_b32 v55, 16, v55 :: v_dual_lshrrev_b32 v57, 16, v56
	v_cndmask_b32_e32 v4, v36, v4, vcc_lo
	v_cmp_lt_f32_e32 vcc_lo, 0, v7
	s_wait_loadcnt 0xa
	v_pk_mul_f32 v[44:45], v[12:13], v[44:45]
	v_cvt_f32_f16_e32 v35, v35
	v_cvt_f32_f16_e32 v36, v46
	;; [unrolled: 1-line block ×3, first 2 shown]
	v_cndmask_b32_e32 v7, v39, v7, vcc_lo
	v_cmp_lt_f32_e32 vcc_lo, 0, v6
	s_wait_loadcnt 0x9
	v_pk_mul_f32 v[34:35], v[14:15], v[34:35]
	s_wait_loadcnt 0x8
	v_pk_mul_f32 v[36:37], v[16:17], v[36:37]
	v_cvt_f32_f16_e32 v55, v55
	v_cvt_f32_f16_e32 v56, v56
	v_cndmask_b32_e32 v6, v38, v6, vcc_lo
	v_cmp_lt_f32_e32 vcc_lo, 0, v9
	v_lshrrev_b32_e32 v39, 16, v47
	v_cvt_f32_f16_e32 v38, v47
	v_dual_lshrrev_b32 v47, 16, v49 :: v_dual_lshrrev_b32 v49, 16, v50
	v_cndmask_b32_e32 v9, v41, v9, vcc_lo
	v_cmp_lt_f32_e32 vcc_lo, 0, v8
	v_cvt_f32_f16_e32 v39, v39
	v_lshrrev_b32_e32 v41, 16, v48
	v_cvt_f32_f16_e32 v47, v47
	v_cvt_f32_f16_e32 v49, v49
	v_cndmask_b32_e32 v8, v40, v8, vcc_lo
	v_cmp_lt_f32_e32 vcc_lo, 0, v11
	s_wait_loadcnt 0x7
	v_pk_mul_f32 v[38:39], v[18:19], v[38:39]
	v_cvt_f32_f16_e32 v40, v48
	v_cvt_f32_f16_e32 v41, v41
	s_wait_loadcnt 0x5
	v_pk_mul_f32 v[46:47], v[22:23], v[46:47]
	v_cndmask_b32_e32 v11, v43, v11, vcc_lo
	v_cmp_lt_f32_e32 vcc_lo, 0, v10
	v_cvt_f32_f16_e32 v48, v50
	v_pk_mul_f32 v[40:41], v[20:21], v[40:41]
	v_cvt_f32_f16_e32 v50, v51
	v_dual_lshrrev_b32 v51, 16, v51 :: v_dual_lshrrev_b32 v1, 16, v53
	v_cndmask_b32_e32 v10, v42, v10, vcc_lo
	v_cmp_lt_f32_e32 vcc_lo, 0, v13
	s_wait_loadcnt 0x4
	v_pk_mul_f32 v[48:49], v[24:25], v[48:49]
	v_cvt_f32_f16_e32 v51, v51
	v_cvt_f32_f16_e32 v53, v1
	s_wait_loadcnt 0x1
	v_pk_mul_f32 v[54:55], v[30:31], v[54:55]
	v_cndmask_b32_e32 v13, v45, v13, vcc_lo
	v_cmp_lt_f32_e32 vcc_lo, 0, v12
	v_pk_mul_f32 v[50:51], v[26:27], v[50:51]
	v_pk_mul_f32 v[52:53], v[28:29], v[52:53]
	v_cvt_f32_f16_e32 v57, v57
	v_cndmask_b32_e32 v12, v44, v12, vcc_lo
	v_cmp_lt_f32_e32 vcc_lo, 0, v15
	s_wait_loadcnt 0x0
	s_delay_alu instid0(VALU_DEP_3)
	v_pk_mul_f32 v[56:57], v[32:33], v[56:57]
	v_cndmask_b32_e32 v15, v35, v15, vcc_lo
	v_cmp_lt_f32_e32 vcc_lo, 0, v14
	v_cndmask_b32_e32 v14, v34, v14, vcc_lo
	v_cmp_lt_f32_e32 vcc_lo, 0, v17
	;; [unrolled: 2-line block ×19, first 2 shown]
	v_cndmask_b32_e32 v32, v56, v32, vcc_lo
	s_clause 0xf
	global_store_b64 v0, v[2:3], s[8:9] scale_offset
	global_store_b64 v0, v[4:5], s[8:9] offset:4096 scale_offset
	global_store_b64 v0, v[6:7], s[8:9] offset:8192 scale_offset
	;; [unrolled: 1-line block ×15, first 2 shown]
	s_cbranch_execnz .LBB26_2
.LBB26_4:
	s_clause 0x1
	s_load_b32 s10, s[0:1], 0x24
	s_load_b128 s[16:19], s[0:1], 0x28
	v_dual_mov_b32 v31, v0 :: v_dual_mov_b32 v0, s4
	v_dual_mov_b32 v1, s5 :: v_dual_mov_b32 v2, s6
	;; [unrolled: 1-line block ×4, first 2 shown]
	s_add_nc_u64 s[8:9], s[0:1], 56
	s_wait_xcnt 0x0
	s_get_pc_i64 s[0:1]
	s_add_nc_u64 s[0:1], s[0:1], _ZN2at6native25elementwise_kernel_helperILb1EZZZNS0_12prelu_kernelERNS_14TensorIteratorEENKUlvE_clEvENKUlvE0_clEvEUlffE_NS0_6memory8policies11unroll_baseILi512ESt5arrayIPcLm3EE23TrivialOffsetCalculatorILi2EjESD_ILi1EjENS7_12LoadWithCastILi2EEENS7_13StoreWithCastILi1EEELi32ELi1EEEEEvT0_T1_@rel64+4
	s_wait_kmcnt 0x0
	s_bfe_u32 s11, s10, 0x80008
	v_dual_mov_b32 v7, s10 :: v_dual_mov_b32 v9, s16
	v_dual_mov_b32 v10, s17 :: v_dual_mov_b32 v11, s18
	;; [unrolled: 1-line block ×3, first 2 shown]
	s_swap_pc_i64 s[30:31], s[0:1]
	s_endpgm
	.section	.rodata,"a",@progbits
	.p2align	6, 0x0
	.amdhsa_kernel _ZN2at6native39vectorized_templated_elementwise_kernelILi2EZZZNS0_12prelu_kernelERNS_14TensorIteratorEENKUlvE_clEvENKUlvE0_clEvEUlffE_St5arrayIPcLm3EE23TrivialOffsetCalculatorILi2EjESA_ILi1EjENS0_6memory12LoadWithCastILi2EEENSD_13StoreWithCastILi1EEEfJfN3c104HalfEEEEviT0_T1_T2_T3_T4_T5_
		.amdhsa_group_segment_fixed_size 0
		.amdhsa_private_segment_fixed_size 272
		.amdhsa_kernarg_size 312
		.amdhsa_user_sgpr_count 2
		.amdhsa_user_sgpr_dispatch_ptr 0
		.amdhsa_user_sgpr_queue_ptr 0
		.amdhsa_user_sgpr_kernarg_segment_ptr 1
		.amdhsa_user_sgpr_dispatch_id 0
		.amdhsa_user_sgpr_kernarg_preload_length 0
		.amdhsa_user_sgpr_kernarg_preload_offset 0
		.amdhsa_user_sgpr_private_segment_size 0
		.amdhsa_wavefront_size32 1
		.amdhsa_uses_dynamic_stack 0
		.amdhsa_enable_private_segment 1
		.amdhsa_system_sgpr_workgroup_id_x 1
		.amdhsa_system_sgpr_workgroup_id_y 0
		.amdhsa_system_sgpr_workgroup_id_z 0
		.amdhsa_system_sgpr_workgroup_info 0
		.amdhsa_system_vgpr_workitem_id 0
		.amdhsa_next_free_vgpr 120
		.amdhsa_next_free_sgpr 96
		.amdhsa_named_barrier_count 0
		.amdhsa_reserve_vcc 1
		.amdhsa_float_round_mode_32 0
		.amdhsa_float_round_mode_16_64 0
		.amdhsa_float_denorm_mode_32 3
		.amdhsa_float_denorm_mode_16_64 3
		.amdhsa_fp16_overflow 0
		.amdhsa_memory_ordered 1
		.amdhsa_forward_progress 1
		.amdhsa_inst_pref_size 13
		.amdhsa_round_robin_scheduling 0
		.amdhsa_exception_fp_ieee_invalid_op 0
		.amdhsa_exception_fp_denorm_src 0
		.amdhsa_exception_fp_ieee_div_zero 0
		.amdhsa_exception_fp_ieee_overflow 0
		.amdhsa_exception_fp_ieee_underflow 0
		.amdhsa_exception_fp_ieee_inexact 0
		.amdhsa_exception_int_div_zero 0
	.end_amdhsa_kernel
	.section	.text._ZN2at6native39vectorized_templated_elementwise_kernelILi2EZZZNS0_12prelu_kernelERNS_14TensorIteratorEENKUlvE_clEvENKUlvE0_clEvEUlffE_St5arrayIPcLm3EE23TrivialOffsetCalculatorILi2EjESA_ILi1EjENS0_6memory12LoadWithCastILi2EEENSD_13StoreWithCastILi1EEEfJfN3c104HalfEEEEviT0_T1_T2_T3_T4_T5_,"axG",@progbits,_ZN2at6native39vectorized_templated_elementwise_kernelILi2EZZZNS0_12prelu_kernelERNS_14TensorIteratorEENKUlvE_clEvENKUlvE0_clEvEUlffE_St5arrayIPcLm3EE23TrivialOffsetCalculatorILi2EjESA_ILi1EjENS0_6memory12LoadWithCastILi2EEENSD_13StoreWithCastILi1EEEfJfN3c104HalfEEEEviT0_T1_T2_T3_T4_T5_,comdat
.Lfunc_end26:
	.size	_ZN2at6native39vectorized_templated_elementwise_kernelILi2EZZZNS0_12prelu_kernelERNS_14TensorIteratorEENKUlvE_clEvENKUlvE0_clEvEUlffE_St5arrayIPcLm3EE23TrivialOffsetCalculatorILi2EjESA_ILi1EjENS0_6memory12LoadWithCastILi2EEENSD_13StoreWithCastILi1EEEfJfN3c104HalfEEEEviT0_T1_T2_T3_T4_T5_, .Lfunc_end26-_ZN2at6native39vectorized_templated_elementwise_kernelILi2EZZZNS0_12prelu_kernelERNS_14TensorIteratorEENKUlvE_clEvENKUlvE0_clEvEUlffE_St5arrayIPcLm3EE23TrivialOffsetCalculatorILi2EjESA_ILi1EjENS0_6memory12LoadWithCastILi2EEENSD_13StoreWithCastILi1EEEfJfN3c104HalfEEEEviT0_T1_T2_T3_T4_T5_
                                        ; -- End function
	.set _ZN2at6native39vectorized_templated_elementwise_kernelILi2EZZZNS0_12prelu_kernelERNS_14TensorIteratorEENKUlvE_clEvENKUlvE0_clEvEUlffE_St5arrayIPcLm3EE23TrivialOffsetCalculatorILi2EjESA_ILi1EjENS0_6memory12LoadWithCastILi2EEENSD_13StoreWithCastILi1EEEfJfN3c104HalfEEEEviT0_T1_T2_T3_T4_T5_.num_vgpr, max(59, .L_ZN2at6native25elementwise_kernel_helperILb1EZZZNS0_12prelu_kernelERNS_14TensorIteratorEENKUlvE_clEvENKUlvE0_clEvEUlffE_NS0_6memory8policies11unroll_baseILi512ESt5arrayIPcLm3EE23TrivialOffsetCalculatorILi2EjESD_ILi1EjENS7_12LoadWithCastILi2EEENS7_13StoreWithCastILi1EEELi32ELi1EEEEEvT0_T1_.num_vgpr)
	.set _ZN2at6native39vectorized_templated_elementwise_kernelILi2EZZZNS0_12prelu_kernelERNS_14TensorIteratorEENKUlvE_clEvENKUlvE0_clEvEUlffE_St5arrayIPcLm3EE23TrivialOffsetCalculatorILi2EjESA_ILi1EjENS0_6memory12LoadWithCastILi2EEENSD_13StoreWithCastILi1EEEfJfN3c104HalfEEEEviT0_T1_T2_T3_T4_T5_.num_agpr, max(0, .L_ZN2at6native25elementwise_kernel_helperILb1EZZZNS0_12prelu_kernelERNS_14TensorIteratorEENKUlvE_clEvENKUlvE0_clEvEUlffE_NS0_6memory8policies11unroll_baseILi512ESt5arrayIPcLm3EE23TrivialOffsetCalculatorILi2EjESD_ILi1EjENS7_12LoadWithCastILi2EEENS7_13StoreWithCastILi1EEELi32ELi1EEEEEvT0_T1_.num_agpr)
	.set _ZN2at6native39vectorized_templated_elementwise_kernelILi2EZZZNS0_12prelu_kernelERNS_14TensorIteratorEENKUlvE_clEvENKUlvE0_clEvEUlffE_St5arrayIPcLm3EE23TrivialOffsetCalculatorILi2EjESA_ILi1EjENS0_6memory12LoadWithCastILi2EEENSD_13StoreWithCastILi1EEEfJfN3c104HalfEEEEviT0_T1_T2_T3_T4_T5_.numbered_sgpr, max(33, .L_ZN2at6native25elementwise_kernel_helperILb1EZZZNS0_12prelu_kernelERNS_14TensorIteratorEENKUlvE_clEvENKUlvE0_clEvEUlffE_NS0_6memory8policies11unroll_baseILi512ESt5arrayIPcLm3EE23TrivialOffsetCalculatorILi2EjESD_ILi1EjENS7_12LoadWithCastILi2EEENS7_13StoreWithCastILi1EEELi32ELi1EEEEEvT0_T1_.numbered_sgpr)
	.set _ZN2at6native39vectorized_templated_elementwise_kernelILi2EZZZNS0_12prelu_kernelERNS_14TensorIteratorEENKUlvE_clEvENKUlvE0_clEvEUlffE_St5arrayIPcLm3EE23TrivialOffsetCalculatorILi2EjESA_ILi1EjENS0_6memory12LoadWithCastILi2EEENSD_13StoreWithCastILi1EEEfJfN3c104HalfEEEEviT0_T1_T2_T3_T4_T5_.num_named_barrier, max(0, .L_ZN2at6native25elementwise_kernel_helperILb1EZZZNS0_12prelu_kernelERNS_14TensorIteratorEENKUlvE_clEvENKUlvE0_clEvEUlffE_NS0_6memory8policies11unroll_baseILi512ESt5arrayIPcLm3EE23TrivialOffsetCalculatorILi2EjESD_ILi1EjENS7_12LoadWithCastILi2EEENS7_13StoreWithCastILi1EEELi32ELi1EEEEEvT0_T1_.num_named_barrier)
	.set _ZN2at6native39vectorized_templated_elementwise_kernelILi2EZZZNS0_12prelu_kernelERNS_14TensorIteratorEENKUlvE_clEvENKUlvE0_clEvEUlffE_St5arrayIPcLm3EE23TrivialOffsetCalculatorILi2EjESA_ILi1EjENS0_6memory12LoadWithCastILi2EEENSD_13StoreWithCastILi1EEEfJfN3c104HalfEEEEviT0_T1_T2_T3_T4_T5_.private_seg_size, 0+max(.L_ZN2at6native25elementwise_kernel_helperILb1EZZZNS0_12prelu_kernelERNS_14TensorIteratorEENKUlvE_clEvENKUlvE0_clEvEUlffE_NS0_6memory8policies11unroll_baseILi512ESt5arrayIPcLm3EE23TrivialOffsetCalculatorILi2EjESD_ILi1EjENS7_12LoadWithCastILi2EEENS7_13StoreWithCastILi1EEELi32ELi1EEEEEvT0_T1_.private_seg_size)
	.set _ZN2at6native39vectorized_templated_elementwise_kernelILi2EZZZNS0_12prelu_kernelERNS_14TensorIteratorEENKUlvE_clEvENKUlvE0_clEvEUlffE_St5arrayIPcLm3EE23TrivialOffsetCalculatorILi2EjESA_ILi1EjENS0_6memory12LoadWithCastILi2EEENSD_13StoreWithCastILi1EEEfJfN3c104HalfEEEEviT0_T1_T2_T3_T4_T5_.uses_vcc, or(1, .L_ZN2at6native25elementwise_kernel_helperILb1EZZZNS0_12prelu_kernelERNS_14TensorIteratorEENKUlvE_clEvENKUlvE0_clEvEUlffE_NS0_6memory8policies11unroll_baseILi512ESt5arrayIPcLm3EE23TrivialOffsetCalculatorILi2EjESD_ILi1EjENS7_12LoadWithCastILi2EEENS7_13StoreWithCastILi1EEELi32ELi1EEEEEvT0_T1_.uses_vcc)
	.set _ZN2at6native39vectorized_templated_elementwise_kernelILi2EZZZNS0_12prelu_kernelERNS_14TensorIteratorEENKUlvE_clEvENKUlvE0_clEvEUlffE_St5arrayIPcLm3EE23TrivialOffsetCalculatorILi2EjESA_ILi1EjENS0_6memory12LoadWithCastILi2EEENSD_13StoreWithCastILi1EEEfJfN3c104HalfEEEEviT0_T1_T2_T3_T4_T5_.uses_flat_scratch, or(0, .L_ZN2at6native25elementwise_kernel_helperILb1EZZZNS0_12prelu_kernelERNS_14TensorIteratorEENKUlvE_clEvENKUlvE0_clEvEUlffE_NS0_6memory8policies11unroll_baseILi512ESt5arrayIPcLm3EE23TrivialOffsetCalculatorILi2EjESD_ILi1EjENS7_12LoadWithCastILi2EEENS7_13StoreWithCastILi1EEELi32ELi1EEEEEvT0_T1_.uses_flat_scratch)
	.set _ZN2at6native39vectorized_templated_elementwise_kernelILi2EZZZNS0_12prelu_kernelERNS_14TensorIteratorEENKUlvE_clEvENKUlvE0_clEvEUlffE_St5arrayIPcLm3EE23TrivialOffsetCalculatorILi2EjESA_ILi1EjENS0_6memory12LoadWithCastILi2EEENSD_13StoreWithCastILi1EEEfJfN3c104HalfEEEEviT0_T1_T2_T3_T4_T5_.has_dyn_sized_stack, or(0, .L_ZN2at6native25elementwise_kernel_helperILb1EZZZNS0_12prelu_kernelERNS_14TensorIteratorEENKUlvE_clEvENKUlvE0_clEvEUlffE_NS0_6memory8policies11unroll_baseILi512ESt5arrayIPcLm3EE23TrivialOffsetCalculatorILi2EjESD_ILi1EjENS7_12LoadWithCastILi2EEENS7_13StoreWithCastILi1EEELi32ELi1EEEEEvT0_T1_.has_dyn_sized_stack)
	.set _ZN2at6native39vectorized_templated_elementwise_kernelILi2EZZZNS0_12prelu_kernelERNS_14TensorIteratorEENKUlvE_clEvENKUlvE0_clEvEUlffE_St5arrayIPcLm3EE23TrivialOffsetCalculatorILi2EjESA_ILi1EjENS0_6memory12LoadWithCastILi2EEENSD_13StoreWithCastILi1EEEfJfN3c104HalfEEEEviT0_T1_T2_T3_T4_T5_.has_recursion, or(0, .L_ZN2at6native25elementwise_kernel_helperILb1EZZZNS0_12prelu_kernelERNS_14TensorIteratorEENKUlvE_clEvENKUlvE0_clEvEUlffE_NS0_6memory8policies11unroll_baseILi512ESt5arrayIPcLm3EE23TrivialOffsetCalculatorILi2EjESD_ILi1EjENS7_12LoadWithCastILi2EEENS7_13StoreWithCastILi1EEELi32ELi1EEEEEvT0_T1_.has_recursion)
	.set _ZN2at6native39vectorized_templated_elementwise_kernelILi2EZZZNS0_12prelu_kernelERNS_14TensorIteratorEENKUlvE_clEvENKUlvE0_clEvEUlffE_St5arrayIPcLm3EE23TrivialOffsetCalculatorILi2EjESA_ILi1EjENS0_6memory12LoadWithCastILi2EEENSD_13StoreWithCastILi1EEEfJfN3c104HalfEEEEviT0_T1_T2_T3_T4_T5_.has_indirect_call, or(0, .L_ZN2at6native25elementwise_kernel_helperILb1EZZZNS0_12prelu_kernelERNS_14TensorIteratorEENKUlvE_clEvENKUlvE0_clEvEUlffE_NS0_6memory8policies11unroll_baseILi512ESt5arrayIPcLm3EE23TrivialOffsetCalculatorILi2EjESD_ILi1EjENS7_12LoadWithCastILi2EEENS7_13StoreWithCastILi1EEELi32ELi1EEEEEvT0_T1_.has_indirect_call)
	.section	.AMDGPU.csdata,"",@progbits
; Kernel info:
; codeLenInByte = 1552
; TotalNumSgprs: 98
; NumVgprs: 120
; ScratchSize: 272
; MemoryBound: 0
; FloatMode: 240
; IeeeMode: 1
; LDSByteSize: 0 bytes/workgroup (compile time only)
; SGPRBlocks: 0
; VGPRBlocks: 7
; NumSGPRsForWavesPerEU: 98
; NumVGPRsForWavesPerEU: 120
; NamedBarCnt: 0
; Occupancy: 8
; WaveLimiterHint : 1
; COMPUTE_PGM_RSRC2:SCRATCH_EN: 1
; COMPUTE_PGM_RSRC2:USER_SGPR: 2
; COMPUTE_PGM_RSRC2:TRAP_HANDLER: 0
; COMPUTE_PGM_RSRC2:TGID_X_EN: 1
; COMPUTE_PGM_RSRC2:TGID_Y_EN: 0
; COMPUTE_PGM_RSRC2:TGID_Z_EN: 0
; COMPUTE_PGM_RSRC2:TIDIG_COMP_CNT: 0
	.section	.text._ZN2at6native39vectorized_templated_elementwise_kernelILi8EZZZNS0_12prelu_kernelERNS_14TensorIteratorEENKUlvE_clEvENKUlvE0_clEvEUlffE_St5arrayIPcLm3EE23TrivialOffsetCalculatorILi2EjESA_ILi1EjENS0_6memory12LoadWithCastILi2EEENSD_13StoreWithCastILi1EEEfJN3c104HalfEfEEEviT0_T1_T2_T3_T4_T5_,"axG",@progbits,_ZN2at6native39vectorized_templated_elementwise_kernelILi8EZZZNS0_12prelu_kernelERNS_14TensorIteratorEENKUlvE_clEvENKUlvE0_clEvEUlffE_St5arrayIPcLm3EE23TrivialOffsetCalculatorILi2EjESA_ILi1EjENS0_6memory12LoadWithCastILi2EEENSD_13StoreWithCastILi1EEEfJN3c104HalfEfEEEviT0_T1_T2_T3_T4_T5_,comdat
	.globl	_ZN2at6native39vectorized_templated_elementwise_kernelILi8EZZZNS0_12prelu_kernelERNS_14TensorIteratorEENKUlvE_clEvENKUlvE0_clEvEUlffE_St5arrayIPcLm3EE23TrivialOffsetCalculatorILi2EjESA_ILi1EjENS0_6memory12LoadWithCastILi2EEENSD_13StoreWithCastILi1EEEfJN3c104HalfEfEEEviT0_T1_T2_T3_T4_T5_ ; -- Begin function _ZN2at6native39vectorized_templated_elementwise_kernelILi8EZZZNS0_12prelu_kernelERNS_14TensorIteratorEENKUlvE_clEvENKUlvE0_clEvEUlffE_St5arrayIPcLm3EE23TrivialOffsetCalculatorILi2EjESA_ILi1EjENS0_6memory12LoadWithCastILi2EEENSD_13StoreWithCastILi1EEEfJN3c104HalfEfEEEviT0_T1_T2_T3_T4_T5_
	.p2align	8
	.type	_ZN2at6native39vectorized_templated_elementwise_kernelILi8EZZZNS0_12prelu_kernelERNS_14TensorIteratorEENKUlvE_clEvENKUlvE0_clEvEUlffE_St5arrayIPcLm3EE23TrivialOffsetCalculatorILi2EjESA_ILi1EjENS0_6memory12LoadWithCastILi2EEENSD_13StoreWithCastILi1EEEfJN3c104HalfEfEEEviT0_T1_T2_T3_T4_T5_,@function
_ZN2at6native39vectorized_templated_elementwise_kernelILi8EZZZNS0_12prelu_kernelERNS_14TensorIteratorEENKUlvE_clEvENKUlvE0_clEvEUlffE_St5arrayIPcLm3EE23TrivialOffsetCalculatorILi2EjESA_ILi1EjENS0_6memory12LoadWithCastILi2EEENSD_13StoreWithCastILi1EEEfJN3c104HalfEfEEEviT0_T1_T2_T3_T4_T5_: ; @_ZN2at6native39vectorized_templated_elementwise_kernelILi8EZZZNS0_12prelu_kernelERNS_14TensorIteratorEENKUlvE_clEvENKUlvE0_clEvEUlffE_St5arrayIPcLm3EE23TrivialOffsetCalculatorILi2EjESA_ILi1EjENS0_6memory12LoadWithCastILi2EEENSD_13StoreWithCastILi1EEEfJN3c104HalfEfEEEviT0_T1_T2_T3_T4_T5_
; %bb.0:
	s_clause 0x2
	s_load_b32 s2, s[0:1], 0x38
	s_load_b32 s3, s[0:1], 0x0
	s_load_b64 s[16:17], s[0:1], 0x18
	s_bfe_u32 s4, ttmp6, 0x4000c
	s_load_b128 s[12:15], s[0:1], 0x8
	s_add_co_i32 s4, s4, 1
	s_and_b32 s5, ttmp6, 15
	s_mul_i32 s4, ttmp9, s4
	s_getreg_b32 s6, hwreg(HW_REG_IB_STS2, 6, 4)
	s_add_co_i32 s5, s5, s4
	s_cmp_eq_u32 s6, 0
	s_mov_b32 s32, 0
	s_cselect_b32 s4, ttmp9, s5
	s_delay_alu instid0(SALU_CYCLE_1) | instskip(SKIP_2) | instid1(SALU_CYCLE_1)
	s_not_b32 s4, s4
	s_wait_kmcnt 0x0
	s_add_co_i32 s2, s2, s4
	s_lshl_b32 s4, s2, 14
	s_mov_b32 s2, -1
	s_sub_co_i32 s11, s3, s4
	s_delay_alu instid0(SALU_CYCLE_1)
	s_cmp_gt_i32 s11, 0x3fff
	s_cbranch_scc1 .LBB27_3
; %bb.1:
	s_and_not1_b32 vcc_lo, exec_lo, s2
	s_cbranch_vccz .LBB27_4
.LBB27_2:
	s_sendmsg sendmsg(MSG_DEALLOC_VGPRS)
	s_endpgm
.LBB27_3:
	s_ashr_i32 s5, s4, 31
	s_delay_alu instid0(SALU_CYCLE_1)
	s_lshl_b64 s[2:3], s[4:5], 1
	s_lshl_b64 s[18:19], s[4:5], 2
	s_add_nc_u64 s[2:3], s[14:15], s[2:3]
	s_add_nc_u64 s[20:21], s[16:17], s[18:19]
	s_clause 0x1
	global_load_b128 v[2:5], v0, s[2:3] scale_offset
	global_load_b128 v[6:9], v0, s[2:3] offset:8192 scale_offset
	s_wait_loadcnt 0x1
	v_dual_lshlrev_b32 v1, 5, v0 :: v_dual_lshrrev_b32 v64, 16, v2
	s_clause 0x4
	global_load_b128 v[10:13], v1, s[20:21]
	global_load_b128 v[14:17], v1, s[20:21] offset:16
	global_load_b128 v[18:21], v1, s[20:21] offset:16384
	;; [unrolled: 1-line block ×4, first 2 shown]
	s_clause 0x1
	global_load_b128 v[30:33], v0, s[2:3] offset:16384 scale_offset
	global_load_b128 v[34:37], v0, s[2:3] offset:24576 scale_offset
	v_cvt_f32_f16_e32 v38, v2
	v_cvt_f32_f16_e32 v40, v3
	v_dual_lshrrev_b32 v65, 16, v3 :: v_dual_lshrrev_b32 v66, 16, v4
	v_cvt_f32_f16_e32 v42, v4
	v_cvt_f32_f16_e32 v44, v5
	s_wait_loadcnt 0x7
	v_dual_lshrrev_b32 v67, 16, v5 :: v_dual_lshrrev_b32 v68, 16, v6
	v_cmp_lt_f16_e32 vcc_lo, 0, v2
	s_wait_xcnt 0x0
	v_cmp_lt_f16_e64 s2, 0, v3
	v_cmp_lt_f16_e64 s3, 0, v4
	;; [unrolled: 1-line block ×3, first 2 shown]
	global_load_b128 v[2:5], v1, s[20:21] offset:32784
	v_cvt_f32_f16_e32 v39, v64
	v_cvt_f32_f16_e32 v41, v65
	v_cmp_lt_f16_e64 s10, 0, v64
	v_cvt_f32_f16_e32 v46, v6
	v_cvt_f32_f16_e32 v48, v7
	v_dual_lshrrev_b32 v69, 16, v7 :: v_dual_lshrrev_b32 v70, 16, v8
	v_cmp_lt_f16_e64 s5, 0, v6
	v_cmp_lt_f16_e64 s6, 0, v7
	v_cmp_lt_f16_e64 s9, 0, v65
	v_cvt_f32_f16_e32 v47, v68
	v_cvt_f32_f16_e32 v49, v69
	;; [unrolled: 1-line block ×5, first 2 shown]
	v_cmp_lt_f16_e64 s7, 0, v8
	v_cvt_f32_f16_e32 v51, v70
	v_cvt_f32_f16_e32 v54, v9
	v_cmp_lt_f16_e64 s8, 0, v9
	s_wait_loadcnt 0x7
	v_pk_mul_f32 v[10:11], v[10:11], v[38:39]
	v_pk_mul_f32 v[52:53], v[12:13], v[40:41]
	v_lshrrev_b32_e32 v71, 16, v9
	s_wait_loadcnt 0x5
	v_pk_mul_f32 v[56:57], v[18:19], v[46:47]
	v_pk_mul_f32 v[58:59], v[20:21], v[48:49]
	v_dual_cndmask_b32 v7, v11, v39, s10 :: v_dual_cndmask_b32 v6, v10, v38, vcc_lo
	v_cndmask_b32_e64 v9, v53, v41, s9
	s_clause 0x1
	global_load_b128 v[10:13], v1, s[20:21] offset:49152
	global_load_b128 v[18:21], v1, s[20:21] offset:49168
	v_pk_mul_f32 v[14:15], v[14:15], v[42:43]
	v_cmp_lt_f16_e32 vcc_lo, 0, v66
	v_pk_mul_f32 v[16:17], v[16:17], v[44:45]
	v_cndmask_b32_e64 v8, v52, v40, s2
	v_cvt_f32_f16_e32 v55, v71
	s_wait_loadcnt 0x6
	v_pk_mul_f32 v[60:61], v[22:23], v[50:51]
	v_cndmask_b32_e32 v15, v15, v43, vcc_lo
	v_cmp_lt_f16_e32 vcc_lo, 0, v67
	v_cndmask_b32_e64 v14, v14, v42, s3
	v_pk_mul_f32 v[62:63], v[24:25], v[54:55]
	s_wait_loadcnt 0x4
	v_dual_cndmask_b32 v16, v16, v44, s4 :: v_dual_lshrrev_b32 v52, 16, v30
	v_cndmask_b32_e32 v17, v17, v45, vcc_lo
	v_cmp_lt_f16_e32 vcc_lo, 0, v68
	v_cvt_f32_f16_e32 v42, v30
	v_cndmask_b32_e64 v22, v56, v46, s5
	v_cvt_f32_f16_e32 v43, v52
	v_cvt_f32_f16_e32 v44, v31
	v_cndmask_b32_e32 v23, v57, v47, vcc_lo
	v_cmp_lt_f16_e32 vcc_lo, 0, v69
	v_lshrrev_b32_e32 v53, 16, v31
	v_pk_mul_f32 v[26:27], v[26:27], v[42:43]
	v_cvt_f32_f16_e32 v46, v32
	v_dual_cndmask_b32 v38, v60, v50, s7 :: v_dual_cndmask_b32 v25, v59, v49, vcc_lo
	v_cmp_lt_f16_e32 vcc_lo, 0, v70
	v_cndmask_b32_e64 v24, v58, v48, s6
	v_cvt_f32_f16_e32 v45, v53
	v_lshrrev_b32_e32 v49, 16, v32
	v_cvt_f32_f16_e32 v48, v33
	v_cndmask_b32_e32 v39, v61, v51, vcc_lo
	v_cmp_lt_f16_e32 vcc_lo, 0, v71
	v_lshrrev_b32_e32 v56, 16, v33
	v_pk_mul_f32 v[28:29], v[28:29], v[44:45]
	v_cvt_f32_f16_e32 v47, v49
	s_wait_loadcnt 0x3
	v_cvt_f32_f16_e32 v50, v34
	v_cndmask_b32_e32 v41, v63, v55, vcc_lo
	v_cmp_lt_f16_e32 vcc_lo, 0, v52
	v_cndmask_b32_e64 v40, v62, v54, s8
	s_wait_loadcnt 0x2
	v_pk_mul_f32 v[2:3], v[2:3], v[46:47]
	v_dual_lshrrev_b32 v54, 16, v34 :: v_dual_lshrrev_b32 v52, 16, v35
	v_cndmask_b32_e32 v27, v27, v43, vcc_lo
	v_cmp_lt_f16_e32 vcc_lo, 0, v30
	v_cvt_f32_f16_e32 v30, v35
	s_delay_alu instid0(VALU_DEP_4)
	v_cvt_f32_f16_e32 v51, v54
	s_add_nc_u64 s[4:5], s[12:13], s[18:19]
	v_cndmask_b32_e32 v26, v26, v42, vcc_lo
	v_cmp_lt_f16_e32 vcc_lo, 0, v53
	v_cvt_f32_f16_e32 v42, v36
	v_cndmask_b32_e32 v29, v29, v45, vcc_lo
	v_cmp_lt_f16_e32 vcc_lo, 0, v31
	v_cvt_f32_f16_e32 v31, v52
	;; [unrolled: 3-line block ×3, first 2 shown]
	v_cvt_f32_f16_e32 v44, v37
	v_cndmask_b32_e32 v3, v3, v47, vcc_lo
	v_cmp_lt_f16_e32 vcc_lo, 0, v32
	s_delay_alu instid0(VALU_DEP_4) | instskip(SKIP_2) | instid1(VALU_DEP_2)
	v_pk_mul_f32 v[4:5], v[4:5], v[48:49]
	v_dual_lshrrev_b32 v32, 16, v36 :: v_dual_cndmask_b32 v2, v2, v46, vcc_lo
	v_cmp_lt_f16_e32 vcc_lo, 0, v56
	v_cvt_f32_f16_e32 v43, v32
	s_wait_loadcnt 0x1
	v_pk_mul_f32 v[10:11], v[10:11], v[50:51]
	v_cndmask_b32_e32 v5, v5, v49, vcc_lo
	v_cmp_lt_f16_e32 vcc_lo, 0, v33
	v_lshrrev_b32_e32 v46, 16, v37
	v_pk_mul_f32 v[12:13], v[12:13], v[30:31]
	s_wait_loadcnt 0x0
	v_pk_mul_f32 v[18:19], v[18:19], v[42:43]
	v_cndmask_b32_e32 v4, v4, v48, vcc_lo
	v_cmp_lt_f16_e32 vcc_lo, 0, v54
	v_cvt_f32_f16_e32 v45, v46
	v_cndmask_b32_e32 v11, v11, v51, vcc_lo
	v_cmp_lt_f16_e32 vcc_lo, 0, v34
	s_delay_alu instid0(VALU_DEP_3)
	v_pk_mul_f32 v[20:21], v[20:21], v[44:45]
	v_cndmask_b32_e32 v10, v10, v50, vcc_lo
	v_cmp_lt_f16_e32 vcc_lo, 0, v52
	v_cndmask_b32_e32 v13, v13, v31, vcc_lo
	v_cmp_lt_f16_e32 vcc_lo, 0, v35
	;; [unrolled: 2-line block ×6, first 2 shown]
	v_cndmask_b32_e32 v20, v20, v44, vcc_lo
	s_clause 0x7
	global_store_b128 v1, v[6:9], s[4:5]
	global_store_b128 v1, v[14:17], s[4:5] offset:16
	global_store_b128 v1, v[22:25], s[4:5] offset:16384
	global_store_b128 v1, v[38:41], s[4:5] offset:16400
	global_store_b128 v1, v[26:29], s[4:5] offset:32768
	global_store_b128 v1, v[2:5], s[4:5] offset:32784
	global_store_b128 v1, v[10:13], s[4:5] offset:49152
	global_store_b128 v1, v[18:21], s[4:5] offset:49168
	s_cbranch_execnz .LBB27_2
.LBB27_4:
	s_clause 0x1
	s_load_b32 s2, s[0:1], 0x24
	s_load_b128 s[4:7], s[0:1], 0x28
	v_dual_mov_b32 v31, v0 :: v_dual_mov_b32 v0, s12
	v_dual_mov_b32 v1, s13 :: v_dual_mov_b32 v2, s14
	;; [unrolled: 1-line block ×4, first 2 shown]
	s_add_nc_u64 s[8:9], s[0:1], 56
	s_wait_xcnt 0x0
	s_get_pc_i64 s[0:1]
	s_add_nc_u64 s[0:1], s[0:1], _ZN2at6native25elementwise_kernel_helperILb1EZZZNS0_12prelu_kernelERNS_14TensorIteratorEENKUlvE_clEvENKUlvE0_clEvEUlffE_NS0_6memory8policies11unroll_baseILi512ESt5arrayIPcLm3EE23TrivialOffsetCalculatorILi2EjESD_ILi1EjENS7_12LoadWithCastILi2EEENS7_13StoreWithCastILi1EEELi32ELi1EEEEEvT0_T1_@rel64+4
	s_wait_kmcnt 0x0
	s_bfe_u32 s3, s2, 0x80008
	v_dual_mov_b32 v7, s2 :: v_dual_mov_b32 v9, s4
	v_dual_mov_b32 v10, s5 :: v_dual_mov_b32 v11, s6
	;; [unrolled: 1-line block ×3, first 2 shown]
	s_swap_pc_i64 s[30:31], s[0:1]
	s_endpgm
	.section	.rodata,"a",@progbits
	.p2align	6, 0x0
	.amdhsa_kernel _ZN2at6native39vectorized_templated_elementwise_kernelILi8EZZZNS0_12prelu_kernelERNS_14TensorIteratorEENKUlvE_clEvENKUlvE0_clEvEUlffE_St5arrayIPcLm3EE23TrivialOffsetCalculatorILi2EjESA_ILi1EjENS0_6memory12LoadWithCastILi2EEENSD_13StoreWithCastILi1EEEfJN3c104HalfEfEEEviT0_T1_T2_T3_T4_T5_
		.amdhsa_group_segment_fixed_size 0
		.amdhsa_private_segment_fixed_size 272
		.amdhsa_kernarg_size 312
		.amdhsa_user_sgpr_count 2
		.amdhsa_user_sgpr_dispatch_ptr 0
		.amdhsa_user_sgpr_queue_ptr 0
		.amdhsa_user_sgpr_kernarg_segment_ptr 1
		.amdhsa_user_sgpr_dispatch_id 0
		.amdhsa_user_sgpr_kernarg_preload_length 0
		.amdhsa_user_sgpr_kernarg_preload_offset 0
		.amdhsa_user_sgpr_private_segment_size 0
		.amdhsa_wavefront_size32 1
		.amdhsa_uses_dynamic_stack 0
		.amdhsa_enable_private_segment 1
		.amdhsa_system_sgpr_workgroup_id_x 1
		.amdhsa_system_sgpr_workgroup_id_y 0
		.amdhsa_system_sgpr_workgroup_id_z 0
		.amdhsa_system_sgpr_workgroup_info 0
		.amdhsa_system_vgpr_workitem_id 0
		.amdhsa_next_free_vgpr 120
		.amdhsa_next_free_sgpr 96
		.amdhsa_named_barrier_count 0
		.amdhsa_reserve_vcc 1
		.amdhsa_float_round_mode_32 0
		.amdhsa_float_round_mode_16_64 0
		.amdhsa_float_denorm_mode_32 3
		.amdhsa_float_denorm_mode_16_64 3
		.amdhsa_fp16_overflow 0
		.amdhsa_memory_ordered 1
		.amdhsa_forward_progress 1
		.amdhsa_inst_pref_size 11
		.amdhsa_round_robin_scheduling 0
		.amdhsa_exception_fp_ieee_invalid_op 0
		.amdhsa_exception_fp_denorm_src 0
		.amdhsa_exception_fp_ieee_div_zero 0
		.amdhsa_exception_fp_ieee_overflow 0
		.amdhsa_exception_fp_ieee_underflow 0
		.amdhsa_exception_fp_ieee_inexact 0
		.amdhsa_exception_int_div_zero 0
	.end_amdhsa_kernel
	.section	.text._ZN2at6native39vectorized_templated_elementwise_kernelILi8EZZZNS0_12prelu_kernelERNS_14TensorIteratorEENKUlvE_clEvENKUlvE0_clEvEUlffE_St5arrayIPcLm3EE23TrivialOffsetCalculatorILi2EjESA_ILi1EjENS0_6memory12LoadWithCastILi2EEENSD_13StoreWithCastILi1EEEfJN3c104HalfEfEEEviT0_T1_T2_T3_T4_T5_,"axG",@progbits,_ZN2at6native39vectorized_templated_elementwise_kernelILi8EZZZNS0_12prelu_kernelERNS_14TensorIteratorEENKUlvE_clEvENKUlvE0_clEvEUlffE_St5arrayIPcLm3EE23TrivialOffsetCalculatorILi2EjESA_ILi1EjENS0_6memory12LoadWithCastILi2EEENSD_13StoreWithCastILi1EEEfJN3c104HalfEfEEEviT0_T1_T2_T3_T4_T5_,comdat
.Lfunc_end27:
	.size	_ZN2at6native39vectorized_templated_elementwise_kernelILi8EZZZNS0_12prelu_kernelERNS_14TensorIteratorEENKUlvE_clEvENKUlvE0_clEvEUlffE_St5arrayIPcLm3EE23TrivialOffsetCalculatorILi2EjESA_ILi1EjENS0_6memory12LoadWithCastILi2EEENSD_13StoreWithCastILi1EEEfJN3c104HalfEfEEEviT0_T1_T2_T3_T4_T5_, .Lfunc_end27-_ZN2at6native39vectorized_templated_elementwise_kernelILi8EZZZNS0_12prelu_kernelERNS_14TensorIteratorEENKUlvE_clEvENKUlvE0_clEvEUlffE_St5arrayIPcLm3EE23TrivialOffsetCalculatorILi2EjESA_ILi1EjENS0_6memory12LoadWithCastILi2EEENSD_13StoreWithCastILi1EEEfJN3c104HalfEfEEEviT0_T1_T2_T3_T4_T5_
                                        ; -- End function
	.set _ZN2at6native39vectorized_templated_elementwise_kernelILi8EZZZNS0_12prelu_kernelERNS_14TensorIteratorEENKUlvE_clEvENKUlvE0_clEvEUlffE_St5arrayIPcLm3EE23TrivialOffsetCalculatorILi2EjESA_ILi1EjENS0_6memory12LoadWithCastILi2EEENSD_13StoreWithCastILi1EEEfJN3c104HalfEfEEEviT0_T1_T2_T3_T4_T5_.num_vgpr, max(72, .L_ZN2at6native25elementwise_kernel_helperILb1EZZZNS0_12prelu_kernelERNS_14TensorIteratorEENKUlvE_clEvENKUlvE0_clEvEUlffE_NS0_6memory8policies11unroll_baseILi512ESt5arrayIPcLm3EE23TrivialOffsetCalculatorILi2EjESD_ILi1EjENS7_12LoadWithCastILi2EEENS7_13StoreWithCastILi1EEELi32ELi1EEEEEvT0_T1_.num_vgpr)
	.set _ZN2at6native39vectorized_templated_elementwise_kernelILi8EZZZNS0_12prelu_kernelERNS_14TensorIteratorEENKUlvE_clEvENKUlvE0_clEvEUlffE_St5arrayIPcLm3EE23TrivialOffsetCalculatorILi2EjESA_ILi1EjENS0_6memory12LoadWithCastILi2EEENSD_13StoreWithCastILi1EEEfJN3c104HalfEfEEEviT0_T1_T2_T3_T4_T5_.num_agpr, max(0, .L_ZN2at6native25elementwise_kernel_helperILb1EZZZNS0_12prelu_kernelERNS_14TensorIteratorEENKUlvE_clEvENKUlvE0_clEvEUlffE_NS0_6memory8policies11unroll_baseILi512ESt5arrayIPcLm3EE23TrivialOffsetCalculatorILi2EjESD_ILi1EjENS7_12LoadWithCastILi2EEENS7_13StoreWithCastILi1EEELi32ELi1EEEEEvT0_T1_.num_agpr)
	.set _ZN2at6native39vectorized_templated_elementwise_kernelILi8EZZZNS0_12prelu_kernelERNS_14TensorIteratorEENKUlvE_clEvENKUlvE0_clEvEUlffE_St5arrayIPcLm3EE23TrivialOffsetCalculatorILi2EjESA_ILi1EjENS0_6memory12LoadWithCastILi2EEENSD_13StoreWithCastILi1EEEfJN3c104HalfEfEEEviT0_T1_T2_T3_T4_T5_.numbered_sgpr, max(33, .L_ZN2at6native25elementwise_kernel_helperILb1EZZZNS0_12prelu_kernelERNS_14TensorIteratorEENKUlvE_clEvENKUlvE0_clEvEUlffE_NS0_6memory8policies11unroll_baseILi512ESt5arrayIPcLm3EE23TrivialOffsetCalculatorILi2EjESD_ILi1EjENS7_12LoadWithCastILi2EEENS7_13StoreWithCastILi1EEELi32ELi1EEEEEvT0_T1_.numbered_sgpr)
	.set _ZN2at6native39vectorized_templated_elementwise_kernelILi8EZZZNS0_12prelu_kernelERNS_14TensorIteratorEENKUlvE_clEvENKUlvE0_clEvEUlffE_St5arrayIPcLm3EE23TrivialOffsetCalculatorILi2EjESA_ILi1EjENS0_6memory12LoadWithCastILi2EEENSD_13StoreWithCastILi1EEEfJN3c104HalfEfEEEviT0_T1_T2_T3_T4_T5_.num_named_barrier, max(0, .L_ZN2at6native25elementwise_kernel_helperILb1EZZZNS0_12prelu_kernelERNS_14TensorIteratorEENKUlvE_clEvENKUlvE0_clEvEUlffE_NS0_6memory8policies11unroll_baseILi512ESt5arrayIPcLm3EE23TrivialOffsetCalculatorILi2EjESD_ILi1EjENS7_12LoadWithCastILi2EEENS7_13StoreWithCastILi1EEELi32ELi1EEEEEvT0_T1_.num_named_barrier)
	.set _ZN2at6native39vectorized_templated_elementwise_kernelILi8EZZZNS0_12prelu_kernelERNS_14TensorIteratorEENKUlvE_clEvENKUlvE0_clEvEUlffE_St5arrayIPcLm3EE23TrivialOffsetCalculatorILi2EjESA_ILi1EjENS0_6memory12LoadWithCastILi2EEENSD_13StoreWithCastILi1EEEfJN3c104HalfEfEEEviT0_T1_T2_T3_T4_T5_.private_seg_size, 0+max(.L_ZN2at6native25elementwise_kernel_helperILb1EZZZNS0_12prelu_kernelERNS_14TensorIteratorEENKUlvE_clEvENKUlvE0_clEvEUlffE_NS0_6memory8policies11unroll_baseILi512ESt5arrayIPcLm3EE23TrivialOffsetCalculatorILi2EjESD_ILi1EjENS7_12LoadWithCastILi2EEENS7_13StoreWithCastILi1EEELi32ELi1EEEEEvT0_T1_.private_seg_size)
	.set _ZN2at6native39vectorized_templated_elementwise_kernelILi8EZZZNS0_12prelu_kernelERNS_14TensorIteratorEENKUlvE_clEvENKUlvE0_clEvEUlffE_St5arrayIPcLm3EE23TrivialOffsetCalculatorILi2EjESA_ILi1EjENS0_6memory12LoadWithCastILi2EEENSD_13StoreWithCastILi1EEEfJN3c104HalfEfEEEviT0_T1_T2_T3_T4_T5_.uses_vcc, or(1, .L_ZN2at6native25elementwise_kernel_helperILb1EZZZNS0_12prelu_kernelERNS_14TensorIteratorEENKUlvE_clEvENKUlvE0_clEvEUlffE_NS0_6memory8policies11unroll_baseILi512ESt5arrayIPcLm3EE23TrivialOffsetCalculatorILi2EjESD_ILi1EjENS7_12LoadWithCastILi2EEENS7_13StoreWithCastILi1EEELi32ELi1EEEEEvT0_T1_.uses_vcc)
	.set _ZN2at6native39vectorized_templated_elementwise_kernelILi8EZZZNS0_12prelu_kernelERNS_14TensorIteratorEENKUlvE_clEvENKUlvE0_clEvEUlffE_St5arrayIPcLm3EE23TrivialOffsetCalculatorILi2EjESA_ILi1EjENS0_6memory12LoadWithCastILi2EEENSD_13StoreWithCastILi1EEEfJN3c104HalfEfEEEviT0_T1_T2_T3_T4_T5_.uses_flat_scratch, or(0, .L_ZN2at6native25elementwise_kernel_helperILb1EZZZNS0_12prelu_kernelERNS_14TensorIteratorEENKUlvE_clEvENKUlvE0_clEvEUlffE_NS0_6memory8policies11unroll_baseILi512ESt5arrayIPcLm3EE23TrivialOffsetCalculatorILi2EjESD_ILi1EjENS7_12LoadWithCastILi2EEENS7_13StoreWithCastILi1EEELi32ELi1EEEEEvT0_T1_.uses_flat_scratch)
	.set _ZN2at6native39vectorized_templated_elementwise_kernelILi8EZZZNS0_12prelu_kernelERNS_14TensorIteratorEENKUlvE_clEvENKUlvE0_clEvEUlffE_St5arrayIPcLm3EE23TrivialOffsetCalculatorILi2EjESA_ILi1EjENS0_6memory12LoadWithCastILi2EEENSD_13StoreWithCastILi1EEEfJN3c104HalfEfEEEviT0_T1_T2_T3_T4_T5_.has_dyn_sized_stack, or(0, .L_ZN2at6native25elementwise_kernel_helperILb1EZZZNS0_12prelu_kernelERNS_14TensorIteratorEENKUlvE_clEvENKUlvE0_clEvEUlffE_NS0_6memory8policies11unroll_baseILi512ESt5arrayIPcLm3EE23TrivialOffsetCalculatorILi2EjESD_ILi1EjENS7_12LoadWithCastILi2EEENS7_13StoreWithCastILi1EEELi32ELi1EEEEEvT0_T1_.has_dyn_sized_stack)
	.set _ZN2at6native39vectorized_templated_elementwise_kernelILi8EZZZNS0_12prelu_kernelERNS_14TensorIteratorEENKUlvE_clEvENKUlvE0_clEvEUlffE_St5arrayIPcLm3EE23TrivialOffsetCalculatorILi2EjESA_ILi1EjENS0_6memory12LoadWithCastILi2EEENSD_13StoreWithCastILi1EEEfJN3c104HalfEfEEEviT0_T1_T2_T3_T4_T5_.has_recursion, or(0, .L_ZN2at6native25elementwise_kernel_helperILb1EZZZNS0_12prelu_kernelERNS_14TensorIteratorEENKUlvE_clEvENKUlvE0_clEvEUlffE_NS0_6memory8policies11unroll_baseILi512ESt5arrayIPcLm3EE23TrivialOffsetCalculatorILi2EjESD_ILi1EjENS7_12LoadWithCastILi2EEENS7_13StoreWithCastILi1EEELi32ELi1EEEEEvT0_T1_.has_recursion)
	.set _ZN2at6native39vectorized_templated_elementwise_kernelILi8EZZZNS0_12prelu_kernelERNS_14TensorIteratorEENKUlvE_clEvENKUlvE0_clEvEUlffE_St5arrayIPcLm3EE23TrivialOffsetCalculatorILi2EjESA_ILi1EjENS0_6memory12LoadWithCastILi2EEENSD_13StoreWithCastILi1EEEfJN3c104HalfEfEEEviT0_T1_T2_T3_T4_T5_.has_indirect_call, or(0, .L_ZN2at6native25elementwise_kernel_helperILb1EZZZNS0_12prelu_kernelERNS_14TensorIteratorEENKUlvE_clEvENKUlvE0_clEvEUlffE_NS0_6memory8policies11unroll_baseILi512ESt5arrayIPcLm3EE23TrivialOffsetCalculatorILi2EjESD_ILi1EjENS7_12LoadWithCastILi2EEENS7_13StoreWithCastILi1EEELi32ELi1EEEEEvT0_T1_.has_indirect_call)
	.section	.AMDGPU.csdata,"",@progbits
; Kernel info:
; codeLenInByte = 1288
; TotalNumSgprs: 98
; NumVgprs: 120
; ScratchSize: 272
; MemoryBound: 0
; FloatMode: 240
; IeeeMode: 1
; LDSByteSize: 0 bytes/workgroup (compile time only)
; SGPRBlocks: 0
; VGPRBlocks: 7
; NumSGPRsForWavesPerEU: 98
; NumVGPRsForWavesPerEU: 120
; NamedBarCnt: 0
; Occupancy: 8
; WaveLimiterHint : 0
; COMPUTE_PGM_RSRC2:SCRATCH_EN: 1
; COMPUTE_PGM_RSRC2:USER_SGPR: 2
; COMPUTE_PGM_RSRC2:TRAP_HANDLER: 0
; COMPUTE_PGM_RSRC2:TGID_X_EN: 1
; COMPUTE_PGM_RSRC2:TGID_Y_EN: 0
; COMPUTE_PGM_RSRC2:TGID_Z_EN: 0
; COMPUTE_PGM_RSRC2:TIDIG_COMP_CNT: 0
	.section	.text._ZN2at6native39vectorized_templated_elementwise_kernelILi4EZZZNS0_12prelu_kernelERNS_14TensorIteratorEENKUlvE_clEvENKUlvE0_clEvEUlffE_St5arrayIPcLm3EE23TrivialOffsetCalculatorILi2EjESA_ILi1EjENS0_6memory12LoadWithCastILi2EEENSD_13StoreWithCastILi1EEEfJN3c104HalfEfEEEviT0_T1_T2_T3_T4_T5_,"axG",@progbits,_ZN2at6native39vectorized_templated_elementwise_kernelILi4EZZZNS0_12prelu_kernelERNS_14TensorIteratorEENKUlvE_clEvENKUlvE0_clEvEUlffE_St5arrayIPcLm3EE23TrivialOffsetCalculatorILi2EjESA_ILi1EjENS0_6memory12LoadWithCastILi2EEENSD_13StoreWithCastILi1EEEfJN3c104HalfEfEEEviT0_T1_T2_T3_T4_T5_,comdat
	.globl	_ZN2at6native39vectorized_templated_elementwise_kernelILi4EZZZNS0_12prelu_kernelERNS_14TensorIteratorEENKUlvE_clEvENKUlvE0_clEvEUlffE_St5arrayIPcLm3EE23TrivialOffsetCalculatorILi2EjESA_ILi1EjENS0_6memory12LoadWithCastILi2EEENSD_13StoreWithCastILi1EEEfJN3c104HalfEfEEEviT0_T1_T2_T3_T4_T5_ ; -- Begin function _ZN2at6native39vectorized_templated_elementwise_kernelILi4EZZZNS0_12prelu_kernelERNS_14TensorIteratorEENKUlvE_clEvENKUlvE0_clEvEUlffE_St5arrayIPcLm3EE23TrivialOffsetCalculatorILi2EjESA_ILi1EjENS0_6memory12LoadWithCastILi2EEENSD_13StoreWithCastILi1EEEfJN3c104HalfEfEEEviT0_T1_T2_T3_T4_T5_
	.p2align	8
	.type	_ZN2at6native39vectorized_templated_elementwise_kernelILi4EZZZNS0_12prelu_kernelERNS_14TensorIteratorEENKUlvE_clEvENKUlvE0_clEvEUlffE_St5arrayIPcLm3EE23TrivialOffsetCalculatorILi2EjESA_ILi1EjENS0_6memory12LoadWithCastILi2EEENSD_13StoreWithCastILi1EEEfJN3c104HalfEfEEEviT0_T1_T2_T3_T4_T5_,@function
_ZN2at6native39vectorized_templated_elementwise_kernelILi4EZZZNS0_12prelu_kernelERNS_14TensorIteratorEENKUlvE_clEvENKUlvE0_clEvEUlffE_St5arrayIPcLm3EE23TrivialOffsetCalculatorILi2EjESA_ILi1EjENS0_6memory12LoadWithCastILi2EEENSD_13StoreWithCastILi1EEEfJN3c104HalfEfEEEviT0_T1_T2_T3_T4_T5_: ; @_ZN2at6native39vectorized_templated_elementwise_kernelILi4EZZZNS0_12prelu_kernelERNS_14TensorIteratorEENKUlvE_clEvENKUlvE0_clEvEUlffE_St5arrayIPcLm3EE23TrivialOffsetCalculatorILi2EjESA_ILi1EjENS0_6memory12LoadWithCastILi2EEENSD_13StoreWithCastILi1EEEfJN3c104HalfEfEEEviT0_T1_T2_T3_T4_T5_
; %bb.0:
	s_clause 0x2
	s_load_b32 s2, s[0:1], 0x38
	s_load_b32 s3, s[0:1], 0x0
	s_load_b64 s[10:11], s[0:1], 0x18
	s_bfe_u32 s8, ttmp6, 0x4000c
	s_load_b128 s[4:7], s[0:1], 0x8
	s_add_co_i32 s8, s8, 1
	s_and_b32 s9, ttmp6, 15
	s_mul_i32 s8, ttmp9, s8
	s_getreg_b32 s12, hwreg(HW_REG_IB_STS2, 6, 4)
	s_add_co_i32 s9, s9, s8
	s_cmp_eq_u32 s12, 0
	s_mov_b32 s12, -1
	s_cselect_b32 s8, ttmp9, s9
	s_mov_b32 s32, 0
	s_not_b32 s8, s8
	s_wait_kmcnt 0x0
	s_add_co_i32 s2, s2, s8
	s_delay_alu instid0(SALU_CYCLE_1) | instskip(NEXT) | instid1(SALU_CYCLE_1)
	s_lshl_b32 s2, s2, 14
	s_sub_co_i32 s14, s3, s2
	s_delay_alu instid0(SALU_CYCLE_1)
	s_cmp_gt_i32 s14, 0x3fff
	s_cbranch_scc1 .LBB28_3
; %bb.1:
	s_and_not1_b32 vcc_lo, exec_lo, s12
	s_cbranch_vccz .LBB28_4
.LBB28_2:
	s_sendmsg sendmsg(MSG_DEALLOC_VGPRS)
	s_endpgm
.LBB28_3:
	s_ashr_i32 s3, s2, 31
	s_delay_alu instid0(SALU_CYCLE_1)
	s_lshl_b64 s[8:9], s[2:3], 1
	s_lshl_b64 s[2:3], s[2:3], 2
	s_add_nc_u64 s[8:9], s[6:7], s[8:9]
	s_add_nc_u64 s[12:13], s[10:11], s[2:3]
	s_clause 0xf
	global_load_b64 v[2:3], v0, s[8:9] scale_offset
	global_load_b128 v[4:7], v0, s[12:13] scale_offset
	global_load_b64 v[36:37], v0, s[8:9] offset:4096 scale_offset
	global_load_b64 v[38:39], v0, s[8:9] offset:8192 scale_offset
	global_load_b128 v[8:11], v0, s[12:13] offset:8192 scale_offset
	global_load_b64 v[40:41], v0, s[8:9] offset:12288 scale_offset
	global_load_b128 v[12:15], v0, s[12:13] offset:16384 scale_offset
	;; [unrolled: 2-line block ×4, first 2 shown]
	global_load_b64 v[46:47], v0, s[8:9] offset:24576 scale_offset
	global_load_b64 v[48:49], v0, s[8:9] offset:28672 scale_offset
	global_load_b128 v[24:27], v0, s[12:13] offset:40960 scale_offset
	global_load_b128 v[28:31], v0, s[12:13] offset:49152 scale_offset
	;; [unrolled: 1-line block ×3, first 2 shown]
	s_wait_xcnt 0x3
	s_add_nc_u64 s[8:9], s[4:5], s[2:3]
	s_wait_xcnt 0x0
	s_wait_loadcnt 0x4
	v_dual_lshrrev_b32 v55, 16, v37 :: v_dual_lshrrev_b32 v57, 16, v47
	v_dual_lshrrev_b32 v1, 16, v2 :: v_dual_lshrrev_b32 v54, 16, v3
	v_cvt_f32_f16_e32 v50, v2
	v_cvt_f32_f16_e32 v52, v3
	s_delay_alu instid0(VALU_DEP_3)
	v_cvt_f32_f16_e32 v51, v1
	v_cmp_lt_f16_e32 vcc_lo, 0, v1
	v_cvt_f32_f16_e32 v53, v54
	v_lshrrev_b32_e32 v1, 16, v36
	v_cmp_lt_f16_e64 s2, 0, v54
	v_pk_mul_f32 v[4:5], v[4:5], v[50:51]
	s_delay_alu instid0(VALU_DEP_4) | instskip(NEXT) | instid1(VALU_DEP_2)
	v_pk_mul_f32 v[6:7], v[6:7], v[52:53]
	v_dual_cndmask_b32 v5, v5, v51 :: v_dual_lshrrev_b32 v56, 16, v38
	v_cmp_lt_f16_e32 vcc_lo, 0, v2
	v_cvt_f32_f16_e32 v51, v1
	v_cvt_f32_f16_e32 v2, v37
	v_cndmask_b32_e64 v7, v7, v53, s2
	v_cmp_lt_f16_e64 s2, 0, v55
	v_cndmask_b32_e32 v4, v4, v50, vcc_lo
	v_cvt_f32_f16_e32 v50, v36
	v_cmp_lt_f16_e32 vcc_lo, 0, v3
	v_cvt_f32_f16_e32 v3, v55
	s_delay_alu instid0(VALU_DEP_3) | instskip(SKIP_2) | instid1(VALU_DEP_4)
	v_pk_mul_f32 v[8:9], v[8:9], v[50:51]
	v_cndmask_b32_e32 v6, v6, v52, vcc_lo
	v_cmp_lt_f16_e32 vcc_lo, 0, v1
	v_pk_mul_f32 v[10:11], v[10:11], v[2:3]
	v_dual_lshrrev_b32 v1, 16, v39 :: v_dual_lshrrev_b32 v54, 16, v40
	v_cvt_f32_f16_e32 v52, v40
	v_cndmask_b32_e32 v9, v9, v51, vcc_lo
	v_cmp_lt_f16_e32 vcc_lo, 0, v36
	v_cvt_f32_f16_e32 v51, v56
	v_cvt_f32_f16_e32 v36, v39
	v_cndmask_b32_e64 v11, v11, v3, s2
	v_cvt_f32_f16_e32 v53, v54
	v_cndmask_b32_e32 v8, v8, v50, vcc_lo
	v_cvt_f32_f16_e32 v50, v38
	v_cmp_lt_f16_e32 vcc_lo, 0, v37
	v_cvt_f32_f16_e32 v37, v1
	v_pk_mul_f32 v[16:17], v[16:17], v[52:53]
	v_cmp_lt_f16_e64 s2, 0, v1
	v_pk_mul_f32 v[12:13], v[12:13], v[50:51]
	v_cndmask_b32_e32 v10, v10, v2, vcc_lo
	v_cmp_lt_f16_e32 vcc_lo, 0, v56
	v_pk_mul_f32 v[14:15], v[14:15], v[36:37]
	v_cvt_f32_f16_e32 v2, v41
	v_dual_lshrrev_b32 v55, 16, v42 :: v_dual_lshrrev_b32 v1, 16, v43
	v_cndmask_b32_e32 v13, v13, v51, vcc_lo
	v_cmp_lt_f16_e32 vcc_lo, 0, v38
	v_lshrrev_b32_e32 v51, 16, v41
	v_cvt_f32_f16_e32 v38, v42
	v_cndmask_b32_e64 v15, v15, v37, s2
	v_dual_lshrrev_b32 v56, 16, v45 :: v_dual_cndmask_b32 v12, v12, v50, vcc_lo
	v_cmp_lt_f16_e32 vcc_lo, 0, v39
	v_cvt_f32_f16_e32 v3, v51
	v_cvt_f32_f16_e32 v39, v55
	v_cmp_lt_f16_e64 s2, 0, v51
	v_cvt_f32_f16_e32 v50, v43
	v_cndmask_b32_e32 v14, v14, v36, vcc_lo
	v_cmp_lt_f16_e32 vcc_lo, 0, v54
	v_pk_mul_f32 v[18:19], v[18:19], v[2:3]
	v_pk_mul_f32 v[20:21], v[20:21], v[38:39]
	v_lshrrev_b32_e32 v54, 16, v44
	v_cvt_f32_f16_e32 v51, v1
	v_cndmask_b32_e32 v17, v17, v53, vcc_lo
	v_cmp_lt_f16_e32 vcc_lo, 0, v40
	v_cvt_f32_f16_e32 v36, v44
	v_cvt_f32_f16_e32 v37, v54
	v_pk_mul_f32 v[22:23], v[22:23], v[50:51]
	v_cvt_f32_f16_e32 v40, v45
	v_cndmask_b32_e32 v16, v16, v52, vcc_lo
	v_cmp_lt_f16_e32 vcc_lo, 0, v41
	v_cndmask_b32_e64 v19, v19, v3, s2
	s_wait_loadcnt 0x2
	v_pk_mul_f32 v[24:25], v[24:25], v[36:37]
	v_cvt_f32_f16_e32 v41, v56
	v_cmp_lt_f16_e64 s2, 0, v1
	v_cndmask_b32_e32 v18, v18, v2, vcc_lo
	v_cmp_lt_f16_e32 vcc_lo, 0, v55
	v_lshrrev_b32_e32 v55, 16, v46
	v_pk_mul_f32 v[26:27], v[26:27], v[40:41]
	v_cvt_f32_f16_e32 v2, v46
	v_dual_lshrrev_b32 v58, 16, v48 :: v_dual_cndmask_b32 v23, v23, v51, s2
	v_cndmask_b32_e32 v21, v21, v39, vcc_lo
	v_cmp_lt_f16_e32 vcc_lo, 0, v42
	v_cvt_f32_f16_e32 v3, v55
	v_cvt_f32_f16_e32 v39, v57
	;; [unrolled: 1-line block ×3, first 2 shown]
	v_dual_cndmask_b32 v20, v20, v38 :: v_dual_lshrrev_b32 v1, 16, v49
	v_cmp_lt_f16_e32 vcc_lo, 0, v43
	s_wait_loadcnt 0x1
	v_pk_mul_f32 v[28:29], v[28:29], v[2:3]
	v_cvt_f32_f16_e32 v38, v47
	v_cvt_f32_f16_e32 v43, v58
	;; [unrolled: 1-line block ×3, first 2 shown]
	v_cndmask_b32_e32 v22, v22, v50, vcc_lo
	v_cmp_lt_f16_e32 vcc_lo, 0, v54
	v_pk_mul_f32 v[30:31], v[30:31], v[38:39]
	s_wait_loadcnt 0x0
	v_pk_mul_f32 v[32:33], v[32:33], v[42:43]
	v_cvt_f32_f16_e32 v53, v1
	v_cndmask_b32_e32 v25, v25, v37, vcc_lo
	v_cmp_lt_f16_e32 vcc_lo, 0, v44
	s_delay_alu instid0(VALU_DEP_3)
	v_pk_mul_f32 v[34:35], v[34:35], v[52:53]
	v_cndmask_b32_e32 v24, v24, v36, vcc_lo
	v_cmp_lt_f16_e32 vcc_lo, 0, v56
	v_cndmask_b32_e32 v27, v27, v41, vcc_lo
	v_cmp_lt_f16_e32 vcc_lo, 0, v45
	;; [unrolled: 2-line block ×10, first 2 shown]
	v_cndmask_b32_e32 v34, v34, v52, vcc_lo
	s_clause 0x7
	global_store_b128 v0, v[4:7], s[8:9] scale_offset
	global_store_b128 v0, v[8:11], s[8:9] offset:8192 scale_offset
	global_store_b128 v0, v[12:15], s[8:9] offset:16384 scale_offset
	;; [unrolled: 1-line block ×7, first 2 shown]
	s_cbranch_execnz .LBB28_2
.LBB28_4:
	s_clause 0x1
	s_load_b32 s2, s[0:1], 0x24
	s_load_b128 s[16:19], s[0:1], 0x28
	v_dual_mov_b32 v31, v0 :: v_dual_mov_b32 v0, s4
	v_dual_mov_b32 v1, s5 :: v_dual_mov_b32 v2, s6
	;; [unrolled: 1-line block ×4, first 2 shown]
	s_add_nc_u64 s[8:9], s[0:1], 56
	s_wait_xcnt 0x0
	s_get_pc_i64 s[0:1]
	s_add_nc_u64 s[0:1], s[0:1], _ZN2at6native25elementwise_kernel_helperILb1EZZZNS0_12prelu_kernelERNS_14TensorIteratorEENKUlvE_clEvENKUlvE0_clEvEUlffE_NS0_6memory8policies11unroll_baseILi512ESt5arrayIPcLm3EE23TrivialOffsetCalculatorILi2EjESD_ILi1EjENS7_12LoadWithCastILi2EEENS7_13StoreWithCastILi1EEELi32ELi1EEEEEvT0_T1_@rel64+4
	s_wait_kmcnt 0x0
	s_bfe_u32 s3, s2, 0x80008
	v_dual_mov_b32 v7, s2 :: v_dual_mov_b32 v9, s16
	v_dual_mov_b32 v10, s17 :: v_dual_mov_b32 v11, s18
	v_dual_mov_b32 v8, s3 :: v_dual_mov_b32 v12, s19
	s_swap_pc_i64 s[30:31], s[0:1]
	s_endpgm
	.section	.rodata,"a",@progbits
	.p2align	6, 0x0
	.amdhsa_kernel _ZN2at6native39vectorized_templated_elementwise_kernelILi4EZZZNS0_12prelu_kernelERNS_14TensorIteratorEENKUlvE_clEvENKUlvE0_clEvEUlffE_St5arrayIPcLm3EE23TrivialOffsetCalculatorILi2EjESA_ILi1EjENS0_6memory12LoadWithCastILi2EEENSD_13StoreWithCastILi1EEEfJN3c104HalfEfEEEviT0_T1_T2_T3_T4_T5_
		.amdhsa_group_segment_fixed_size 0
		.amdhsa_private_segment_fixed_size 272
		.amdhsa_kernarg_size 312
		.amdhsa_user_sgpr_count 2
		.amdhsa_user_sgpr_dispatch_ptr 0
		.amdhsa_user_sgpr_queue_ptr 0
		.amdhsa_user_sgpr_kernarg_segment_ptr 1
		.amdhsa_user_sgpr_dispatch_id 0
		.amdhsa_user_sgpr_kernarg_preload_length 0
		.amdhsa_user_sgpr_kernarg_preload_offset 0
		.amdhsa_user_sgpr_private_segment_size 0
		.amdhsa_wavefront_size32 1
		.amdhsa_uses_dynamic_stack 0
		.amdhsa_enable_private_segment 1
		.amdhsa_system_sgpr_workgroup_id_x 1
		.amdhsa_system_sgpr_workgroup_id_y 0
		.amdhsa_system_sgpr_workgroup_id_z 0
		.amdhsa_system_sgpr_workgroup_info 0
		.amdhsa_system_vgpr_workitem_id 0
		.amdhsa_next_free_vgpr 120
		.amdhsa_next_free_sgpr 96
		.amdhsa_named_barrier_count 0
		.amdhsa_reserve_vcc 1
		.amdhsa_float_round_mode_32 0
		.amdhsa_float_round_mode_16_64 0
		.amdhsa_float_denorm_mode_32 3
		.amdhsa_float_denorm_mode_16_64 3
		.amdhsa_fp16_overflow 0
		.amdhsa_memory_ordered 1
		.amdhsa_forward_progress 1
		.amdhsa_inst_pref_size 10
		.amdhsa_round_robin_scheduling 0
		.amdhsa_exception_fp_ieee_invalid_op 0
		.amdhsa_exception_fp_denorm_src 0
		.amdhsa_exception_fp_ieee_div_zero 0
		.amdhsa_exception_fp_ieee_overflow 0
		.amdhsa_exception_fp_ieee_underflow 0
		.amdhsa_exception_fp_ieee_inexact 0
		.amdhsa_exception_int_div_zero 0
	.end_amdhsa_kernel
	.section	.text._ZN2at6native39vectorized_templated_elementwise_kernelILi4EZZZNS0_12prelu_kernelERNS_14TensorIteratorEENKUlvE_clEvENKUlvE0_clEvEUlffE_St5arrayIPcLm3EE23TrivialOffsetCalculatorILi2EjESA_ILi1EjENS0_6memory12LoadWithCastILi2EEENSD_13StoreWithCastILi1EEEfJN3c104HalfEfEEEviT0_T1_T2_T3_T4_T5_,"axG",@progbits,_ZN2at6native39vectorized_templated_elementwise_kernelILi4EZZZNS0_12prelu_kernelERNS_14TensorIteratorEENKUlvE_clEvENKUlvE0_clEvEUlffE_St5arrayIPcLm3EE23TrivialOffsetCalculatorILi2EjESA_ILi1EjENS0_6memory12LoadWithCastILi2EEENSD_13StoreWithCastILi1EEEfJN3c104HalfEfEEEviT0_T1_T2_T3_T4_T5_,comdat
.Lfunc_end28:
	.size	_ZN2at6native39vectorized_templated_elementwise_kernelILi4EZZZNS0_12prelu_kernelERNS_14TensorIteratorEENKUlvE_clEvENKUlvE0_clEvEUlffE_St5arrayIPcLm3EE23TrivialOffsetCalculatorILi2EjESA_ILi1EjENS0_6memory12LoadWithCastILi2EEENSD_13StoreWithCastILi1EEEfJN3c104HalfEfEEEviT0_T1_T2_T3_T4_T5_, .Lfunc_end28-_ZN2at6native39vectorized_templated_elementwise_kernelILi4EZZZNS0_12prelu_kernelERNS_14TensorIteratorEENKUlvE_clEvENKUlvE0_clEvEUlffE_St5arrayIPcLm3EE23TrivialOffsetCalculatorILi2EjESA_ILi1EjENS0_6memory12LoadWithCastILi2EEENSD_13StoreWithCastILi1EEEfJN3c104HalfEfEEEviT0_T1_T2_T3_T4_T5_
                                        ; -- End function
	.set _ZN2at6native39vectorized_templated_elementwise_kernelILi4EZZZNS0_12prelu_kernelERNS_14TensorIteratorEENKUlvE_clEvENKUlvE0_clEvEUlffE_St5arrayIPcLm3EE23TrivialOffsetCalculatorILi2EjESA_ILi1EjENS0_6memory12LoadWithCastILi2EEENSD_13StoreWithCastILi1EEEfJN3c104HalfEfEEEviT0_T1_T2_T3_T4_T5_.num_vgpr, max(59, .L_ZN2at6native25elementwise_kernel_helperILb1EZZZNS0_12prelu_kernelERNS_14TensorIteratorEENKUlvE_clEvENKUlvE0_clEvEUlffE_NS0_6memory8policies11unroll_baseILi512ESt5arrayIPcLm3EE23TrivialOffsetCalculatorILi2EjESD_ILi1EjENS7_12LoadWithCastILi2EEENS7_13StoreWithCastILi1EEELi32ELi1EEEEEvT0_T1_.num_vgpr)
	.set _ZN2at6native39vectorized_templated_elementwise_kernelILi4EZZZNS0_12prelu_kernelERNS_14TensorIteratorEENKUlvE_clEvENKUlvE0_clEvEUlffE_St5arrayIPcLm3EE23TrivialOffsetCalculatorILi2EjESA_ILi1EjENS0_6memory12LoadWithCastILi2EEENSD_13StoreWithCastILi1EEEfJN3c104HalfEfEEEviT0_T1_T2_T3_T4_T5_.num_agpr, max(0, .L_ZN2at6native25elementwise_kernel_helperILb1EZZZNS0_12prelu_kernelERNS_14TensorIteratorEENKUlvE_clEvENKUlvE0_clEvEUlffE_NS0_6memory8policies11unroll_baseILi512ESt5arrayIPcLm3EE23TrivialOffsetCalculatorILi2EjESD_ILi1EjENS7_12LoadWithCastILi2EEENS7_13StoreWithCastILi1EEELi32ELi1EEEEEvT0_T1_.num_agpr)
	.set _ZN2at6native39vectorized_templated_elementwise_kernelILi4EZZZNS0_12prelu_kernelERNS_14TensorIteratorEENKUlvE_clEvENKUlvE0_clEvEUlffE_St5arrayIPcLm3EE23TrivialOffsetCalculatorILi2EjESA_ILi1EjENS0_6memory12LoadWithCastILi2EEENSD_13StoreWithCastILi1EEEfJN3c104HalfEfEEEviT0_T1_T2_T3_T4_T5_.numbered_sgpr, max(33, .L_ZN2at6native25elementwise_kernel_helperILb1EZZZNS0_12prelu_kernelERNS_14TensorIteratorEENKUlvE_clEvENKUlvE0_clEvEUlffE_NS0_6memory8policies11unroll_baseILi512ESt5arrayIPcLm3EE23TrivialOffsetCalculatorILi2EjESD_ILi1EjENS7_12LoadWithCastILi2EEENS7_13StoreWithCastILi1EEELi32ELi1EEEEEvT0_T1_.numbered_sgpr)
	.set _ZN2at6native39vectorized_templated_elementwise_kernelILi4EZZZNS0_12prelu_kernelERNS_14TensorIteratorEENKUlvE_clEvENKUlvE0_clEvEUlffE_St5arrayIPcLm3EE23TrivialOffsetCalculatorILi2EjESA_ILi1EjENS0_6memory12LoadWithCastILi2EEENSD_13StoreWithCastILi1EEEfJN3c104HalfEfEEEviT0_T1_T2_T3_T4_T5_.num_named_barrier, max(0, .L_ZN2at6native25elementwise_kernel_helperILb1EZZZNS0_12prelu_kernelERNS_14TensorIteratorEENKUlvE_clEvENKUlvE0_clEvEUlffE_NS0_6memory8policies11unroll_baseILi512ESt5arrayIPcLm3EE23TrivialOffsetCalculatorILi2EjESD_ILi1EjENS7_12LoadWithCastILi2EEENS7_13StoreWithCastILi1EEELi32ELi1EEEEEvT0_T1_.num_named_barrier)
	.set _ZN2at6native39vectorized_templated_elementwise_kernelILi4EZZZNS0_12prelu_kernelERNS_14TensorIteratorEENKUlvE_clEvENKUlvE0_clEvEUlffE_St5arrayIPcLm3EE23TrivialOffsetCalculatorILi2EjESA_ILi1EjENS0_6memory12LoadWithCastILi2EEENSD_13StoreWithCastILi1EEEfJN3c104HalfEfEEEviT0_T1_T2_T3_T4_T5_.private_seg_size, 0+max(.L_ZN2at6native25elementwise_kernel_helperILb1EZZZNS0_12prelu_kernelERNS_14TensorIteratorEENKUlvE_clEvENKUlvE0_clEvEUlffE_NS0_6memory8policies11unroll_baseILi512ESt5arrayIPcLm3EE23TrivialOffsetCalculatorILi2EjESD_ILi1EjENS7_12LoadWithCastILi2EEENS7_13StoreWithCastILi1EEELi32ELi1EEEEEvT0_T1_.private_seg_size)
	.set _ZN2at6native39vectorized_templated_elementwise_kernelILi4EZZZNS0_12prelu_kernelERNS_14TensorIteratorEENKUlvE_clEvENKUlvE0_clEvEUlffE_St5arrayIPcLm3EE23TrivialOffsetCalculatorILi2EjESA_ILi1EjENS0_6memory12LoadWithCastILi2EEENSD_13StoreWithCastILi1EEEfJN3c104HalfEfEEEviT0_T1_T2_T3_T4_T5_.uses_vcc, or(1, .L_ZN2at6native25elementwise_kernel_helperILb1EZZZNS0_12prelu_kernelERNS_14TensorIteratorEENKUlvE_clEvENKUlvE0_clEvEUlffE_NS0_6memory8policies11unroll_baseILi512ESt5arrayIPcLm3EE23TrivialOffsetCalculatorILi2EjESD_ILi1EjENS7_12LoadWithCastILi2EEENS7_13StoreWithCastILi1EEELi32ELi1EEEEEvT0_T1_.uses_vcc)
	.set _ZN2at6native39vectorized_templated_elementwise_kernelILi4EZZZNS0_12prelu_kernelERNS_14TensorIteratorEENKUlvE_clEvENKUlvE0_clEvEUlffE_St5arrayIPcLm3EE23TrivialOffsetCalculatorILi2EjESA_ILi1EjENS0_6memory12LoadWithCastILi2EEENSD_13StoreWithCastILi1EEEfJN3c104HalfEfEEEviT0_T1_T2_T3_T4_T5_.uses_flat_scratch, or(0, .L_ZN2at6native25elementwise_kernel_helperILb1EZZZNS0_12prelu_kernelERNS_14TensorIteratorEENKUlvE_clEvENKUlvE0_clEvEUlffE_NS0_6memory8policies11unroll_baseILi512ESt5arrayIPcLm3EE23TrivialOffsetCalculatorILi2EjESD_ILi1EjENS7_12LoadWithCastILi2EEENS7_13StoreWithCastILi1EEELi32ELi1EEEEEvT0_T1_.uses_flat_scratch)
	.set _ZN2at6native39vectorized_templated_elementwise_kernelILi4EZZZNS0_12prelu_kernelERNS_14TensorIteratorEENKUlvE_clEvENKUlvE0_clEvEUlffE_St5arrayIPcLm3EE23TrivialOffsetCalculatorILi2EjESA_ILi1EjENS0_6memory12LoadWithCastILi2EEENSD_13StoreWithCastILi1EEEfJN3c104HalfEfEEEviT0_T1_T2_T3_T4_T5_.has_dyn_sized_stack, or(0, .L_ZN2at6native25elementwise_kernel_helperILb1EZZZNS0_12prelu_kernelERNS_14TensorIteratorEENKUlvE_clEvENKUlvE0_clEvEUlffE_NS0_6memory8policies11unroll_baseILi512ESt5arrayIPcLm3EE23TrivialOffsetCalculatorILi2EjESD_ILi1EjENS7_12LoadWithCastILi2EEENS7_13StoreWithCastILi1EEELi32ELi1EEEEEvT0_T1_.has_dyn_sized_stack)
	.set _ZN2at6native39vectorized_templated_elementwise_kernelILi4EZZZNS0_12prelu_kernelERNS_14TensorIteratorEENKUlvE_clEvENKUlvE0_clEvEUlffE_St5arrayIPcLm3EE23TrivialOffsetCalculatorILi2EjESA_ILi1EjENS0_6memory12LoadWithCastILi2EEENSD_13StoreWithCastILi1EEEfJN3c104HalfEfEEEviT0_T1_T2_T3_T4_T5_.has_recursion, or(0, .L_ZN2at6native25elementwise_kernel_helperILb1EZZZNS0_12prelu_kernelERNS_14TensorIteratorEENKUlvE_clEvENKUlvE0_clEvEUlffE_NS0_6memory8policies11unroll_baseILi512ESt5arrayIPcLm3EE23TrivialOffsetCalculatorILi2EjESD_ILi1EjENS7_12LoadWithCastILi2EEENS7_13StoreWithCastILi1EEELi32ELi1EEEEEvT0_T1_.has_recursion)
	.set _ZN2at6native39vectorized_templated_elementwise_kernelILi4EZZZNS0_12prelu_kernelERNS_14TensorIteratorEENKUlvE_clEvENKUlvE0_clEvEUlffE_St5arrayIPcLm3EE23TrivialOffsetCalculatorILi2EjESA_ILi1EjENS0_6memory12LoadWithCastILi2EEENSD_13StoreWithCastILi1EEEfJN3c104HalfEfEEEviT0_T1_T2_T3_T4_T5_.has_indirect_call, or(0, .L_ZN2at6native25elementwise_kernel_helperILb1EZZZNS0_12prelu_kernelERNS_14TensorIteratorEENKUlvE_clEvENKUlvE0_clEvEUlffE_NS0_6memory8policies11unroll_baseILi512ESt5arrayIPcLm3EE23TrivialOffsetCalculatorILi2EjESD_ILi1EjENS7_12LoadWithCastILi2EEENS7_13StoreWithCastILi1EEELi32ELi1EEEEEvT0_T1_.has_indirect_call)
	.section	.AMDGPU.csdata,"",@progbits
; Kernel info:
; codeLenInByte = 1268
; TotalNumSgprs: 98
; NumVgprs: 120
; ScratchSize: 272
; MemoryBound: 0
; FloatMode: 240
; IeeeMode: 1
; LDSByteSize: 0 bytes/workgroup (compile time only)
; SGPRBlocks: 0
; VGPRBlocks: 7
; NumSGPRsForWavesPerEU: 98
; NumVGPRsForWavesPerEU: 120
; NamedBarCnt: 0
; Occupancy: 8
; WaveLimiterHint : 1
; COMPUTE_PGM_RSRC2:SCRATCH_EN: 1
; COMPUTE_PGM_RSRC2:USER_SGPR: 2
; COMPUTE_PGM_RSRC2:TRAP_HANDLER: 0
; COMPUTE_PGM_RSRC2:TGID_X_EN: 1
; COMPUTE_PGM_RSRC2:TGID_Y_EN: 0
; COMPUTE_PGM_RSRC2:TGID_Z_EN: 0
; COMPUTE_PGM_RSRC2:TIDIG_COMP_CNT: 0
	.section	.text._ZN2at6native39vectorized_templated_elementwise_kernelILi2EZZZNS0_12prelu_kernelERNS_14TensorIteratorEENKUlvE_clEvENKUlvE0_clEvEUlffE_St5arrayIPcLm3EE23TrivialOffsetCalculatorILi2EjESA_ILi1EjENS0_6memory12LoadWithCastILi2EEENSD_13StoreWithCastILi1EEEfJN3c104HalfEfEEEviT0_T1_T2_T3_T4_T5_,"axG",@progbits,_ZN2at6native39vectorized_templated_elementwise_kernelILi2EZZZNS0_12prelu_kernelERNS_14TensorIteratorEENKUlvE_clEvENKUlvE0_clEvEUlffE_St5arrayIPcLm3EE23TrivialOffsetCalculatorILi2EjESA_ILi1EjENS0_6memory12LoadWithCastILi2EEENSD_13StoreWithCastILi1EEEfJN3c104HalfEfEEEviT0_T1_T2_T3_T4_T5_,comdat
	.globl	_ZN2at6native39vectorized_templated_elementwise_kernelILi2EZZZNS0_12prelu_kernelERNS_14TensorIteratorEENKUlvE_clEvENKUlvE0_clEvEUlffE_St5arrayIPcLm3EE23TrivialOffsetCalculatorILi2EjESA_ILi1EjENS0_6memory12LoadWithCastILi2EEENSD_13StoreWithCastILi1EEEfJN3c104HalfEfEEEviT0_T1_T2_T3_T4_T5_ ; -- Begin function _ZN2at6native39vectorized_templated_elementwise_kernelILi2EZZZNS0_12prelu_kernelERNS_14TensorIteratorEENKUlvE_clEvENKUlvE0_clEvEUlffE_St5arrayIPcLm3EE23TrivialOffsetCalculatorILi2EjESA_ILi1EjENS0_6memory12LoadWithCastILi2EEENSD_13StoreWithCastILi1EEEfJN3c104HalfEfEEEviT0_T1_T2_T3_T4_T5_
	.p2align	8
	.type	_ZN2at6native39vectorized_templated_elementwise_kernelILi2EZZZNS0_12prelu_kernelERNS_14TensorIteratorEENKUlvE_clEvENKUlvE0_clEvEUlffE_St5arrayIPcLm3EE23TrivialOffsetCalculatorILi2EjESA_ILi1EjENS0_6memory12LoadWithCastILi2EEENSD_13StoreWithCastILi1EEEfJN3c104HalfEfEEEviT0_T1_T2_T3_T4_T5_,@function
_ZN2at6native39vectorized_templated_elementwise_kernelILi2EZZZNS0_12prelu_kernelERNS_14TensorIteratorEENKUlvE_clEvENKUlvE0_clEvEUlffE_St5arrayIPcLm3EE23TrivialOffsetCalculatorILi2EjESA_ILi1EjENS0_6memory12LoadWithCastILi2EEENSD_13StoreWithCastILi1EEEfJN3c104HalfEfEEEviT0_T1_T2_T3_T4_T5_: ; @_ZN2at6native39vectorized_templated_elementwise_kernelILi2EZZZNS0_12prelu_kernelERNS_14TensorIteratorEENKUlvE_clEvENKUlvE0_clEvEUlffE_St5arrayIPcLm3EE23TrivialOffsetCalculatorILi2EjESA_ILi1EjENS0_6memory12LoadWithCastILi2EEENSD_13StoreWithCastILi1EEEfJN3c104HalfEfEEEviT0_T1_T2_T3_T4_T5_
; %bb.0:
	s_clause 0x2
	s_load_b32 s2, s[0:1], 0x38
	s_load_b32 s3, s[0:1], 0x0
	s_load_b64 s[10:11], s[0:1], 0x18
	s_bfe_u32 s8, ttmp6, 0x4000c
	s_load_b128 s[4:7], s[0:1], 0x8
	s_add_co_i32 s8, s8, 1
	s_and_b32 s9, ttmp6, 15
	s_mul_i32 s8, ttmp9, s8
	s_getreg_b32 s12, hwreg(HW_REG_IB_STS2, 6, 4)
	s_add_co_i32 s9, s9, s8
	s_cmp_eq_u32 s12, 0
	s_mov_b32 s12, -1
	s_cselect_b32 s8, ttmp9, s9
	s_mov_b32 s32, 0
	s_not_b32 s8, s8
	s_wait_kmcnt 0x0
	s_add_co_i32 s2, s2, s8
	s_delay_alu instid0(SALU_CYCLE_1) | instskip(NEXT) | instid1(SALU_CYCLE_1)
	s_lshl_b32 s2, s2, 14
	s_sub_co_i32 s14, s3, s2
	s_delay_alu instid0(SALU_CYCLE_1)
	s_cmp_gt_i32 s14, 0x3fff
	s_cbranch_scc1 .LBB29_3
; %bb.1:
	s_and_not1_b32 vcc_lo, exec_lo, s12
	s_cbranch_vccz .LBB29_4
.LBB29_2:
	s_sendmsg sendmsg(MSG_DEALLOC_VGPRS)
	s_endpgm
.LBB29_3:
	s_ashr_i32 s3, s2, 31
	s_delay_alu instid0(SALU_CYCLE_1)
	s_lshl_b64 s[8:9], s[2:3], 1
	s_lshl_b64 s[2:3], s[2:3], 2
	s_add_nc_u64 s[8:9], s[6:7], s[8:9]
	s_add_nc_u64 s[12:13], s[10:11], s[2:3]
	s_clause 0x1f
	global_load_b32 v1, v0, s[8:9] scale_offset
	global_load_b32 v41, v0, s[8:9] offset:2048 scale_offset
	global_load_b32 v42, v0, s[8:9] offset:4096 scale_offset
	global_load_b64 v[2:3], v0, s[12:13] scale_offset
	global_load_b32 v43, v0, s[8:9] offset:6144 scale_offset
	global_load_b32 v44, v0, s[8:9] offset:8192 scale_offset
	global_load_b64 v[4:5], v0, s[12:13] offset:4096 scale_offset
	global_load_b64 v[6:7], v0, s[12:13] offset:8192 scale_offset
	global_load_b32 v45, v0, s[8:9] offset:10240 scale_offset
	global_load_b32 v46, v0, s[8:9] offset:12288 scale_offset
	global_load_b64 v[8:9], v0, s[12:13] offset:12288 scale_offset
	global_load_b32 v47, v0, s[8:9] offset:14336 scale_offset
	global_load_b32 v48, v0, s[8:9] offset:16384 scale_offset
	global_load_b64 v[10:11], v0, s[12:13] offset:16384 scale_offset
	global_load_b64 v[12:13], v0, s[12:13] offset:20480 scale_offset
	global_load_b32 v49, v0, s[8:9] offset:18432 scale_offset
	global_load_b32 v50, v0, s[8:9] offset:20480 scale_offset
	global_load_b64 v[14:15], v0, s[12:13] offset:24576 scale_offset
	;; [unrolled: 7-line block ×3, first 2 shown]
	global_load_b32 v55, v0, s[8:9] offset:30720 scale_offset
	global_load_b64 v[22:23], v0, s[12:13] offset:40960 scale_offset
	global_load_b64 v[24:25], v0, s[12:13] offset:45056 scale_offset
	;; [unrolled: 1-line block ×6, first 2 shown]
	s_wait_xcnt 0x6
	s_add_nc_u64 s[8:9], s[4:5], s[2:3]
	s_wait_xcnt 0x0
	s_wait_loadcnt 0x1d
	v_cvt_f32_f16_e32 v38, v42
	v_lshrrev_b32_e32 v57, 16, v42
	s_wait_loadcnt 0x1b
	v_cvt_f32_f16_e32 v40, v43
	v_lshrrev_b32_e32 v39, 16, v1
	v_cvt_f32_f16_e32 v34, v1
	v_cvt_f32_f16_e32 v36, v41
	v_cmp_lt_f16_e32 vcc_lo, 0, v1
	v_lshrrev_b32_e32 v1, 16, v43
	v_cvt_f32_f16_e32 v35, v39
	v_cmp_lt_f16_e64 s2, 0, v39
	v_cvt_f32_f16_e32 v39, v57
	s_delay_alu instid0(VALU_DEP_3) | instskip(SKIP_2) | instid1(VALU_DEP_3)
	v_pk_mul_f32 v[2:3], v[2:3], v[34:35]
	v_lshrrev_b32_e32 v56, 16, v41
	s_wait_loadcnt 0x18
	v_pk_mul_f32 v[6:7], v[6:7], v[38:39]
	s_delay_alu instid0(VALU_DEP_3) | instskip(NEXT) | instid1(VALU_DEP_3)
	v_cndmask_b32_e64 v3, v3, v35, s2
	v_cvt_f32_f16_e32 v37, v56
	v_cndmask_b32_e32 v2, v2, v34, vcc_lo
	v_cmp_lt_f16_e32 vcc_lo, 0, v41
	v_cmp_lt_f16_e64 s2, 0, v56
	v_cvt_f32_f16_e32 v41, v1
	v_pk_mul_f32 v[4:5], v[4:5], v[36:37]
	v_lshrrev_b32_e32 v58, 16, v44
	v_cvt_f32_f16_e32 v34, v44
	s_wait_loadcnt 0x17
	v_lshrrev_b32_e32 v56, 16, v45
	s_wait_loadcnt 0x15
	v_pk_mul_f32 v[8:9], v[8:9], v[40:41]
	v_cndmask_b32_e32 v4, v4, v36, vcc_lo
	v_cmp_lt_f16_e32 vcc_lo, 0, v57
	v_cndmask_b32_e64 v5, v5, v37, s2
	v_cvt_f32_f16_e32 v35, v58
	v_cvt_f32_f16_e32 v36, v45
	;; [unrolled: 1-line block ×3, first 2 shown]
	v_cndmask_b32_e32 v7, v7, v39, vcc_lo
	v_cmp_lt_f16_e32 vcc_lo, 0, v42
	s_wait_loadcnt 0x12
	v_pk_mul_f32 v[10:11], v[10:11], v[34:35]
	v_cmp_lt_f16_e64 s2, 0, v1
	v_lshrrev_b32_e32 v57, 16, v46
	s_wait_loadcnt 0x11
	v_pk_mul_f32 v[12:13], v[12:13], v[36:37]
	v_cndmask_b32_e32 v6, v6, v38, vcc_lo
	v_cmp_lt_f16_e32 vcc_lo, 0, v43
	v_cvt_f32_f16_e32 v38, v46
	v_dual_cndmask_b32 v9, v9, v41, s2 :: v_dual_lshrrev_b32 v1, 16, v47
	v_cvt_f32_f16_e32 v39, v57
	v_cndmask_b32_e32 v8, v8, v40, vcc_lo
	v_cmp_lt_f16_e32 vcc_lo, 0, v44
	v_cvt_f32_f16_e32 v42, v47
	v_cmp_lt_f16_e64 s2, 0, v58
	v_lshrrev_b32_e32 v59, 16, v48
	s_wait_loadcnt 0xe
	v_pk_mul_f32 v[14:15], v[14:15], v[38:39]
	v_dual_cndmask_b32 v10, v10, v34, vcc_lo :: v_dual_lshrrev_b32 v58, 16, v49
	v_cmp_lt_f16_e32 vcc_lo, 0, v56
	v_cvt_f32_f16_e32 v43, v1
	v_cvt_f32_f16_e32 v40, v48
	v_cndmask_b32_e64 v11, v11, v35, s2
	v_cvt_f32_f16_e32 v41, v59
	v_cndmask_b32_e32 v13, v13, v37, vcc_lo
	v_cmp_lt_f16_e32 vcc_lo, 0, v45
	s_wait_loadcnt 0xb
	v_pk_mul_f32 v[16:17], v[16:17], v[42:43]
	v_cvt_f32_f16_e32 v34, v49
	s_wait_loadcnt 0xa
	v_pk_mul_f32 v[18:19], v[18:19], v[40:41]
	v_cmp_lt_f16_e64 s2, 0, v57
	v_cndmask_b32_e32 v12, v12, v36, vcc_lo
	v_cmp_lt_f16_e32 vcc_lo, 0, v46
	v_lshrrev_b32_e32 v56, 16, v50
	v_cvt_f32_f16_e32 v35, v58
	v_cvt_f32_f16_e32 v36, v50
	v_dual_cndmask_b32 v15, v15, v39, s2 :: v_dual_cndmask_b32 v14, v14, v38, vcc_lo
	v_lshrrev_b32_e32 v57, 16, v51
	v_cmp_lt_f16_e32 vcc_lo, 0, v47
	s_wait_loadcnt 0x7
	v_pk_mul_f32 v[20:21], v[20:21], v[34:35]
	v_cvt_f32_f16_e32 v37, v56
	v_cvt_f32_f16_e32 v44, v51
	;; [unrolled: 1-line block ×3, first 2 shown]
	v_cndmask_b32_e32 v16, v16, v42, vcc_lo
	v_cmp_lt_f16_e32 vcc_lo, 0, v59
	s_wait_loadcnt 0x5
	v_pk_mul_f32 v[22:23], v[22:23], v[36:37]
	v_cmp_lt_f16_e64 s2, 0, v1
	v_lshrrev_b32_e32 v60, 16, v52
	s_wait_loadcnt 0x4
	v_pk_mul_f32 v[24:25], v[24:25], v[44:45]
	v_cndmask_b32_e32 v19, v19, v41, vcc_lo
	v_cmp_lt_f16_e32 vcc_lo, 0, v48
	v_cvt_f32_f16_e32 v38, v52
	v_cndmask_b32_e64 v17, v17, v43, s2
	v_cvt_f32_f16_e32 v39, v60
	v_dual_cndmask_b32 v18, v18, v40 :: v_dual_lshrrev_b32 v1, 16, v53
	v_cmp_lt_f16_e32 vcc_lo, 0, v49
	v_cvt_f32_f16_e32 v42, v53
	s_wait_loadcnt 0x3
	v_pk_mul_f32 v[26:27], v[26:27], v[38:39]
	v_cvt_f32_f16_e32 v43, v1
	v_cmp_lt_f16_e64 s2, 0, v58
	v_dual_cndmask_b32 v20, v20, v34, vcc_lo :: v_dual_lshrrev_b32 v34, 16, v55
	v_cmp_lt_f16_e32 vcc_lo, 0, v56
	s_delay_alu instid0(VALU_DEP_3)
	v_dual_lshrrev_b32 v48, 16, v54 :: v_dual_cndmask_b32 v21, v21, v35, s2
	s_wait_loadcnt 0x2
	v_pk_mul_f32 v[28:29], v[28:29], v[42:43]
	v_cvt_f32_f16_e32 v40, v54
	v_cndmask_b32_e32 v23, v23, v37, vcc_lo
	v_cmp_lt_f16_e32 vcc_lo, 0, v50
	v_cvt_f32_f16_e32 v41, v48
	v_cvt_f32_f16_e32 v46, v55
	;; [unrolled: 1-line block ×3, first 2 shown]
	v_cndmask_b32_e32 v22, v22, v36, vcc_lo
	v_cmp_lt_f16_e32 vcc_lo, 0, v57
	s_wait_loadcnt 0x1
	v_pk_mul_f32 v[30:31], v[30:31], v[40:41]
	s_wait_loadcnt 0x0
	v_pk_mul_f32 v[32:33], v[32:33], v[46:47]
	v_cndmask_b32_e32 v25, v25, v45, vcc_lo
	v_cmp_lt_f16_e32 vcc_lo, 0, v51
	v_cndmask_b32_e32 v24, v24, v44, vcc_lo
	v_cmp_lt_f16_e32 vcc_lo, 0, v60
	;; [unrolled: 2-line block ×9, first 2 shown]
	v_cndmask_b32_e32 v32, v32, v46, vcc_lo
	s_clause 0xf
	global_store_b64 v0, v[2:3], s[8:9] scale_offset
	global_store_b64 v0, v[4:5], s[8:9] offset:4096 scale_offset
	global_store_b64 v0, v[6:7], s[8:9] offset:8192 scale_offset
	;; [unrolled: 1-line block ×15, first 2 shown]
	s_cbranch_execnz .LBB29_2
.LBB29_4:
	s_clause 0x1
	s_load_b32 s2, s[0:1], 0x24
	s_load_b128 s[16:19], s[0:1], 0x28
	v_dual_mov_b32 v31, v0 :: v_dual_mov_b32 v0, s4
	v_dual_mov_b32 v1, s5 :: v_dual_mov_b32 v2, s6
	;; [unrolled: 1-line block ×4, first 2 shown]
	s_add_nc_u64 s[8:9], s[0:1], 56
	s_wait_xcnt 0x0
	s_get_pc_i64 s[0:1]
	s_add_nc_u64 s[0:1], s[0:1], _ZN2at6native25elementwise_kernel_helperILb1EZZZNS0_12prelu_kernelERNS_14TensorIteratorEENKUlvE_clEvENKUlvE0_clEvEUlffE_NS0_6memory8policies11unroll_baseILi512ESt5arrayIPcLm3EE23TrivialOffsetCalculatorILi2EjESD_ILi1EjENS7_12LoadWithCastILi2EEENS7_13StoreWithCastILi1EEELi32ELi1EEEEEvT0_T1_@rel64+4
	s_wait_kmcnt 0x0
	s_bfe_u32 s3, s2, 0x80008
	v_dual_mov_b32 v7, s2 :: v_dual_mov_b32 v9, s16
	v_dual_mov_b32 v10, s17 :: v_dual_mov_b32 v11, s18
	;; [unrolled: 1-line block ×3, first 2 shown]
	s_swap_pc_i64 s[30:31], s[0:1]
	s_endpgm
	.section	.rodata,"a",@progbits
	.p2align	6, 0x0
	.amdhsa_kernel _ZN2at6native39vectorized_templated_elementwise_kernelILi2EZZZNS0_12prelu_kernelERNS_14TensorIteratorEENKUlvE_clEvENKUlvE0_clEvEUlffE_St5arrayIPcLm3EE23TrivialOffsetCalculatorILi2EjESA_ILi1EjENS0_6memory12LoadWithCastILi2EEENSD_13StoreWithCastILi1EEEfJN3c104HalfEfEEEviT0_T1_T2_T3_T4_T5_
		.amdhsa_group_segment_fixed_size 0
		.amdhsa_private_segment_fixed_size 272
		.amdhsa_kernarg_size 312
		.amdhsa_user_sgpr_count 2
		.amdhsa_user_sgpr_dispatch_ptr 0
		.amdhsa_user_sgpr_queue_ptr 0
		.amdhsa_user_sgpr_kernarg_segment_ptr 1
		.amdhsa_user_sgpr_dispatch_id 0
		.amdhsa_user_sgpr_kernarg_preload_length 0
		.amdhsa_user_sgpr_kernarg_preload_offset 0
		.amdhsa_user_sgpr_private_segment_size 0
		.amdhsa_wavefront_size32 1
		.amdhsa_uses_dynamic_stack 0
		.amdhsa_enable_private_segment 1
		.amdhsa_system_sgpr_workgroup_id_x 1
		.amdhsa_system_sgpr_workgroup_id_y 0
		.amdhsa_system_sgpr_workgroup_id_z 0
		.amdhsa_system_sgpr_workgroup_info 0
		.amdhsa_system_vgpr_workitem_id 0
		.amdhsa_next_free_vgpr 120
		.amdhsa_next_free_sgpr 96
		.amdhsa_named_barrier_count 0
		.amdhsa_reserve_vcc 1
		.amdhsa_float_round_mode_32 0
		.amdhsa_float_round_mode_16_64 0
		.amdhsa_float_denorm_mode_32 3
		.amdhsa_float_denorm_mode_16_64 3
		.amdhsa_fp16_overflow 0
		.amdhsa_memory_ordered 1
		.amdhsa_forward_progress 1
		.amdhsa_inst_pref_size 13
		.amdhsa_round_robin_scheduling 0
		.amdhsa_exception_fp_ieee_invalid_op 0
		.amdhsa_exception_fp_denorm_src 0
		.amdhsa_exception_fp_ieee_div_zero 0
		.amdhsa_exception_fp_ieee_overflow 0
		.amdhsa_exception_fp_ieee_underflow 0
		.amdhsa_exception_fp_ieee_inexact 0
		.amdhsa_exception_int_div_zero 0
	.end_amdhsa_kernel
	.section	.text._ZN2at6native39vectorized_templated_elementwise_kernelILi2EZZZNS0_12prelu_kernelERNS_14TensorIteratorEENKUlvE_clEvENKUlvE0_clEvEUlffE_St5arrayIPcLm3EE23TrivialOffsetCalculatorILi2EjESA_ILi1EjENS0_6memory12LoadWithCastILi2EEENSD_13StoreWithCastILi1EEEfJN3c104HalfEfEEEviT0_T1_T2_T3_T4_T5_,"axG",@progbits,_ZN2at6native39vectorized_templated_elementwise_kernelILi2EZZZNS0_12prelu_kernelERNS_14TensorIteratorEENKUlvE_clEvENKUlvE0_clEvEUlffE_St5arrayIPcLm3EE23TrivialOffsetCalculatorILi2EjESA_ILi1EjENS0_6memory12LoadWithCastILi2EEENSD_13StoreWithCastILi1EEEfJN3c104HalfEfEEEviT0_T1_T2_T3_T4_T5_,comdat
.Lfunc_end29:
	.size	_ZN2at6native39vectorized_templated_elementwise_kernelILi2EZZZNS0_12prelu_kernelERNS_14TensorIteratorEENKUlvE_clEvENKUlvE0_clEvEUlffE_St5arrayIPcLm3EE23TrivialOffsetCalculatorILi2EjESA_ILi1EjENS0_6memory12LoadWithCastILi2EEENSD_13StoreWithCastILi1EEEfJN3c104HalfEfEEEviT0_T1_T2_T3_T4_T5_, .Lfunc_end29-_ZN2at6native39vectorized_templated_elementwise_kernelILi2EZZZNS0_12prelu_kernelERNS_14TensorIteratorEENKUlvE_clEvENKUlvE0_clEvEUlffE_St5arrayIPcLm3EE23TrivialOffsetCalculatorILi2EjESA_ILi1EjENS0_6memory12LoadWithCastILi2EEENSD_13StoreWithCastILi1EEEfJN3c104HalfEfEEEviT0_T1_T2_T3_T4_T5_
                                        ; -- End function
	.set _ZN2at6native39vectorized_templated_elementwise_kernelILi2EZZZNS0_12prelu_kernelERNS_14TensorIteratorEENKUlvE_clEvENKUlvE0_clEvEUlffE_St5arrayIPcLm3EE23TrivialOffsetCalculatorILi2EjESA_ILi1EjENS0_6memory12LoadWithCastILi2EEENSD_13StoreWithCastILi1EEEfJN3c104HalfEfEEEviT0_T1_T2_T3_T4_T5_.num_vgpr, max(61, .L_ZN2at6native25elementwise_kernel_helperILb1EZZZNS0_12prelu_kernelERNS_14TensorIteratorEENKUlvE_clEvENKUlvE0_clEvEUlffE_NS0_6memory8policies11unroll_baseILi512ESt5arrayIPcLm3EE23TrivialOffsetCalculatorILi2EjESD_ILi1EjENS7_12LoadWithCastILi2EEENS7_13StoreWithCastILi1EEELi32ELi1EEEEEvT0_T1_.num_vgpr)
	.set _ZN2at6native39vectorized_templated_elementwise_kernelILi2EZZZNS0_12prelu_kernelERNS_14TensorIteratorEENKUlvE_clEvENKUlvE0_clEvEUlffE_St5arrayIPcLm3EE23TrivialOffsetCalculatorILi2EjESA_ILi1EjENS0_6memory12LoadWithCastILi2EEENSD_13StoreWithCastILi1EEEfJN3c104HalfEfEEEviT0_T1_T2_T3_T4_T5_.num_agpr, max(0, .L_ZN2at6native25elementwise_kernel_helperILb1EZZZNS0_12prelu_kernelERNS_14TensorIteratorEENKUlvE_clEvENKUlvE0_clEvEUlffE_NS0_6memory8policies11unroll_baseILi512ESt5arrayIPcLm3EE23TrivialOffsetCalculatorILi2EjESD_ILi1EjENS7_12LoadWithCastILi2EEENS7_13StoreWithCastILi1EEELi32ELi1EEEEEvT0_T1_.num_agpr)
	.set _ZN2at6native39vectorized_templated_elementwise_kernelILi2EZZZNS0_12prelu_kernelERNS_14TensorIteratorEENKUlvE_clEvENKUlvE0_clEvEUlffE_St5arrayIPcLm3EE23TrivialOffsetCalculatorILi2EjESA_ILi1EjENS0_6memory12LoadWithCastILi2EEENSD_13StoreWithCastILi1EEEfJN3c104HalfEfEEEviT0_T1_T2_T3_T4_T5_.numbered_sgpr, max(33, .L_ZN2at6native25elementwise_kernel_helperILb1EZZZNS0_12prelu_kernelERNS_14TensorIteratorEENKUlvE_clEvENKUlvE0_clEvEUlffE_NS0_6memory8policies11unroll_baseILi512ESt5arrayIPcLm3EE23TrivialOffsetCalculatorILi2EjESD_ILi1EjENS7_12LoadWithCastILi2EEENS7_13StoreWithCastILi1EEELi32ELi1EEEEEvT0_T1_.numbered_sgpr)
	.set _ZN2at6native39vectorized_templated_elementwise_kernelILi2EZZZNS0_12prelu_kernelERNS_14TensorIteratorEENKUlvE_clEvENKUlvE0_clEvEUlffE_St5arrayIPcLm3EE23TrivialOffsetCalculatorILi2EjESA_ILi1EjENS0_6memory12LoadWithCastILi2EEENSD_13StoreWithCastILi1EEEfJN3c104HalfEfEEEviT0_T1_T2_T3_T4_T5_.num_named_barrier, max(0, .L_ZN2at6native25elementwise_kernel_helperILb1EZZZNS0_12prelu_kernelERNS_14TensorIteratorEENKUlvE_clEvENKUlvE0_clEvEUlffE_NS0_6memory8policies11unroll_baseILi512ESt5arrayIPcLm3EE23TrivialOffsetCalculatorILi2EjESD_ILi1EjENS7_12LoadWithCastILi2EEENS7_13StoreWithCastILi1EEELi32ELi1EEEEEvT0_T1_.num_named_barrier)
	.set _ZN2at6native39vectorized_templated_elementwise_kernelILi2EZZZNS0_12prelu_kernelERNS_14TensorIteratorEENKUlvE_clEvENKUlvE0_clEvEUlffE_St5arrayIPcLm3EE23TrivialOffsetCalculatorILi2EjESA_ILi1EjENS0_6memory12LoadWithCastILi2EEENSD_13StoreWithCastILi1EEEfJN3c104HalfEfEEEviT0_T1_T2_T3_T4_T5_.private_seg_size, 0+max(.L_ZN2at6native25elementwise_kernel_helperILb1EZZZNS0_12prelu_kernelERNS_14TensorIteratorEENKUlvE_clEvENKUlvE0_clEvEUlffE_NS0_6memory8policies11unroll_baseILi512ESt5arrayIPcLm3EE23TrivialOffsetCalculatorILi2EjESD_ILi1EjENS7_12LoadWithCastILi2EEENS7_13StoreWithCastILi1EEELi32ELi1EEEEEvT0_T1_.private_seg_size)
	.set _ZN2at6native39vectorized_templated_elementwise_kernelILi2EZZZNS0_12prelu_kernelERNS_14TensorIteratorEENKUlvE_clEvENKUlvE0_clEvEUlffE_St5arrayIPcLm3EE23TrivialOffsetCalculatorILi2EjESA_ILi1EjENS0_6memory12LoadWithCastILi2EEENSD_13StoreWithCastILi1EEEfJN3c104HalfEfEEEviT0_T1_T2_T3_T4_T5_.uses_vcc, or(1, .L_ZN2at6native25elementwise_kernel_helperILb1EZZZNS0_12prelu_kernelERNS_14TensorIteratorEENKUlvE_clEvENKUlvE0_clEvEUlffE_NS0_6memory8policies11unroll_baseILi512ESt5arrayIPcLm3EE23TrivialOffsetCalculatorILi2EjESD_ILi1EjENS7_12LoadWithCastILi2EEENS7_13StoreWithCastILi1EEELi32ELi1EEEEEvT0_T1_.uses_vcc)
	.set _ZN2at6native39vectorized_templated_elementwise_kernelILi2EZZZNS0_12prelu_kernelERNS_14TensorIteratorEENKUlvE_clEvENKUlvE0_clEvEUlffE_St5arrayIPcLm3EE23TrivialOffsetCalculatorILi2EjESA_ILi1EjENS0_6memory12LoadWithCastILi2EEENSD_13StoreWithCastILi1EEEfJN3c104HalfEfEEEviT0_T1_T2_T3_T4_T5_.uses_flat_scratch, or(0, .L_ZN2at6native25elementwise_kernel_helperILb1EZZZNS0_12prelu_kernelERNS_14TensorIteratorEENKUlvE_clEvENKUlvE0_clEvEUlffE_NS0_6memory8policies11unroll_baseILi512ESt5arrayIPcLm3EE23TrivialOffsetCalculatorILi2EjESD_ILi1EjENS7_12LoadWithCastILi2EEENS7_13StoreWithCastILi1EEELi32ELi1EEEEEvT0_T1_.uses_flat_scratch)
	.set _ZN2at6native39vectorized_templated_elementwise_kernelILi2EZZZNS0_12prelu_kernelERNS_14TensorIteratorEENKUlvE_clEvENKUlvE0_clEvEUlffE_St5arrayIPcLm3EE23TrivialOffsetCalculatorILi2EjESA_ILi1EjENS0_6memory12LoadWithCastILi2EEENSD_13StoreWithCastILi1EEEfJN3c104HalfEfEEEviT0_T1_T2_T3_T4_T5_.has_dyn_sized_stack, or(0, .L_ZN2at6native25elementwise_kernel_helperILb1EZZZNS0_12prelu_kernelERNS_14TensorIteratorEENKUlvE_clEvENKUlvE0_clEvEUlffE_NS0_6memory8policies11unroll_baseILi512ESt5arrayIPcLm3EE23TrivialOffsetCalculatorILi2EjESD_ILi1EjENS7_12LoadWithCastILi2EEENS7_13StoreWithCastILi1EEELi32ELi1EEEEEvT0_T1_.has_dyn_sized_stack)
	.set _ZN2at6native39vectorized_templated_elementwise_kernelILi2EZZZNS0_12prelu_kernelERNS_14TensorIteratorEENKUlvE_clEvENKUlvE0_clEvEUlffE_St5arrayIPcLm3EE23TrivialOffsetCalculatorILi2EjESA_ILi1EjENS0_6memory12LoadWithCastILi2EEENSD_13StoreWithCastILi1EEEfJN3c104HalfEfEEEviT0_T1_T2_T3_T4_T5_.has_recursion, or(0, .L_ZN2at6native25elementwise_kernel_helperILb1EZZZNS0_12prelu_kernelERNS_14TensorIteratorEENKUlvE_clEvENKUlvE0_clEvEUlffE_NS0_6memory8policies11unroll_baseILi512ESt5arrayIPcLm3EE23TrivialOffsetCalculatorILi2EjESD_ILi1EjENS7_12LoadWithCastILi2EEENS7_13StoreWithCastILi1EEELi32ELi1EEEEEvT0_T1_.has_recursion)
	.set _ZN2at6native39vectorized_templated_elementwise_kernelILi2EZZZNS0_12prelu_kernelERNS_14TensorIteratorEENKUlvE_clEvENKUlvE0_clEvEUlffE_St5arrayIPcLm3EE23TrivialOffsetCalculatorILi2EjESA_ILi1EjENS0_6memory12LoadWithCastILi2EEENSD_13StoreWithCastILi1EEEfJN3c104HalfEfEEEviT0_T1_T2_T3_T4_T5_.has_indirect_call, or(0, .L_ZN2at6native25elementwise_kernel_helperILb1EZZZNS0_12prelu_kernelERNS_14TensorIteratorEENKUlvE_clEvENKUlvE0_clEvEUlffE_NS0_6memory8policies11unroll_baseILi512ESt5arrayIPcLm3EE23TrivialOffsetCalculatorILi2EjESD_ILi1EjENS7_12LoadWithCastILi2EEENS7_13StoreWithCastILi1EEELi32ELi1EEEEEvT0_T1_.has_indirect_call)
	.section	.AMDGPU.csdata,"",@progbits
; Kernel info:
; codeLenInByte = 1608
; TotalNumSgprs: 98
; NumVgprs: 120
; ScratchSize: 272
; MemoryBound: 0
; FloatMode: 240
; IeeeMode: 1
; LDSByteSize: 0 bytes/workgroup (compile time only)
; SGPRBlocks: 0
; VGPRBlocks: 7
; NumSGPRsForWavesPerEU: 98
; NumVGPRsForWavesPerEU: 120
; NamedBarCnt: 0
; Occupancy: 8
; WaveLimiterHint : 1
; COMPUTE_PGM_RSRC2:SCRATCH_EN: 1
; COMPUTE_PGM_RSRC2:USER_SGPR: 2
; COMPUTE_PGM_RSRC2:TRAP_HANDLER: 0
; COMPUTE_PGM_RSRC2:TGID_X_EN: 1
; COMPUTE_PGM_RSRC2:TGID_Y_EN: 0
; COMPUTE_PGM_RSRC2:TGID_Z_EN: 0
; COMPUTE_PGM_RSRC2:TIDIG_COMP_CNT: 0
	.section	.text._ZN2at6native39vectorized_templated_elementwise_kernelILi8EZZZNS0_12prelu_kernelERNS_14TensorIteratorEENKUlvE_clEvENKUlvE0_clEvEUlffE_St5arrayIPcLm3EE23TrivialOffsetCalculatorILi2EjESA_ILi1EjENS0_6memory12LoadWithCastILi2EEENSD_13StoreWithCastILi1EEEN3c104HalfEJSJ_fEEEviT0_T1_T2_T3_T4_T5_,"axG",@progbits,_ZN2at6native39vectorized_templated_elementwise_kernelILi8EZZZNS0_12prelu_kernelERNS_14TensorIteratorEENKUlvE_clEvENKUlvE0_clEvEUlffE_St5arrayIPcLm3EE23TrivialOffsetCalculatorILi2EjESA_ILi1EjENS0_6memory12LoadWithCastILi2EEENSD_13StoreWithCastILi1EEEN3c104HalfEJSJ_fEEEviT0_T1_T2_T3_T4_T5_,comdat
	.globl	_ZN2at6native39vectorized_templated_elementwise_kernelILi8EZZZNS0_12prelu_kernelERNS_14TensorIteratorEENKUlvE_clEvENKUlvE0_clEvEUlffE_St5arrayIPcLm3EE23TrivialOffsetCalculatorILi2EjESA_ILi1EjENS0_6memory12LoadWithCastILi2EEENSD_13StoreWithCastILi1EEEN3c104HalfEJSJ_fEEEviT0_T1_T2_T3_T4_T5_ ; -- Begin function _ZN2at6native39vectorized_templated_elementwise_kernelILi8EZZZNS0_12prelu_kernelERNS_14TensorIteratorEENKUlvE_clEvENKUlvE0_clEvEUlffE_St5arrayIPcLm3EE23TrivialOffsetCalculatorILi2EjESA_ILi1EjENS0_6memory12LoadWithCastILi2EEENSD_13StoreWithCastILi1EEEN3c104HalfEJSJ_fEEEviT0_T1_T2_T3_T4_T5_
	.p2align	8
	.type	_ZN2at6native39vectorized_templated_elementwise_kernelILi8EZZZNS0_12prelu_kernelERNS_14TensorIteratorEENKUlvE_clEvENKUlvE0_clEvEUlffE_St5arrayIPcLm3EE23TrivialOffsetCalculatorILi2EjESA_ILi1EjENS0_6memory12LoadWithCastILi2EEENSD_13StoreWithCastILi1EEEN3c104HalfEJSJ_fEEEviT0_T1_T2_T3_T4_T5_,@function
_ZN2at6native39vectorized_templated_elementwise_kernelILi8EZZZNS0_12prelu_kernelERNS_14TensorIteratorEENKUlvE_clEvENKUlvE0_clEvEUlffE_St5arrayIPcLm3EE23TrivialOffsetCalculatorILi2EjESA_ILi1EjENS0_6memory12LoadWithCastILi2EEENSD_13StoreWithCastILi1EEEN3c104HalfEJSJ_fEEEviT0_T1_T2_T3_T4_T5_: ; @_ZN2at6native39vectorized_templated_elementwise_kernelILi8EZZZNS0_12prelu_kernelERNS_14TensorIteratorEENKUlvE_clEvENKUlvE0_clEvEUlffE_St5arrayIPcLm3EE23TrivialOffsetCalculatorILi2EjESA_ILi1EjENS0_6memory12LoadWithCastILi2EEENSD_13StoreWithCastILi1EEEN3c104HalfEJSJ_fEEEviT0_T1_T2_T3_T4_T5_
; %bb.0:
	s_clause 0x2
	s_load_b32 s8, s[0:1], 0x38
	s_load_b32 s9, s[0:1], 0x0
	s_load_b64 s[2:3], s[0:1], 0x18
	s_bfe_u32 s10, ttmp6, 0x4000c
	s_load_b128 s[4:7], s[0:1], 0x8
	s_add_co_i32 s10, s10, 1
	s_and_b32 s11, ttmp6, 15
	s_mul_i32 s10, ttmp9, s10
	s_getreg_b32 s12, hwreg(HW_REG_IB_STS2, 6, 4)
	s_add_co_i32 s11, s11, s10
	s_cmp_eq_u32 s12, 0
	s_mov_b32 s32, 0
	s_cselect_b32 s10, ttmp9, s11
	s_mov_b32 s11, -1
	s_not_b32 s10, s10
	s_wait_kmcnt 0x0
	s_add_co_i32 s8, s8, s10
	s_delay_alu instid0(SALU_CYCLE_1) | instskip(NEXT) | instid1(SALU_CYCLE_1)
	s_lshl_b32 s10, s8, 14
	s_sub_co_i32 s12, s9, s10
	s_delay_alu instid0(SALU_CYCLE_1)
	s_cmp_gt_i32 s12, 0x3fff
	s_cbranch_scc1 .LBB30_3
; %bb.1:
	s_and_not1_b32 vcc_lo, exec_lo, s11
	s_cbranch_vccz .LBB30_4
.LBB30_2:
	s_sendmsg sendmsg(MSG_DEALLOC_VGPRS)
	s_endpgm
.LBB30_3:
	s_ashr_i32 s11, s10, 31
	s_delay_alu instid0(SALU_CYCLE_1)
	s_lshl_b64 s[8:9], s[10:11], 1
	s_lshl_b64 s[10:11], s[10:11], 2
	s_add_nc_u64 s[14:15], s[6:7], s[8:9]
	s_add_nc_u64 s[10:11], s[2:3], s[10:11]
	global_load_b128 v[6:9], v0, s[14:15] scale_offset
	v_lshlrev_b32_e32 v1, 5, v0
	s_add_nc_u64 s[8:9], s[4:5], s[8:9]
	s_wait_loadcnt 0x0
	v_lshrrev_b32_e32 v50, 16, v7
	global_load_b128 v[10:13], v0, s[14:15] offset:8192 scale_offset
	s_clause 0x1
	global_load_b128 v[14:17], v1, s[10:11]
	global_load_b128 v[18:21], v1, s[10:11] offset:16
	global_load_b128 v[2:5], v0, s[14:15] offset:16384 scale_offset
	s_clause 0x5
	global_load_b128 v[22:25], v1, s[10:11] offset:16384
	global_load_b128 v[26:29], v1, s[10:11] offset:16400
	;; [unrolled: 1-line block ×6, first 2 shown]
	global_load_b128 v[46:49], v0, s[14:15] offset:24576 scale_offset
	v_cmp_lt_f16_e32 vcc_lo, 0, v6
	s_wait_xcnt 0x1
	v_dual_lshrrev_b32 v1, 16, v6 :: v_dual_lshrrev_b32 v51, 16, v8
	v_lshrrev_b32_e32 v52, 16, v9
	s_wait_loadcnt 0xa
	v_lshrrev_b32_e32 v53, 16, v10
	s_wait_loadcnt 0x9
	v_cvt_f16_f32_e32 v14, v14
	v_cvt_f16_f32_e32 v16, v16
	s_wait_loadcnt 0x8
	v_cvt_f16_f32_e32 v18, v18
	v_cvt_f16_f32_e32 v20, v20
	;; [unrolled: 1-line block ×3, first 2 shown]
	v_mul_f16_e32 v14, v6, v14
	v_mul_f16_e32 v16, v7, v16
	;; [unrolled: 1-line block ×4, first 2 shown]
	v_cvt_f16_f32_e32 v17, v17
	v_cndmask_b32_e32 v6, v14, v6, vcc_lo
	v_cmp_lt_f16_e32 vcc_lo, 0, v7
	v_mul_f16_e32 v15, v1, v15
	v_cvt_f16_f32_e32 v19, v19
	v_mul_f16_e32 v17, v50, v17
	v_cvt_f16_f32_e32 v21, v21
	v_cndmask_b32_e32 v7, v16, v7, vcc_lo
	v_cmp_lt_f16_e32 vcc_lo, 0, v8
	v_mul_f16_e32 v19, v51, v19
	s_wait_loadcnt 0x6
	v_cvt_f16_f32_e32 v22, v22
	v_mul_f16_e32 v21, v52, v21
	v_cvt_f16_f32_e32 v23, v23
	v_cndmask_b32_e32 v8, v18, v8, vcc_lo
	v_cmp_lt_f16_e32 vcc_lo, 0, v9
	v_mul_f16_e32 v22, v10, v22
	v_cvt_f16_f32_e32 v24, v24
	v_mul_f16_e32 v23, v53, v23
	v_dual_lshrrev_b32 v54, 16, v11 :: v_dual_lshrrev_b32 v55, 16, v12
	v_cndmask_b32_e32 v9, v20, v9, vcc_lo
	v_cmp_lt_f16_e32 vcc_lo, 0, v1
	v_cvt_f16_f32_e32 v25, v25
	v_mul_f16_e32 v24, v11, v24
	s_wait_loadcnt 0x5
	v_cvt_f16_f32_e32 v26, v26
	v_cvt_f16_f32_e32 v27, v27
	v_cndmask_b32_e32 v1, v15, v1, vcc_lo
	v_cmp_lt_f16_e32 vcc_lo, 0, v50
	v_mul_f16_e32 v25, v54, v25
	v_mul_f16_e32 v26, v12, v26
	v_cvt_f16_f32_e32 v28, v28
	v_mul_f16_e32 v27, v55, v27
	v_cndmask_b32_e32 v17, v17, v50, vcc_lo
	v_cmp_lt_f16_e32 vcc_lo, 0, v51
	s_wait_loadcnt 0x0
	v_lshrrev_b32_e32 v15, 16, v49
	v_dual_lshrrev_b32 v14, 16, v13 :: v_dual_lshrrev_b32 v16, 16, v2
	v_cvt_f16_f32_e32 v29, v29
	v_cndmask_b32_e32 v19, v19, v51, vcc_lo
	v_cmp_lt_f16_e32 vcc_lo, 0, v52
	v_mul_f16_e32 v28, v13, v28
	v_cvt_f16_f32_e32 v30, v30
	v_cvt_f16_f32_e32 v31, v31
	v_mul_f16_e32 v29, v14, v29
	v_cndmask_b32_e32 v21, v21, v52, vcc_lo
	v_cmp_lt_f16_e32 vcc_lo, 0, v10
	v_cvt_f16_f32_e32 v32, v32
	v_mul_f16_e32 v30, v2, v30
	v_mul_f16_e32 v31, v16, v31
	v_dual_lshrrev_b32 v18, 16, v3 :: v_dual_lshrrev_b32 v20, 16, v4
	v_cndmask_b32_e32 v10, v22, v10, vcc_lo
	v_cmp_lt_f16_e32 vcc_lo, 0, v53
	v_mul_f16_e32 v32, v3, v32
	v_cvt_f16_f32_e32 v33, v33
	v_cvt_f16_f32_e32 v34, v34
	v_cvt_f16_f32_e32 v35, v35
	v_cndmask_b32_e32 v22, v23, v53, vcc_lo
	v_cmp_lt_f16_e32 vcc_lo, 0, v11
	v_mul_f16_e32 v33, v18, v33
	v_mul_f16_e32 v34, v4, v34
	v_cvt_f16_f32_e32 v36, v36
	v_mul_f16_e32 v35, v20, v35
	v_cndmask_b32_e32 v11, v24, v11, vcc_lo
	v_cmp_lt_f16_e32 vcc_lo, 0, v54
	v_dual_lshrrev_b32 v56, 16, v5 :: v_dual_lshrrev_b32 v57, 16, v46
	v_cvt_f16_f32_e32 v37, v37
	v_mul_f16_e32 v36, v5, v36
	v_cndmask_b32_e32 v23, v25, v54, vcc_lo
	v_cmp_lt_f16_e32 vcc_lo, 0, v12
	v_cvt_f16_f32_e32 v38, v38
	v_mul_f16_e32 v37, v56, v37
	v_cvt_f16_f32_e32 v39, v39
	v_cvt_f16_f32_e32 v40, v40
	v_cndmask_b32_e32 v12, v26, v12, vcc_lo
	v_cmp_lt_f16_e32 vcc_lo, 0, v55
	v_mul_f16_e32 v38, v46, v38
	v_mul_f16_e32 v39, v57, v39
	v_cvt_f16_f32_e32 v41, v41
	v_dual_lshrrev_b32 v58, 16, v47 :: v_dual_lshrrev_b32 v59, 16, v48
	v_cndmask_b32_e32 v24, v27, v55, vcc_lo
	v_cmp_lt_f16_e32 vcc_lo, 0, v13
	v_mul_f16_e32 v40, v47, v40
	v_cvt_f16_f32_e32 v42, v42
	v_mul_f16_e32 v41, v58, v41
	v_cvt_f16_f32_e32 v43, v43
	v_cndmask_b32_e32 v13, v28, v13, vcc_lo
	v_cmp_lt_f16_e32 vcc_lo, 0, v14
	v_mul_f16_e32 v42, v48, v42
	v_cvt_f16_f32_e32 v44, v44
	v_mul_f16_e32 v43, v59, v43
	v_cvt_f16_f32_e32 v45, v45
	v_cndmask_b32_e32 v14, v29, v14, vcc_lo
	v_cmp_lt_f16_e32 vcc_lo, 0, v2
	v_mul_f16_e32 v44, v49, v44
	s_delay_alu instid0(VALU_DEP_4)
	v_mul_f16_e32 v45, v15, v45
	v_cndmask_b32_e32 v25, v30, v2, vcc_lo
	v_cmp_lt_f16_e32 vcc_lo, 0, v16
	v_perm_b32 v2, v1, v6, 0x5040100
	v_perm_b32 v6, v22, v10, 0x5040100
	v_cndmask_b32_e32 v16, v31, v16, vcc_lo
	v_cmp_lt_f16_e32 vcc_lo, 0, v3
	v_cndmask_b32_e32 v26, v32, v3, vcc_lo
	v_cmp_lt_f16_e32 vcc_lo, 0, v18
	v_perm_b32 v3, v17, v7, 0x5040100
	v_perm_b32 v7, v23, v11, 0x5040100
	v_perm_b32 v10, v16, v25, 0x5040100
	v_cndmask_b32_e32 v18, v33, v18, vcc_lo
	v_cmp_lt_f16_e32 vcc_lo, 0, v4
	v_cndmask_b32_e32 v27, v34, v4, vcc_lo
	v_cmp_lt_f16_e32 vcc_lo, 0, v20
	v_perm_b32 v4, v19, v8, 0x5040100
	v_perm_b32 v8, v24, v12, 0x5040100
	v_perm_b32 v11, v18, v26, 0x5040100
	v_cndmask_b32_e32 v20, v35, v20, vcc_lo
	v_cmp_lt_f16_e32 vcc_lo, 0, v5
	v_cndmask_b32_e32 v28, v36, v5, vcc_lo
	v_cmp_lt_f16_e32 vcc_lo, 0, v56
	v_perm_b32 v5, v21, v9, 0x5040100
	v_perm_b32 v9, v14, v13, 0x5040100
	v_perm_b32 v12, v20, v27, 0x5040100
	v_cndmask_b32_e32 v29, v37, v56, vcc_lo
	v_cmp_lt_f16_e32 vcc_lo, 0, v46
	v_cndmask_b32_e32 v30, v38, v46, vcc_lo
	v_cmp_lt_f16_e32 vcc_lo, 0, v57
	s_delay_alu instid0(VALU_DEP_4) | instskip(SKIP_4) | instid1(VALU_DEP_4)
	v_perm_b32 v13, v29, v28, 0x5040100
	v_cndmask_b32_e32 v31, v39, v57, vcc_lo
	v_cmp_lt_f16_e32 vcc_lo, 0, v47
	v_cndmask_b32_e32 v32, v40, v47, vcc_lo
	v_cmp_lt_f16_e32 vcc_lo, 0, v58
	v_perm_b32 v14, v31, v30, 0x5040100
	v_cndmask_b32_e32 v33, v41, v58, vcc_lo
	v_cmp_lt_f16_e32 vcc_lo, 0, v48
	v_cndmask_b32_e32 v34, v42, v48, vcc_lo
	v_cmp_lt_f16_e32 vcc_lo, 0, v59
	;; [unrolled: 2-line block ×4, first 2 shown]
	s_delay_alu instid0(VALU_DEP_4) | instskip(SKIP_1) | instid1(VALU_DEP_1)
	v_perm_b32 v16, v35, v34, 0x5040100
	v_cndmask_b32_e32 v15, v45, v15, vcc_lo
	v_perm_b32 v17, v15, v36, 0x5040100
	v_perm_b32 v15, v33, v32, 0x5040100
	s_clause 0x3
	global_store_b128 v0, v[2:5], s[8:9] scale_offset
	global_store_b128 v0, v[6:9], s[8:9] offset:8192 scale_offset
	global_store_b128 v0, v[10:13], s[8:9] offset:16384 scale_offset
	;; [unrolled: 1-line block ×3, first 2 shown]
	s_cbranch_execnz .LBB30_2
.LBB30_4:
	s_clause 0x1
	s_load_b32 s10, s[0:1], 0x24
	s_load_b128 s[16:19], s[0:1], 0x28
	v_dual_mov_b32 v31, v0 :: v_dual_mov_b32 v0, s4
	v_dual_mov_b32 v1, s5 :: v_dual_mov_b32 v2, s6
	;; [unrolled: 1-line block ×4, first 2 shown]
	s_add_nc_u64 s[8:9], s[0:1], 56
	s_wait_xcnt 0x0
	s_get_pc_i64 s[0:1]
	s_add_nc_u64 s[0:1], s[0:1], _ZN2at6native25elementwise_kernel_helperILb1EZZZNS0_12prelu_kernelERNS_14TensorIteratorEENKUlvE_clEvENKUlvE0_clEvEUlffE_NS0_6memory8policies11unroll_baseILi512ESt5arrayIPcLm3EE23TrivialOffsetCalculatorILi2EjESD_ILi1EjENS7_12LoadWithCastILi2EEENS7_13StoreWithCastILi1EEELi32ELi1EEEEEvT0_T1_@rel64+4
	s_wait_kmcnt 0x0
	s_bfe_u32 s11, s10, 0x80008
	v_dual_mov_b32 v7, s10 :: v_dual_mov_b32 v9, s16
	v_dual_mov_b32 v10, s17 :: v_dual_mov_b32 v11, s18
	;; [unrolled: 1-line block ×3, first 2 shown]
	s_swap_pc_i64 s[30:31], s[0:1]
	s_endpgm
	.section	.rodata,"a",@progbits
	.p2align	6, 0x0
	.amdhsa_kernel _ZN2at6native39vectorized_templated_elementwise_kernelILi8EZZZNS0_12prelu_kernelERNS_14TensorIteratorEENKUlvE_clEvENKUlvE0_clEvEUlffE_St5arrayIPcLm3EE23TrivialOffsetCalculatorILi2EjESA_ILi1EjENS0_6memory12LoadWithCastILi2EEENSD_13StoreWithCastILi1EEEN3c104HalfEJSJ_fEEEviT0_T1_T2_T3_T4_T5_
		.amdhsa_group_segment_fixed_size 0
		.amdhsa_private_segment_fixed_size 272
		.amdhsa_kernarg_size 312
		.amdhsa_user_sgpr_count 2
		.amdhsa_user_sgpr_dispatch_ptr 0
		.amdhsa_user_sgpr_queue_ptr 0
		.amdhsa_user_sgpr_kernarg_segment_ptr 1
		.amdhsa_user_sgpr_dispatch_id 0
		.amdhsa_user_sgpr_kernarg_preload_length 0
		.amdhsa_user_sgpr_kernarg_preload_offset 0
		.amdhsa_user_sgpr_private_segment_size 0
		.amdhsa_wavefront_size32 1
		.amdhsa_uses_dynamic_stack 0
		.amdhsa_enable_private_segment 1
		.amdhsa_system_sgpr_workgroup_id_x 1
		.amdhsa_system_sgpr_workgroup_id_y 0
		.amdhsa_system_sgpr_workgroup_id_z 0
		.amdhsa_system_sgpr_workgroup_info 0
		.amdhsa_system_vgpr_workitem_id 0
		.amdhsa_next_free_vgpr 120
		.amdhsa_next_free_sgpr 96
		.amdhsa_named_barrier_count 0
		.amdhsa_reserve_vcc 1
		.amdhsa_float_round_mode_32 0
		.amdhsa_float_round_mode_16_64 0
		.amdhsa_float_denorm_mode_32 3
		.amdhsa_float_denorm_mode_16_64 3
		.amdhsa_fp16_overflow 0
		.amdhsa_memory_ordered 1
		.amdhsa_forward_progress 1
		.amdhsa_inst_pref_size 11
		.amdhsa_round_robin_scheduling 0
		.amdhsa_exception_fp_ieee_invalid_op 0
		.amdhsa_exception_fp_denorm_src 0
		.amdhsa_exception_fp_ieee_div_zero 0
		.amdhsa_exception_fp_ieee_overflow 0
		.amdhsa_exception_fp_ieee_underflow 0
		.amdhsa_exception_fp_ieee_inexact 0
		.amdhsa_exception_int_div_zero 0
	.end_amdhsa_kernel
	.section	.text._ZN2at6native39vectorized_templated_elementwise_kernelILi8EZZZNS0_12prelu_kernelERNS_14TensorIteratorEENKUlvE_clEvENKUlvE0_clEvEUlffE_St5arrayIPcLm3EE23TrivialOffsetCalculatorILi2EjESA_ILi1EjENS0_6memory12LoadWithCastILi2EEENSD_13StoreWithCastILi1EEEN3c104HalfEJSJ_fEEEviT0_T1_T2_T3_T4_T5_,"axG",@progbits,_ZN2at6native39vectorized_templated_elementwise_kernelILi8EZZZNS0_12prelu_kernelERNS_14TensorIteratorEENKUlvE_clEvENKUlvE0_clEvEUlffE_St5arrayIPcLm3EE23TrivialOffsetCalculatorILi2EjESA_ILi1EjENS0_6memory12LoadWithCastILi2EEENSD_13StoreWithCastILi1EEEN3c104HalfEJSJ_fEEEviT0_T1_T2_T3_T4_T5_,comdat
.Lfunc_end30:
	.size	_ZN2at6native39vectorized_templated_elementwise_kernelILi8EZZZNS0_12prelu_kernelERNS_14TensorIteratorEENKUlvE_clEvENKUlvE0_clEvEUlffE_St5arrayIPcLm3EE23TrivialOffsetCalculatorILi2EjESA_ILi1EjENS0_6memory12LoadWithCastILi2EEENSD_13StoreWithCastILi1EEEN3c104HalfEJSJ_fEEEviT0_T1_T2_T3_T4_T5_, .Lfunc_end30-_ZN2at6native39vectorized_templated_elementwise_kernelILi8EZZZNS0_12prelu_kernelERNS_14TensorIteratorEENKUlvE_clEvENKUlvE0_clEvEUlffE_St5arrayIPcLm3EE23TrivialOffsetCalculatorILi2EjESA_ILi1EjENS0_6memory12LoadWithCastILi2EEENSD_13StoreWithCastILi1EEEN3c104HalfEJSJ_fEEEviT0_T1_T2_T3_T4_T5_
                                        ; -- End function
	.set _ZN2at6native39vectorized_templated_elementwise_kernelILi8EZZZNS0_12prelu_kernelERNS_14TensorIteratorEENKUlvE_clEvENKUlvE0_clEvEUlffE_St5arrayIPcLm3EE23TrivialOffsetCalculatorILi2EjESA_ILi1EjENS0_6memory12LoadWithCastILi2EEENSD_13StoreWithCastILi1EEEN3c104HalfEJSJ_fEEEviT0_T1_T2_T3_T4_T5_.num_vgpr, max(60, .L_ZN2at6native25elementwise_kernel_helperILb1EZZZNS0_12prelu_kernelERNS_14TensorIteratorEENKUlvE_clEvENKUlvE0_clEvEUlffE_NS0_6memory8policies11unroll_baseILi512ESt5arrayIPcLm3EE23TrivialOffsetCalculatorILi2EjESD_ILi1EjENS7_12LoadWithCastILi2EEENS7_13StoreWithCastILi1EEELi32ELi1EEEEEvT0_T1_.num_vgpr)
	.set _ZN2at6native39vectorized_templated_elementwise_kernelILi8EZZZNS0_12prelu_kernelERNS_14TensorIteratorEENKUlvE_clEvENKUlvE0_clEvEUlffE_St5arrayIPcLm3EE23TrivialOffsetCalculatorILi2EjESA_ILi1EjENS0_6memory12LoadWithCastILi2EEENSD_13StoreWithCastILi1EEEN3c104HalfEJSJ_fEEEviT0_T1_T2_T3_T4_T5_.num_agpr, max(0, .L_ZN2at6native25elementwise_kernel_helperILb1EZZZNS0_12prelu_kernelERNS_14TensorIteratorEENKUlvE_clEvENKUlvE0_clEvEUlffE_NS0_6memory8policies11unroll_baseILi512ESt5arrayIPcLm3EE23TrivialOffsetCalculatorILi2EjESD_ILi1EjENS7_12LoadWithCastILi2EEENS7_13StoreWithCastILi1EEELi32ELi1EEEEEvT0_T1_.num_agpr)
	.set _ZN2at6native39vectorized_templated_elementwise_kernelILi8EZZZNS0_12prelu_kernelERNS_14TensorIteratorEENKUlvE_clEvENKUlvE0_clEvEUlffE_St5arrayIPcLm3EE23TrivialOffsetCalculatorILi2EjESA_ILi1EjENS0_6memory12LoadWithCastILi2EEENSD_13StoreWithCastILi1EEEN3c104HalfEJSJ_fEEEviT0_T1_T2_T3_T4_T5_.numbered_sgpr, max(33, .L_ZN2at6native25elementwise_kernel_helperILb1EZZZNS0_12prelu_kernelERNS_14TensorIteratorEENKUlvE_clEvENKUlvE0_clEvEUlffE_NS0_6memory8policies11unroll_baseILi512ESt5arrayIPcLm3EE23TrivialOffsetCalculatorILi2EjESD_ILi1EjENS7_12LoadWithCastILi2EEENS7_13StoreWithCastILi1EEELi32ELi1EEEEEvT0_T1_.numbered_sgpr)
	.set _ZN2at6native39vectorized_templated_elementwise_kernelILi8EZZZNS0_12prelu_kernelERNS_14TensorIteratorEENKUlvE_clEvENKUlvE0_clEvEUlffE_St5arrayIPcLm3EE23TrivialOffsetCalculatorILi2EjESA_ILi1EjENS0_6memory12LoadWithCastILi2EEENSD_13StoreWithCastILi1EEEN3c104HalfEJSJ_fEEEviT0_T1_T2_T3_T4_T5_.num_named_barrier, max(0, .L_ZN2at6native25elementwise_kernel_helperILb1EZZZNS0_12prelu_kernelERNS_14TensorIteratorEENKUlvE_clEvENKUlvE0_clEvEUlffE_NS0_6memory8policies11unroll_baseILi512ESt5arrayIPcLm3EE23TrivialOffsetCalculatorILi2EjESD_ILi1EjENS7_12LoadWithCastILi2EEENS7_13StoreWithCastILi1EEELi32ELi1EEEEEvT0_T1_.num_named_barrier)
	.set _ZN2at6native39vectorized_templated_elementwise_kernelILi8EZZZNS0_12prelu_kernelERNS_14TensorIteratorEENKUlvE_clEvENKUlvE0_clEvEUlffE_St5arrayIPcLm3EE23TrivialOffsetCalculatorILi2EjESA_ILi1EjENS0_6memory12LoadWithCastILi2EEENSD_13StoreWithCastILi1EEEN3c104HalfEJSJ_fEEEviT0_T1_T2_T3_T4_T5_.private_seg_size, 0+max(.L_ZN2at6native25elementwise_kernel_helperILb1EZZZNS0_12prelu_kernelERNS_14TensorIteratorEENKUlvE_clEvENKUlvE0_clEvEUlffE_NS0_6memory8policies11unroll_baseILi512ESt5arrayIPcLm3EE23TrivialOffsetCalculatorILi2EjESD_ILi1EjENS7_12LoadWithCastILi2EEENS7_13StoreWithCastILi1EEELi32ELi1EEEEEvT0_T1_.private_seg_size)
	.set _ZN2at6native39vectorized_templated_elementwise_kernelILi8EZZZNS0_12prelu_kernelERNS_14TensorIteratorEENKUlvE_clEvENKUlvE0_clEvEUlffE_St5arrayIPcLm3EE23TrivialOffsetCalculatorILi2EjESA_ILi1EjENS0_6memory12LoadWithCastILi2EEENSD_13StoreWithCastILi1EEEN3c104HalfEJSJ_fEEEviT0_T1_T2_T3_T4_T5_.uses_vcc, or(1, .L_ZN2at6native25elementwise_kernel_helperILb1EZZZNS0_12prelu_kernelERNS_14TensorIteratorEENKUlvE_clEvENKUlvE0_clEvEUlffE_NS0_6memory8policies11unroll_baseILi512ESt5arrayIPcLm3EE23TrivialOffsetCalculatorILi2EjESD_ILi1EjENS7_12LoadWithCastILi2EEENS7_13StoreWithCastILi1EEELi32ELi1EEEEEvT0_T1_.uses_vcc)
	.set _ZN2at6native39vectorized_templated_elementwise_kernelILi8EZZZNS0_12prelu_kernelERNS_14TensorIteratorEENKUlvE_clEvENKUlvE0_clEvEUlffE_St5arrayIPcLm3EE23TrivialOffsetCalculatorILi2EjESA_ILi1EjENS0_6memory12LoadWithCastILi2EEENSD_13StoreWithCastILi1EEEN3c104HalfEJSJ_fEEEviT0_T1_T2_T3_T4_T5_.uses_flat_scratch, or(0, .L_ZN2at6native25elementwise_kernel_helperILb1EZZZNS0_12prelu_kernelERNS_14TensorIteratorEENKUlvE_clEvENKUlvE0_clEvEUlffE_NS0_6memory8policies11unroll_baseILi512ESt5arrayIPcLm3EE23TrivialOffsetCalculatorILi2EjESD_ILi1EjENS7_12LoadWithCastILi2EEENS7_13StoreWithCastILi1EEELi32ELi1EEEEEvT0_T1_.uses_flat_scratch)
	.set _ZN2at6native39vectorized_templated_elementwise_kernelILi8EZZZNS0_12prelu_kernelERNS_14TensorIteratorEENKUlvE_clEvENKUlvE0_clEvEUlffE_St5arrayIPcLm3EE23TrivialOffsetCalculatorILi2EjESA_ILi1EjENS0_6memory12LoadWithCastILi2EEENSD_13StoreWithCastILi1EEEN3c104HalfEJSJ_fEEEviT0_T1_T2_T3_T4_T5_.has_dyn_sized_stack, or(0, .L_ZN2at6native25elementwise_kernel_helperILb1EZZZNS0_12prelu_kernelERNS_14TensorIteratorEENKUlvE_clEvENKUlvE0_clEvEUlffE_NS0_6memory8policies11unroll_baseILi512ESt5arrayIPcLm3EE23TrivialOffsetCalculatorILi2EjESD_ILi1EjENS7_12LoadWithCastILi2EEENS7_13StoreWithCastILi1EEELi32ELi1EEEEEvT0_T1_.has_dyn_sized_stack)
	.set _ZN2at6native39vectorized_templated_elementwise_kernelILi8EZZZNS0_12prelu_kernelERNS_14TensorIteratorEENKUlvE_clEvENKUlvE0_clEvEUlffE_St5arrayIPcLm3EE23TrivialOffsetCalculatorILi2EjESA_ILi1EjENS0_6memory12LoadWithCastILi2EEENSD_13StoreWithCastILi1EEEN3c104HalfEJSJ_fEEEviT0_T1_T2_T3_T4_T5_.has_recursion, or(0, .L_ZN2at6native25elementwise_kernel_helperILb1EZZZNS0_12prelu_kernelERNS_14TensorIteratorEENKUlvE_clEvENKUlvE0_clEvEUlffE_NS0_6memory8policies11unroll_baseILi512ESt5arrayIPcLm3EE23TrivialOffsetCalculatorILi2EjESD_ILi1EjENS7_12LoadWithCastILi2EEENS7_13StoreWithCastILi1EEELi32ELi1EEEEEvT0_T1_.has_recursion)
	.set _ZN2at6native39vectorized_templated_elementwise_kernelILi8EZZZNS0_12prelu_kernelERNS_14TensorIteratorEENKUlvE_clEvENKUlvE0_clEvEUlffE_St5arrayIPcLm3EE23TrivialOffsetCalculatorILi2EjESA_ILi1EjENS0_6memory12LoadWithCastILi2EEENSD_13StoreWithCastILi1EEEN3c104HalfEJSJ_fEEEviT0_T1_T2_T3_T4_T5_.has_indirect_call, or(0, .L_ZN2at6native25elementwise_kernel_helperILb1EZZZNS0_12prelu_kernelERNS_14TensorIteratorEENKUlvE_clEvENKUlvE0_clEvEUlffE_NS0_6memory8policies11unroll_baseILi512ESt5arrayIPcLm3EE23TrivialOffsetCalculatorILi2EjESD_ILi1EjENS7_12LoadWithCastILi2EEENS7_13StoreWithCastILi1EEELi32ELi1EEEEEvT0_T1_.has_indirect_call)
	.section	.AMDGPU.csdata,"",@progbits
; Kernel info:
; codeLenInByte = 1340
; TotalNumSgprs: 98
; NumVgprs: 120
; ScratchSize: 272
; MemoryBound: 0
; FloatMode: 240
; IeeeMode: 1
; LDSByteSize: 0 bytes/workgroup (compile time only)
; SGPRBlocks: 0
; VGPRBlocks: 7
; NumSGPRsForWavesPerEU: 98
; NumVGPRsForWavesPerEU: 120
; NamedBarCnt: 0
; Occupancy: 8
; WaveLimiterHint : 1
; COMPUTE_PGM_RSRC2:SCRATCH_EN: 1
; COMPUTE_PGM_RSRC2:USER_SGPR: 2
; COMPUTE_PGM_RSRC2:TRAP_HANDLER: 0
; COMPUTE_PGM_RSRC2:TGID_X_EN: 1
; COMPUTE_PGM_RSRC2:TGID_Y_EN: 0
; COMPUTE_PGM_RSRC2:TGID_Z_EN: 0
; COMPUTE_PGM_RSRC2:TIDIG_COMP_CNT: 0
	.section	.text._ZN2at6native39vectorized_templated_elementwise_kernelILi4EZZZNS0_12prelu_kernelERNS_14TensorIteratorEENKUlvE_clEvENKUlvE0_clEvEUlffE_St5arrayIPcLm3EE23TrivialOffsetCalculatorILi2EjESA_ILi1EjENS0_6memory12LoadWithCastILi2EEENSD_13StoreWithCastILi1EEEN3c104HalfEJSJ_fEEEviT0_T1_T2_T3_T4_T5_,"axG",@progbits,_ZN2at6native39vectorized_templated_elementwise_kernelILi4EZZZNS0_12prelu_kernelERNS_14TensorIteratorEENKUlvE_clEvENKUlvE0_clEvEUlffE_St5arrayIPcLm3EE23TrivialOffsetCalculatorILi2EjESA_ILi1EjENS0_6memory12LoadWithCastILi2EEENSD_13StoreWithCastILi1EEEN3c104HalfEJSJ_fEEEviT0_T1_T2_T3_T4_T5_,comdat
	.globl	_ZN2at6native39vectorized_templated_elementwise_kernelILi4EZZZNS0_12prelu_kernelERNS_14TensorIteratorEENKUlvE_clEvENKUlvE0_clEvEUlffE_St5arrayIPcLm3EE23TrivialOffsetCalculatorILi2EjESA_ILi1EjENS0_6memory12LoadWithCastILi2EEENSD_13StoreWithCastILi1EEEN3c104HalfEJSJ_fEEEviT0_T1_T2_T3_T4_T5_ ; -- Begin function _ZN2at6native39vectorized_templated_elementwise_kernelILi4EZZZNS0_12prelu_kernelERNS_14TensorIteratorEENKUlvE_clEvENKUlvE0_clEvEUlffE_St5arrayIPcLm3EE23TrivialOffsetCalculatorILi2EjESA_ILi1EjENS0_6memory12LoadWithCastILi2EEENSD_13StoreWithCastILi1EEEN3c104HalfEJSJ_fEEEviT0_T1_T2_T3_T4_T5_
	.p2align	8
	.type	_ZN2at6native39vectorized_templated_elementwise_kernelILi4EZZZNS0_12prelu_kernelERNS_14TensorIteratorEENKUlvE_clEvENKUlvE0_clEvEUlffE_St5arrayIPcLm3EE23TrivialOffsetCalculatorILi2EjESA_ILi1EjENS0_6memory12LoadWithCastILi2EEENSD_13StoreWithCastILi1EEEN3c104HalfEJSJ_fEEEviT0_T1_T2_T3_T4_T5_,@function
_ZN2at6native39vectorized_templated_elementwise_kernelILi4EZZZNS0_12prelu_kernelERNS_14TensorIteratorEENKUlvE_clEvENKUlvE0_clEvEUlffE_St5arrayIPcLm3EE23TrivialOffsetCalculatorILi2EjESA_ILi1EjENS0_6memory12LoadWithCastILi2EEENSD_13StoreWithCastILi1EEEN3c104HalfEJSJ_fEEEviT0_T1_T2_T3_T4_T5_: ; @_ZN2at6native39vectorized_templated_elementwise_kernelILi4EZZZNS0_12prelu_kernelERNS_14TensorIteratorEENKUlvE_clEvENKUlvE0_clEvEUlffE_St5arrayIPcLm3EE23TrivialOffsetCalculatorILi2EjESA_ILi1EjENS0_6memory12LoadWithCastILi2EEENSD_13StoreWithCastILi1EEEN3c104HalfEJSJ_fEEEviT0_T1_T2_T3_T4_T5_
; %bb.0:
	s_clause 0x2
	s_load_b32 s8, s[0:1], 0x38
	s_load_b32 s9, s[0:1], 0x0
	s_load_b64 s[2:3], s[0:1], 0x18
	s_bfe_u32 s10, ttmp6, 0x4000c
	s_load_b128 s[4:7], s[0:1], 0x8
	s_add_co_i32 s10, s10, 1
	s_and_b32 s11, ttmp6, 15
	s_mul_i32 s10, ttmp9, s10
	s_getreg_b32 s12, hwreg(HW_REG_IB_STS2, 6, 4)
	s_add_co_i32 s11, s11, s10
	s_cmp_eq_u32 s12, 0
	s_mov_b32 s32, 0
	s_cselect_b32 s10, ttmp9, s11
	s_mov_b32 s11, -1
	s_not_b32 s10, s10
	s_wait_kmcnt 0x0
	s_add_co_i32 s8, s8, s10
	s_delay_alu instid0(SALU_CYCLE_1) | instskip(NEXT) | instid1(SALU_CYCLE_1)
	s_lshl_b32 s10, s8, 14
	s_sub_co_i32 s12, s9, s10
	s_delay_alu instid0(SALU_CYCLE_1)
	s_cmp_gt_i32 s12, 0x3fff
	s_cbranch_scc1 .LBB31_3
; %bb.1:
	s_and_not1_b32 vcc_lo, exec_lo, s11
	s_cbranch_vccz .LBB31_4
.LBB31_2:
	s_sendmsg sendmsg(MSG_DEALLOC_VGPRS)
	s_endpgm
.LBB31_3:
	s_ashr_i32 s11, s10, 31
	s_delay_alu instid0(SALU_CYCLE_1)
	s_lshl_b64 s[8:9], s[10:11], 1
	s_lshl_b64 s[10:11], s[10:11], 2
	s_add_nc_u64 s[14:15], s[6:7], s[8:9]
	s_add_nc_u64 s[10:11], s[2:3], s[10:11]
	s_clause 0xf
	global_load_b64 v[16:17], v0, s[14:15] scale_offset
	global_load_b64 v[2:3], v0, s[14:15] offset:4096 scale_offset
	global_load_b64 v[6:7], v0, s[14:15] offset:8192 scale_offset
	;; [unrolled: 1-line block ×3, first 2 shown]
	global_load_b128 v[18:21], v0, s[10:11] scale_offset
	global_load_b128 v[22:25], v0, s[10:11] offset:8192 scale_offset
	global_load_b128 v[26:29], v0, s[10:11] offset:16384 scale_offset
	;; [unrolled: 1-line block ×7, first 2 shown]
	global_load_b64 v[14:15], v0, s[14:15] offset:16384 scale_offset
	global_load_b64 v[12:13], v0, s[14:15] offset:20480 scale_offset
	;; [unrolled: 1-line block ×4, first 2 shown]
	s_add_nc_u64 s[8:9], s[4:5], s[8:9]
	s_wait_xcnt 0x4
	s_wait_loadcnt 0xc
	v_dual_lshrrev_b32 v55, 16, v4 :: v_dual_lshrrev_b32 v56, 16, v5
	s_wait_loadcnt 0xb
	v_cvt_f16_f32_e32 v18, v18
	v_cvt_f16_f32_e32 v20, v20
	;; [unrolled: 1-line block ×4, first 2 shown]
	s_wait_loadcnt 0xa
	v_cvt_f16_f32_e32 v23, v23
	v_cvt_f16_f32_e32 v22, v22
	;; [unrolled: 1-line block ×3, first 2 shown]
	v_mul_f16_e32 v18, v16, v18
	v_cmp_lt_f16_e32 vcc_lo, 0, v16
	v_dual_lshrrev_b32 v1, 16, v16 :: v_dual_lshrrev_b32 v50, 16, v17
	v_mul_f16_e32 v20, v17, v20
	v_dual_lshrrev_b32 v51, 16, v2 :: v_dual_lshrrev_b32 v52, 16, v3
	s_wait_loadcnt 0x2
	v_dual_cndmask_b32 v16, v18, v16, vcc_lo :: v_dual_lshrrev_b32 v18, 16, v13
	v_cmp_lt_f16_e32 vcc_lo, 0, v17
	v_lshrrev_b32_e32 v59, 16, v12
	v_mul_f16_e32 v19, v1, v19
	v_mul_f16_e32 v21, v50, v21
	;; [unrolled: 1-line block ×3, first 2 shown]
	v_cndmask_b32_e32 v17, v20, v17, vcc_lo
	v_cmp_lt_f16_e32 vcc_lo, 0, v1
	s_wait_loadcnt 0x1
	v_lshrrev_b32_e32 v20, 16, v10
	v_mul_f16_e32 v22, v2, v22
	v_cvt_f16_f32_e32 v25, v25
	v_mul_f16_e32 v24, v3, v24
	v_cndmask_b32_e32 v1, v19, v1, vcc_lo
	v_cmp_lt_f16_e32 vcc_lo, 0, v50
	v_lshrrev_b32_e32 v19, 16, v11
	v_cvt_f16_f32_e32 v26, v26
	v_mul_f16_e32 v25, v52, v25
	v_dual_lshrrev_b32 v53, 16, v6 :: v_dual_lshrrev_b32 v54, 16, v7
	v_cndmask_b32_e32 v21, v21, v50, vcc_lo
	v_cmp_lt_f16_e32 vcc_lo, 0, v51
	s_wait_loadcnt 0x0
	v_lshrrev_b32_e32 v50, 16, v8
	v_cvt_f16_f32_e32 v27, v27
	v_mul_f16_e32 v26, v6, v26
	v_cvt_f16_f32_e32 v28, v28
	v_cndmask_b32_e32 v23, v23, v51, vcc_lo
	v_cmp_lt_f16_e32 vcc_lo, 0, v2
	v_lshrrev_b32_e32 v51, 16, v9
	v_mul_f16_e32 v27, v53, v27
	v_cvt_f16_f32_e32 v29, v29
	v_mul_f16_e32 v28, v7, v28
	v_cndmask_b32_e32 v22, v22, v2, vcc_lo
	v_cmp_lt_f16_e32 vcc_lo, 0, v3
	v_cvt_f16_f32_e32 v30, v30
	v_mul_f16_e32 v29, v54, v29
	v_cvt_f16_f32_e32 v31, v31
	v_cvt_f16_f32_e32 v32, v32
	v_cndmask_b32_e32 v24, v24, v3, vcc_lo
	v_cmp_lt_f16_e32 vcc_lo, 0, v52
	v_mul_f16_e32 v30, v4, v30
	v_mul_f16_e32 v31, v55, v31
	v_cvt_f16_f32_e32 v33, v33
	v_mul_f16_e32 v32, v5, v32
	v_cndmask_b32_e32 v25, v25, v52, vcc_lo
	v_cmp_lt_f16_e32 vcc_lo, 0, v6
	v_cvt_f16_f32_e32 v34, v34
	v_mul_f16_e32 v33, v56, v33
	v_cvt_f16_f32_e32 v35, v35
	v_dual_lshrrev_b32 v57, 16, v14 :: v_dual_lshrrev_b32 v58, 16, v15
	v_cndmask_b32_e32 v6, v26, v6, vcc_lo
	v_cmp_lt_f16_e32 vcc_lo, 0, v53
	v_mul_f16_e32 v34, v14, v34
	v_cvt_f16_f32_e32 v36, v36
	v_mul_f16_e32 v35, v57, v35
	v_cvt_f16_f32_e32 v37, v37
	v_cndmask_b32_e32 v26, v27, v53, vcc_lo
	v_cmp_lt_f16_e32 vcc_lo, 0, v7
	v_mul_f16_e32 v36, v15, v36
	v_cvt_f16_f32_e32 v38, v38
	v_mul_f16_e32 v37, v58, v37
	v_cvt_f16_f32_e32 v39, v39
	;; [unrolled: 6-line block ×5, first 2 shown]
	v_cndmask_b32_e32 v29, v31, v55, vcc_lo
	v_cmp_lt_f16_e32 vcc_lo, 0, v5
	v_cvt_f16_f32_e32 v46, v46
	v_mul_f16_e32 v44, v11, v44
	v_cvt_f16_f32_e32 v47, v47
	v_mul_f16_e32 v45, v19, v45
	v_cndmask_b32_e32 v30, v32, v5, vcc_lo
	v_cmp_lt_f16_e32 vcc_lo, 0, v56
	v_mul_f16_e32 v46, v8, v46
	v_mul_f16_e32 v47, v50, v47
	v_cvt_f16_f32_e32 v48, v48
	v_cvt_f16_f32_e32 v49, v49
	v_cndmask_b32_e32 v31, v33, v56, vcc_lo
	v_cmp_lt_f16_e32 vcc_lo, 0, v14
	v_perm_b32 v3, v21, v17, 0x5040100
	v_mul_f16_e32 v48, v9, v48
	v_mul_f16_e32 v49, v51, v49
	v_perm_b32 v2, v1, v16, 0x5040100
	v_cndmask_b32_e32 v14, v34, v14, vcc_lo
	v_cmp_lt_f16_e32 vcc_lo, 0, v57
	v_perm_b32 v5, v25, v24, 0x5040100
	v_perm_b32 v4, v23, v22, 0x5040100
	;; [unrolled: 1-line block ×4, first 2 shown]
	v_cndmask_b32_e32 v32, v35, v57, vcc_lo
	v_cmp_lt_f16_e32 vcc_lo, 0, v15
	v_cndmask_b32_e32 v15, v36, v15, vcc_lo
	v_cmp_lt_f16_e32 vcc_lo, 0, v58
	;; [unrolled: 2-line block ×5, first 2 shown]
	s_delay_alu instid0(VALU_DEP_2) | instskip(SKIP_4) | instid1(VALU_DEP_2)
	v_perm_b32 v12, v34, v12, 0x5040100
	v_cndmask_b32_e32 v13, v40, v13, vcc_lo
	v_cmp_lt_f16_e32 vcc_lo, 0, v18
	v_cndmask_b32_e32 v18, v41, v18, vcc_lo
	v_cmp_lt_f16_e32 vcc_lo, 0, v10
	v_perm_b32 v13, v18, v13, 0x5040100
	v_cndmask_b32_e32 v35, v42, v10, vcc_lo
	v_cmp_lt_f16_e32 vcc_lo, 0, v20
	v_perm_b32 v10, v32, v14, 0x5040100
	v_cndmask_b32_e32 v20, v43, v20, vcc_lo
	v_cmp_lt_f16_e32 vcc_lo, 0, v11
	s_delay_alu instid0(VALU_DEP_2)
	v_perm_b32 v14, v20, v35, 0x5040100
	v_cndmask_b32_e32 v36, v44, v11, vcc_lo
	v_cmp_lt_f16_e32 vcc_lo, 0, v19
	v_perm_b32 v11, v33, v15, 0x5040100
	v_cndmask_b32_e32 v19, v45, v19, vcc_lo
	v_cmp_lt_f16_e32 vcc_lo, 0, v8
	v_cndmask_b32_e32 v37, v46, v8, vcc_lo
	v_cmp_lt_f16_e32 vcc_lo, 0, v50
	v_perm_b32 v8, v29, v28, 0x5040100
	v_cndmask_b32_e32 v38, v47, v50, vcc_lo
	v_cmp_lt_f16_e32 vcc_lo, 0, v9
	v_perm_b32 v15, v19, v36, 0x5040100
	s_delay_alu instid0(VALU_DEP_3) | instskip(SKIP_4) | instid1(VALU_DEP_1)
	v_perm_b32 v16, v38, v37, 0x5040100
	v_cndmask_b32_e32 v39, v48, v9, vcc_lo
	v_cmp_lt_f16_e32 vcc_lo, 0, v51
	v_perm_b32 v9, v31, v30, 0x5040100
	v_cndmask_b32_e32 v40, v49, v51, vcc_lo
	v_perm_b32 v17, v40, v39, 0x5040100
	s_clause 0x7
	global_store_b64 v0, v[2:3], s[8:9] scale_offset
	global_store_b64 v0, v[4:5], s[8:9] offset:4096 scale_offset
	global_store_b64 v0, v[6:7], s[8:9] offset:8192 scale_offset
	;; [unrolled: 1-line block ×7, first 2 shown]
	s_cbranch_execnz .LBB31_2
.LBB31_4:
	s_clause 0x1
	s_load_b32 s10, s[0:1], 0x24
	s_load_b128 s[16:19], s[0:1], 0x28
	v_dual_mov_b32 v31, v0 :: v_dual_mov_b32 v0, s4
	v_dual_mov_b32 v1, s5 :: v_dual_mov_b32 v2, s6
	;; [unrolled: 1-line block ×4, first 2 shown]
	s_add_nc_u64 s[8:9], s[0:1], 56
	s_wait_xcnt 0x0
	s_get_pc_i64 s[0:1]
	s_add_nc_u64 s[0:1], s[0:1], _ZN2at6native25elementwise_kernel_helperILb1EZZZNS0_12prelu_kernelERNS_14TensorIteratorEENKUlvE_clEvENKUlvE0_clEvEUlffE_NS0_6memory8policies11unroll_baseILi512ESt5arrayIPcLm3EE23TrivialOffsetCalculatorILi2EjESD_ILi1EjENS7_12LoadWithCastILi2EEENS7_13StoreWithCastILi1EEELi32ELi1EEEEEvT0_T1_@rel64+4
	s_wait_kmcnt 0x0
	s_bfe_u32 s11, s10, 0x80008
	v_dual_mov_b32 v7, s10 :: v_dual_mov_b32 v9, s16
	v_dual_mov_b32 v10, s17 :: v_dual_mov_b32 v11, s18
	;; [unrolled: 1-line block ×3, first 2 shown]
	s_swap_pc_i64 s[30:31], s[0:1]
	s_endpgm
	.section	.rodata,"a",@progbits
	.p2align	6, 0x0
	.amdhsa_kernel _ZN2at6native39vectorized_templated_elementwise_kernelILi4EZZZNS0_12prelu_kernelERNS_14TensorIteratorEENKUlvE_clEvENKUlvE0_clEvEUlffE_St5arrayIPcLm3EE23TrivialOffsetCalculatorILi2EjESA_ILi1EjENS0_6memory12LoadWithCastILi2EEENSD_13StoreWithCastILi1EEEN3c104HalfEJSJ_fEEEviT0_T1_T2_T3_T4_T5_
		.amdhsa_group_segment_fixed_size 0
		.amdhsa_private_segment_fixed_size 272
		.amdhsa_kernarg_size 312
		.amdhsa_user_sgpr_count 2
		.amdhsa_user_sgpr_dispatch_ptr 0
		.amdhsa_user_sgpr_queue_ptr 0
		.amdhsa_user_sgpr_kernarg_segment_ptr 1
		.amdhsa_user_sgpr_dispatch_id 0
		.amdhsa_user_sgpr_kernarg_preload_length 0
		.amdhsa_user_sgpr_kernarg_preload_offset 0
		.amdhsa_user_sgpr_private_segment_size 0
		.amdhsa_wavefront_size32 1
		.amdhsa_uses_dynamic_stack 0
		.amdhsa_enable_private_segment 1
		.amdhsa_system_sgpr_workgroup_id_x 1
		.amdhsa_system_sgpr_workgroup_id_y 0
		.amdhsa_system_sgpr_workgroup_id_z 0
		.amdhsa_system_sgpr_workgroup_info 0
		.amdhsa_system_vgpr_workitem_id 0
		.amdhsa_next_free_vgpr 120
		.amdhsa_next_free_sgpr 96
		.amdhsa_named_barrier_count 0
		.amdhsa_reserve_vcc 1
		.amdhsa_float_round_mode_32 0
		.amdhsa_float_round_mode_16_64 0
		.amdhsa_float_denorm_mode_32 3
		.amdhsa_float_denorm_mode_16_64 3
		.amdhsa_fp16_overflow 0
		.amdhsa_memory_ordered 1
		.amdhsa_forward_progress 1
		.amdhsa_inst_pref_size 12
		.amdhsa_round_robin_scheduling 0
		.amdhsa_exception_fp_ieee_invalid_op 0
		.amdhsa_exception_fp_denorm_src 0
		.amdhsa_exception_fp_ieee_div_zero 0
		.amdhsa_exception_fp_ieee_overflow 0
		.amdhsa_exception_fp_ieee_underflow 0
		.amdhsa_exception_fp_ieee_inexact 0
		.amdhsa_exception_int_div_zero 0
	.end_amdhsa_kernel
	.section	.text._ZN2at6native39vectorized_templated_elementwise_kernelILi4EZZZNS0_12prelu_kernelERNS_14TensorIteratorEENKUlvE_clEvENKUlvE0_clEvEUlffE_St5arrayIPcLm3EE23TrivialOffsetCalculatorILi2EjESA_ILi1EjENS0_6memory12LoadWithCastILi2EEENSD_13StoreWithCastILi1EEEN3c104HalfEJSJ_fEEEviT0_T1_T2_T3_T4_T5_,"axG",@progbits,_ZN2at6native39vectorized_templated_elementwise_kernelILi4EZZZNS0_12prelu_kernelERNS_14TensorIteratorEENKUlvE_clEvENKUlvE0_clEvEUlffE_St5arrayIPcLm3EE23TrivialOffsetCalculatorILi2EjESA_ILi1EjENS0_6memory12LoadWithCastILi2EEENSD_13StoreWithCastILi1EEEN3c104HalfEJSJ_fEEEviT0_T1_T2_T3_T4_T5_,comdat
.Lfunc_end31:
	.size	_ZN2at6native39vectorized_templated_elementwise_kernelILi4EZZZNS0_12prelu_kernelERNS_14TensorIteratorEENKUlvE_clEvENKUlvE0_clEvEUlffE_St5arrayIPcLm3EE23TrivialOffsetCalculatorILi2EjESA_ILi1EjENS0_6memory12LoadWithCastILi2EEENSD_13StoreWithCastILi1EEEN3c104HalfEJSJ_fEEEviT0_T1_T2_T3_T4_T5_, .Lfunc_end31-_ZN2at6native39vectorized_templated_elementwise_kernelILi4EZZZNS0_12prelu_kernelERNS_14TensorIteratorEENKUlvE_clEvENKUlvE0_clEvEUlffE_St5arrayIPcLm3EE23TrivialOffsetCalculatorILi2EjESA_ILi1EjENS0_6memory12LoadWithCastILi2EEENSD_13StoreWithCastILi1EEEN3c104HalfEJSJ_fEEEviT0_T1_T2_T3_T4_T5_
                                        ; -- End function
	.set _ZN2at6native39vectorized_templated_elementwise_kernelILi4EZZZNS0_12prelu_kernelERNS_14TensorIteratorEENKUlvE_clEvENKUlvE0_clEvEUlffE_St5arrayIPcLm3EE23TrivialOffsetCalculatorILi2EjESA_ILi1EjENS0_6memory12LoadWithCastILi2EEENSD_13StoreWithCastILi1EEEN3c104HalfEJSJ_fEEEviT0_T1_T2_T3_T4_T5_.num_vgpr, max(60, .L_ZN2at6native25elementwise_kernel_helperILb1EZZZNS0_12prelu_kernelERNS_14TensorIteratorEENKUlvE_clEvENKUlvE0_clEvEUlffE_NS0_6memory8policies11unroll_baseILi512ESt5arrayIPcLm3EE23TrivialOffsetCalculatorILi2EjESD_ILi1EjENS7_12LoadWithCastILi2EEENS7_13StoreWithCastILi1EEELi32ELi1EEEEEvT0_T1_.num_vgpr)
	.set _ZN2at6native39vectorized_templated_elementwise_kernelILi4EZZZNS0_12prelu_kernelERNS_14TensorIteratorEENKUlvE_clEvENKUlvE0_clEvEUlffE_St5arrayIPcLm3EE23TrivialOffsetCalculatorILi2EjESA_ILi1EjENS0_6memory12LoadWithCastILi2EEENSD_13StoreWithCastILi1EEEN3c104HalfEJSJ_fEEEviT0_T1_T2_T3_T4_T5_.num_agpr, max(0, .L_ZN2at6native25elementwise_kernel_helperILb1EZZZNS0_12prelu_kernelERNS_14TensorIteratorEENKUlvE_clEvENKUlvE0_clEvEUlffE_NS0_6memory8policies11unroll_baseILi512ESt5arrayIPcLm3EE23TrivialOffsetCalculatorILi2EjESD_ILi1EjENS7_12LoadWithCastILi2EEENS7_13StoreWithCastILi1EEELi32ELi1EEEEEvT0_T1_.num_agpr)
	.set _ZN2at6native39vectorized_templated_elementwise_kernelILi4EZZZNS0_12prelu_kernelERNS_14TensorIteratorEENKUlvE_clEvENKUlvE0_clEvEUlffE_St5arrayIPcLm3EE23TrivialOffsetCalculatorILi2EjESA_ILi1EjENS0_6memory12LoadWithCastILi2EEENSD_13StoreWithCastILi1EEEN3c104HalfEJSJ_fEEEviT0_T1_T2_T3_T4_T5_.numbered_sgpr, max(33, .L_ZN2at6native25elementwise_kernel_helperILb1EZZZNS0_12prelu_kernelERNS_14TensorIteratorEENKUlvE_clEvENKUlvE0_clEvEUlffE_NS0_6memory8policies11unroll_baseILi512ESt5arrayIPcLm3EE23TrivialOffsetCalculatorILi2EjESD_ILi1EjENS7_12LoadWithCastILi2EEENS7_13StoreWithCastILi1EEELi32ELi1EEEEEvT0_T1_.numbered_sgpr)
	.set _ZN2at6native39vectorized_templated_elementwise_kernelILi4EZZZNS0_12prelu_kernelERNS_14TensorIteratorEENKUlvE_clEvENKUlvE0_clEvEUlffE_St5arrayIPcLm3EE23TrivialOffsetCalculatorILi2EjESA_ILi1EjENS0_6memory12LoadWithCastILi2EEENSD_13StoreWithCastILi1EEEN3c104HalfEJSJ_fEEEviT0_T1_T2_T3_T4_T5_.num_named_barrier, max(0, .L_ZN2at6native25elementwise_kernel_helperILb1EZZZNS0_12prelu_kernelERNS_14TensorIteratorEENKUlvE_clEvENKUlvE0_clEvEUlffE_NS0_6memory8policies11unroll_baseILi512ESt5arrayIPcLm3EE23TrivialOffsetCalculatorILi2EjESD_ILi1EjENS7_12LoadWithCastILi2EEENS7_13StoreWithCastILi1EEELi32ELi1EEEEEvT0_T1_.num_named_barrier)
	.set _ZN2at6native39vectorized_templated_elementwise_kernelILi4EZZZNS0_12prelu_kernelERNS_14TensorIteratorEENKUlvE_clEvENKUlvE0_clEvEUlffE_St5arrayIPcLm3EE23TrivialOffsetCalculatorILi2EjESA_ILi1EjENS0_6memory12LoadWithCastILi2EEENSD_13StoreWithCastILi1EEEN3c104HalfEJSJ_fEEEviT0_T1_T2_T3_T4_T5_.private_seg_size, 0+max(.L_ZN2at6native25elementwise_kernel_helperILb1EZZZNS0_12prelu_kernelERNS_14TensorIteratorEENKUlvE_clEvENKUlvE0_clEvEUlffE_NS0_6memory8policies11unroll_baseILi512ESt5arrayIPcLm3EE23TrivialOffsetCalculatorILi2EjESD_ILi1EjENS7_12LoadWithCastILi2EEENS7_13StoreWithCastILi1EEELi32ELi1EEEEEvT0_T1_.private_seg_size)
	.set _ZN2at6native39vectorized_templated_elementwise_kernelILi4EZZZNS0_12prelu_kernelERNS_14TensorIteratorEENKUlvE_clEvENKUlvE0_clEvEUlffE_St5arrayIPcLm3EE23TrivialOffsetCalculatorILi2EjESA_ILi1EjENS0_6memory12LoadWithCastILi2EEENSD_13StoreWithCastILi1EEEN3c104HalfEJSJ_fEEEviT0_T1_T2_T3_T4_T5_.uses_vcc, or(1, .L_ZN2at6native25elementwise_kernel_helperILb1EZZZNS0_12prelu_kernelERNS_14TensorIteratorEENKUlvE_clEvENKUlvE0_clEvEUlffE_NS0_6memory8policies11unroll_baseILi512ESt5arrayIPcLm3EE23TrivialOffsetCalculatorILi2EjESD_ILi1EjENS7_12LoadWithCastILi2EEENS7_13StoreWithCastILi1EEELi32ELi1EEEEEvT0_T1_.uses_vcc)
	.set _ZN2at6native39vectorized_templated_elementwise_kernelILi4EZZZNS0_12prelu_kernelERNS_14TensorIteratorEENKUlvE_clEvENKUlvE0_clEvEUlffE_St5arrayIPcLm3EE23TrivialOffsetCalculatorILi2EjESA_ILi1EjENS0_6memory12LoadWithCastILi2EEENSD_13StoreWithCastILi1EEEN3c104HalfEJSJ_fEEEviT0_T1_T2_T3_T4_T5_.uses_flat_scratch, or(0, .L_ZN2at6native25elementwise_kernel_helperILb1EZZZNS0_12prelu_kernelERNS_14TensorIteratorEENKUlvE_clEvENKUlvE0_clEvEUlffE_NS0_6memory8policies11unroll_baseILi512ESt5arrayIPcLm3EE23TrivialOffsetCalculatorILi2EjESD_ILi1EjENS7_12LoadWithCastILi2EEENS7_13StoreWithCastILi1EEELi32ELi1EEEEEvT0_T1_.uses_flat_scratch)
	.set _ZN2at6native39vectorized_templated_elementwise_kernelILi4EZZZNS0_12prelu_kernelERNS_14TensorIteratorEENKUlvE_clEvENKUlvE0_clEvEUlffE_St5arrayIPcLm3EE23TrivialOffsetCalculatorILi2EjESA_ILi1EjENS0_6memory12LoadWithCastILi2EEENSD_13StoreWithCastILi1EEEN3c104HalfEJSJ_fEEEviT0_T1_T2_T3_T4_T5_.has_dyn_sized_stack, or(0, .L_ZN2at6native25elementwise_kernel_helperILb1EZZZNS0_12prelu_kernelERNS_14TensorIteratorEENKUlvE_clEvENKUlvE0_clEvEUlffE_NS0_6memory8policies11unroll_baseILi512ESt5arrayIPcLm3EE23TrivialOffsetCalculatorILi2EjESD_ILi1EjENS7_12LoadWithCastILi2EEENS7_13StoreWithCastILi1EEELi32ELi1EEEEEvT0_T1_.has_dyn_sized_stack)
	.set _ZN2at6native39vectorized_templated_elementwise_kernelILi4EZZZNS0_12prelu_kernelERNS_14TensorIteratorEENKUlvE_clEvENKUlvE0_clEvEUlffE_St5arrayIPcLm3EE23TrivialOffsetCalculatorILi2EjESA_ILi1EjENS0_6memory12LoadWithCastILi2EEENSD_13StoreWithCastILi1EEEN3c104HalfEJSJ_fEEEviT0_T1_T2_T3_T4_T5_.has_recursion, or(0, .L_ZN2at6native25elementwise_kernel_helperILb1EZZZNS0_12prelu_kernelERNS_14TensorIteratorEENKUlvE_clEvENKUlvE0_clEvEUlffE_NS0_6memory8policies11unroll_baseILi512ESt5arrayIPcLm3EE23TrivialOffsetCalculatorILi2EjESD_ILi1EjENS7_12LoadWithCastILi2EEENS7_13StoreWithCastILi1EEELi32ELi1EEEEEvT0_T1_.has_recursion)
	.set _ZN2at6native39vectorized_templated_elementwise_kernelILi4EZZZNS0_12prelu_kernelERNS_14TensorIteratorEENKUlvE_clEvENKUlvE0_clEvEUlffE_St5arrayIPcLm3EE23TrivialOffsetCalculatorILi2EjESA_ILi1EjENS0_6memory12LoadWithCastILi2EEENSD_13StoreWithCastILi1EEEN3c104HalfEJSJ_fEEEviT0_T1_T2_T3_T4_T5_.has_indirect_call, or(0, .L_ZN2at6native25elementwise_kernel_helperILb1EZZZNS0_12prelu_kernelERNS_14TensorIteratorEENKUlvE_clEvENKUlvE0_clEvEUlffE_NS0_6memory8policies11unroll_baseILi512ESt5arrayIPcLm3EE23TrivialOffsetCalculatorILi2EjESD_ILi1EjENS7_12LoadWithCastILi2EEENS7_13StoreWithCastILi1EEELi32ELi1EEEEEvT0_T1_.has_indirect_call)
	.section	.AMDGPU.csdata,"",@progbits
; Kernel info:
; codeLenInByte = 1424
; TotalNumSgprs: 98
; NumVgprs: 120
; ScratchSize: 272
; MemoryBound: 0
; FloatMode: 240
; IeeeMode: 1
; LDSByteSize: 0 bytes/workgroup (compile time only)
; SGPRBlocks: 0
; VGPRBlocks: 7
; NumSGPRsForWavesPerEU: 98
; NumVGPRsForWavesPerEU: 120
; NamedBarCnt: 0
; Occupancy: 8
; WaveLimiterHint : 1
; COMPUTE_PGM_RSRC2:SCRATCH_EN: 1
; COMPUTE_PGM_RSRC2:USER_SGPR: 2
; COMPUTE_PGM_RSRC2:TRAP_HANDLER: 0
; COMPUTE_PGM_RSRC2:TGID_X_EN: 1
; COMPUTE_PGM_RSRC2:TGID_Y_EN: 0
; COMPUTE_PGM_RSRC2:TGID_Z_EN: 0
; COMPUTE_PGM_RSRC2:TIDIG_COMP_CNT: 0
	.section	.text._ZN2at6native39vectorized_templated_elementwise_kernelILi2EZZZNS0_12prelu_kernelERNS_14TensorIteratorEENKUlvE_clEvENKUlvE0_clEvEUlffE_St5arrayIPcLm3EE23TrivialOffsetCalculatorILi2EjESA_ILi1EjENS0_6memory12LoadWithCastILi2EEENSD_13StoreWithCastILi1EEEN3c104HalfEJSJ_fEEEviT0_T1_T2_T3_T4_T5_,"axG",@progbits,_ZN2at6native39vectorized_templated_elementwise_kernelILi2EZZZNS0_12prelu_kernelERNS_14TensorIteratorEENKUlvE_clEvENKUlvE0_clEvEUlffE_St5arrayIPcLm3EE23TrivialOffsetCalculatorILi2EjESA_ILi1EjENS0_6memory12LoadWithCastILi2EEENSD_13StoreWithCastILi1EEEN3c104HalfEJSJ_fEEEviT0_T1_T2_T3_T4_T5_,comdat
	.globl	_ZN2at6native39vectorized_templated_elementwise_kernelILi2EZZZNS0_12prelu_kernelERNS_14TensorIteratorEENKUlvE_clEvENKUlvE0_clEvEUlffE_St5arrayIPcLm3EE23TrivialOffsetCalculatorILi2EjESA_ILi1EjENS0_6memory12LoadWithCastILi2EEENSD_13StoreWithCastILi1EEEN3c104HalfEJSJ_fEEEviT0_T1_T2_T3_T4_T5_ ; -- Begin function _ZN2at6native39vectorized_templated_elementwise_kernelILi2EZZZNS0_12prelu_kernelERNS_14TensorIteratorEENKUlvE_clEvENKUlvE0_clEvEUlffE_St5arrayIPcLm3EE23TrivialOffsetCalculatorILi2EjESA_ILi1EjENS0_6memory12LoadWithCastILi2EEENSD_13StoreWithCastILi1EEEN3c104HalfEJSJ_fEEEviT0_T1_T2_T3_T4_T5_
	.p2align	8
	.type	_ZN2at6native39vectorized_templated_elementwise_kernelILi2EZZZNS0_12prelu_kernelERNS_14TensorIteratorEENKUlvE_clEvENKUlvE0_clEvEUlffE_St5arrayIPcLm3EE23TrivialOffsetCalculatorILi2EjESA_ILi1EjENS0_6memory12LoadWithCastILi2EEENSD_13StoreWithCastILi1EEEN3c104HalfEJSJ_fEEEviT0_T1_T2_T3_T4_T5_,@function
_ZN2at6native39vectorized_templated_elementwise_kernelILi2EZZZNS0_12prelu_kernelERNS_14TensorIteratorEENKUlvE_clEvENKUlvE0_clEvEUlffE_St5arrayIPcLm3EE23TrivialOffsetCalculatorILi2EjESA_ILi1EjENS0_6memory12LoadWithCastILi2EEENSD_13StoreWithCastILi1EEEN3c104HalfEJSJ_fEEEviT0_T1_T2_T3_T4_T5_: ; @_ZN2at6native39vectorized_templated_elementwise_kernelILi2EZZZNS0_12prelu_kernelERNS_14TensorIteratorEENKUlvE_clEvENKUlvE0_clEvEUlffE_St5arrayIPcLm3EE23TrivialOffsetCalculatorILi2EjESA_ILi1EjENS0_6memory12LoadWithCastILi2EEENSD_13StoreWithCastILi1EEEN3c104HalfEJSJ_fEEEviT0_T1_T2_T3_T4_T5_
; %bb.0:
	s_clause 0x2
	s_load_b32 s8, s[0:1], 0x38
	s_load_b32 s9, s[0:1], 0x0
	s_load_b64 s[2:3], s[0:1], 0x18
	s_bfe_u32 s10, ttmp6, 0x4000c
	s_load_b128 s[4:7], s[0:1], 0x8
	s_add_co_i32 s10, s10, 1
	s_and_b32 s11, ttmp6, 15
	s_mul_i32 s10, ttmp9, s10
	s_getreg_b32 s12, hwreg(HW_REG_IB_STS2, 6, 4)
	s_add_co_i32 s11, s11, s10
	s_cmp_eq_u32 s12, 0
	s_mov_b32 s32, 0
	s_cselect_b32 s10, ttmp9, s11
	s_mov_b32 s11, -1
	s_not_b32 s10, s10
	s_wait_kmcnt 0x0
	s_add_co_i32 s8, s8, s10
	s_delay_alu instid0(SALU_CYCLE_1) | instskip(NEXT) | instid1(SALU_CYCLE_1)
	s_lshl_b32 s10, s8, 14
	s_sub_co_i32 s12, s9, s10
	s_delay_alu instid0(SALU_CYCLE_1)
	s_cmp_gt_i32 s12, 0x3fff
	s_cbranch_scc1 .LBB32_3
; %bb.1:
	s_and_not1_b32 vcc_lo, exec_lo, s11
	s_cbranch_vccz .LBB32_4
.LBB32_2:
	s_sendmsg sendmsg(MSG_DEALLOC_VGPRS)
	s_endpgm
.LBB32_3:
	s_ashr_i32 s11, s10, 31
	s_delay_alu instid0(SALU_CYCLE_1)
	s_lshl_b64 s[8:9], s[10:11], 1
	s_lshl_b64 s[10:11], s[10:11], 2
	s_add_nc_u64 s[14:15], s[6:7], s[8:9]
	s_add_nc_u64 s[10:11], s[2:3], s[10:11]
	s_clause 0x1f
	global_load_b32 v1, v0, s[14:15] scale_offset
	global_load_b32 v34, v0, s[14:15] offset:2048 scale_offset
	global_load_b32 v35, v0, s[14:15] offset:4096 scale_offset
	global_load_b32 v36, v0, s[14:15] offset:6144 scale_offset
	global_load_b32 v37, v0, s[14:15] offset:8192 scale_offset
	global_load_b32 v38, v0, s[14:15] offset:10240 scale_offset
	global_load_b32 v39, v0, s[14:15] offset:12288 scale_offset
	global_load_b32 v40, v0, s[14:15] offset:14336 scale_offset
	global_load_b32 v41, v0, s[14:15] offset:16384 scale_offset
	global_load_b32 v42, v0, s[14:15] offset:18432 scale_offset
	global_load_b64 v[2:3], v0, s[10:11] scale_offset
	global_load_b64 v[4:5], v0, s[10:11] offset:4096 scale_offset
	global_load_b64 v[6:7], v0, s[10:11] offset:8192 scale_offset
	;; [unrolled: 1-line block ×15, first 2 shown]
	global_load_b32 v43, v0, s[14:15] offset:20480 scale_offset
	global_load_b32 v44, v0, s[14:15] offset:22528 scale_offset
	global_load_b32 v45, v0, s[14:15] offset:24576 scale_offset
	global_load_b32 v46, v0, s[14:15] offset:26624 scale_offset
	; meta instruction
	global_load_b32 v47, v0, s[14:15] offset:28672 scale_offset
	global_load_b32 v48, v0, s[14:15] offset:30720 scale_offset
	s_add_nc_u64 s[8:9], s[4:5], s[8:9]
	s_wait_xcnt 0x6
	s_wait_loadcnt 0x1e
	v_dual_lshrrev_b32 v49, 16, v1 :: v_dual_lshrrev_b32 v50, 16, v34
	v_cmp_lt_f16_e32 vcc_lo, 0, v1
	s_wait_loadcnt 0x1c
	v_dual_lshrrev_b32 v51, 16, v35 :: v_dual_lshrrev_b32 v52, 16, v36
	s_wait_loadcnt 0x1a
	v_dual_lshrrev_b32 v53, 16, v37 :: v_dual_lshrrev_b32 v54, 16, v38
	;; [unrolled: 2-line block ×4, first 2 shown]
	s_wait_loadcnt 0x15
	v_cvt_f16_f32_e32 v2, v2
	v_cvt_f16_f32_e32 v3, v3
	s_wait_loadcnt 0x14
	v_cvt_f16_f32_e32 v4, v4
	v_cvt_f16_f32_e32 v5, v5
	s_wait_loadcnt 0x13
	v_cvt_f16_f32_e32 v6, v6
	v_mul_f16_e32 v2, v1, v2
	v_mul_f16_e32 v3, v49, v3
	;; [unrolled: 1-line block ×4, first 2 shown]
	v_cvt_f16_f32_e32 v7, v7
	v_mul_f16_e32 v6, v35, v6
	s_wait_loadcnt 0x12
	v_cvt_f16_f32_e32 v8, v8
	v_cvt_f16_f32_e32 v9, v9
	s_wait_loadcnt 0x11
	v_cvt_f16_f32_e32 v10, v10
	v_mul_f16_e32 v7, v51, v7
	s_wait_loadcnt 0x5
	v_dual_lshrrev_b32 v59, 16, v43 :: v_dual_cndmask_b32 v1, v2, v1, vcc_lo
	v_cmp_lt_f16_e32 vcc_lo, 0, v49
	s_wait_loadcnt 0x4
	v_lshrrev_b32_e32 v2, 16, v44
	v_mul_f16_e32 v8, v36, v8
	v_cvt_f16_f32_e32 v11, v11
	v_mul_f16_e32 v9, v52, v9
	v_cndmask_b32_e32 v3, v3, v49, vcc_lo
	v_cmp_lt_f16_e32 vcc_lo, 0, v34
	s_wait_loadcnt 0x3
	v_lshrrev_b32_e32 v49, 16, v45
	v_mul_f16_e32 v10, v37, v10
	v_mul_f16_e32 v11, v53, v11
	v_cvt_f16_f32_e32 v12, v12
	v_cndmask_b32_e32 v4, v4, v34, vcc_lo
	v_cmp_lt_f16_e32 vcc_lo, 0, v50
	v_cvt_f16_f32_e32 v13, v13
	v_cvt_f16_f32_e32 v14, v14
	v_mul_f16_e32 v12, v38, v12
	v_cvt_f16_f32_e32 v15, v15
	v_cndmask_b32_e32 v5, v5, v50, vcc_lo
	v_cmp_lt_f16_e32 vcc_lo, 0, v35
	v_mul_f16_e32 v13, v54, v13
	v_mul_f16_e32 v14, v39, v14
	;; [unrolled: 1-line block ×3, first 2 shown]
	v_cvt_f16_f32_e32 v16, v16
	v_cndmask_b32_e32 v6, v6, v35, vcc_lo
	v_cmp_lt_f16_e32 vcc_lo, 0, v51
	s_wait_loadcnt 0x0
	v_lshrrev_b32_e32 v35, 16, v48
	v_cvt_f16_f32_e32 v17, v17
	v_cvt_f16_f32_e32 v18, v18
	v_mul_f16_e32 v16, v40, v16
	v_cndmask_b32_e32 v7, v7, v51, vcc_lo
	v_cmp_lt_f16_e32 vcc_lo, 0, v36
	v_cvt_f16_f32_e32 v19, v19
	v_mul_f16_e32 v17, v56, v17
	v_mul_f16_e32 v18, v41, v18
	v_cvt_f16_f32_e32 v20, v20
	v_cndmask_b32_e32 v8, v8, v36, vcc_lo
	v_cmp_lt_f16_e32 vcc_lo, 0, v52
	v_mul_f16_e32 v19, v57, v19
	v_cvt_f16_f32_e32 v21, v21
	v_cvt_f16_f32_e32 v22, v22
	v_mul_f16_e32 v20, v42, v20
	v_cndmask_b32_e32 v9, v9, v52, vcc_lo
	v_cmp_lt_f16_e32 vcc_lo, 0, v37
	v_cvt_f16_f32_e32 v23, v23
	v_mul_f16_e32 v21, v58, v21
	v_mul_f16_e32 v22, v43, v22
	v_cvt_f16_f32_e32 v24, v24
	v_cndmask_b32_e32 v10, v10, v37, vcc_lo
	v_cmp_lt_f16_e32 vcc_lo, 0, v53
	v_mul_f16_e32 v23, v59, v23
	v_cvt_f16_f32_e32 v25, v25
	v_mul_f16_e32 v24, v44, v24
	v_cvt_f16_f32_e32 v26, v26
	v_cndmask_b32_e32 v11, v11, v53, vcc_lo
	v_cmp_lt_f16_e32 vcc_lo, 0, v38
	v_mul_f16_e32 v25, v2, v25
	v_cvt_f16_f32_e32 v27, v27
	v_cvt_f16_f32_e32 v28, v28
	v_mul_f16_e32 v26, v45, v26
	v_cndmask_b32_e32 v12, v12, v38, vcc_lo
	v_cmp_lt_f16_e32 vcc_lo, 0, v54
	v_cvt_f16_f32_e32 v29, v29
	v_dual_lshrrev_b32 v34, 16, v46 :: v_dual_lshrrev_b32 v50, 16, v47
	v_mul_f16_e32 v27, v49, v27
	v_cndmask_b32_e32 v13, v13, v54, vcc_lo
	v_cmp_lt_f16_e32 vcc_lo, 0, v39
	v_mul_f16_e32 v28, v46, v28
	v_mul_f16_e32 v29, v34, v29
	v_cvt_f16_f32_e32 v30, v30
	v_cvt_f16_f32_e32 v31, v31
	v_cndmask_b32_e32 v14, v14, v39, vcc_lo
	v_cmp_lt_f16_e32 vcc_lo, 0, v55
	v_cvt_f16_f32_e32 v32, v32
	v_mul_f16_e32 v30, v47, v30
	v_mul_f16_e32 v31, v50, v31
	v_cvt_f16_f32_e32 v33, v33
	v_cndmask_b32_e32 v15, v15, v55, vcc_lo
	v_cmp_lt_f16_e32 vcc_lo, 0, v40
	v_mul_f16_e32 v32, v48, v32
	v_perm_b32 v1, v3, v1, 0x5040100
	v_mul_f16_e32 v33, v35, v33
	v_perm_b32 v3, v5, v4, 0x5040100
	v_cndmask_b32_e32 v16, v16, v40, vcc_lo
	v_cmp_lt_f16_e32 vcc_lo, 0, v56
	v_perm_b32 v4, v7, v6, 0x5040100
	v_perm_b32 v5, v9, v8, 0x5040100
	;; [unrolled: 1-line block ×4, first 2 shown]
	v_cndmask_b32_e32 v17, v17, v56, vcc_lo
	v_cmp_lt_f16_e32 vcc_lo, 0, v41
	v_perm_b32 v8, v15, v14, 0x5040100
	v_cndmask_b32_e32 v18, v18, v41, vcc_lo
	v_cmp_lt_f16_e32 vcc_lo, 0, v57
	v_cndmask_b32_e32 v19, v19, v57, vcc_lo
	v_cmp_lt_f16_e32 vcc_lo, 0, v42
	v_perm_b32 v9, v17, v16, 0x5040100
	s_delay_alu instid0(VALU_DEP_3)
	v_perm_b32 v10, v19, v18, 0x5040100
	v_cndmask_b32_e32 v20, v20, v42, vcc_lo
	v_cmp_lt_f16_e32 vcc_lo, 0, v58
	v_cndmask_b32_e32 v21, v21, v58, vcc_lo
	v_cmp_lt_f16_e32 vcc_lo, 0, v43
	;; [unrolled: 2-line block ×4, first 2 shown]
	v_perm_b32 v11, v21, v20, 0x5040100
	s_delay_alu instid0(VALU_DEP_3) | instskip(SKIP_4) | instid1(VALU_DEP_2)
	v_perm_b32 v12, v23, v22, 0x5040100
	v_cndmask_b32_e32 v24, v24, v44, vcc_lo
	v_cmp_lt_f16_e32 vcc_lo, 0, v2
	v_cndmask_b32_e32 v2, v25, v2, vcc_lo
	v_cmp_lt_f16_e32 vcc_lo, 0, v45
	v_perm_b32 v2, v2, v24, 0x5040100
	v_cndmask_b32_e32 v25, v26, v45, vcc_lo
	v_cmp_lt_f16_e32 vcc_lo, 0, v49
	v_cndmask_b32_e32 v26, v27, v49, vcc_lo
	v_cmp_lt_f16_e32 vcc_lo, 0, v46
	;; [unrolled: 2-line block ×4, first 2 shown]
	v_perm_b32 v13, v26, v25, 0x5040100
	s_delay_alu instid0(VALU_DEP_3) | instskip(SKIP_4) | instid1(VALU_DEP_2)
	v_perm_b32 v14, v28, v27, 0x5040100
	v_cndmask_b32_e32 v29, v30, v47, vcc_lo
	v_cmp_lt_f16_e32 vcc_lo, 0, v50
	v_cndmask_b32_e32 v30, v31, v50, vcc_lo
	v_cmp_lt_f16_e32 vcc_lo, 0, v48
	v_perm_b32 v15, v30, v29, 0x5040100
	v_cndmask_b32_e32 v31, v32, v48, vcc_lo
	v_cmp_lt_f16_e32 vcc_lo, 0, v35
	v_cndmask_b32_e32 v32, v33, v35, vcc_lo
	s_delay_alu instid0(VALU_DEP_1)
	v_perm_b32 v16, v32, v31, 0x5040100
	s_clause 0xf
	global_store_b32 v0, v1, s[8:9] scale_offset
	global_store_b32 v0, v3, s[8:9] offset:2048 scale_offset
	global_store_b32 v0, v4, s[8:9] offset:4096 scale_offset
	;; [unrolled: 1-line block ×15, first 2 shown]
	s_cbranch_execnz .LBB32_2
.LBB32_4:
	s_clause 0x1
	s_load_b32 s10, s[0:1], 0x24
	s_load_b128 s[16:19], s[0:1], 0x28
	v_dual_mov_b32 v31, v0 :: v_dual_mov_b32 v0, s4
	v_dual_mov_b32 v1, s5 :: v_dual_mov_b32 v2, s6
	;; [unrolled: 1-line block ×4, first 2 shown]
	s_add_nc_u64 s[8:9], s[0:1], 56
	s_wait_xcnt 0x0
	s_get_pc_i64 s[0:1]
	s_add_nc_u64 s[0:1], s[0:1], _ZN2at6native25elementwise_kernel_helperILb1EZZZNS0_12prelu_kernelERNS_14TensorIteratorEENKUlvE_clEvENKUlvE0_clEvEUlffE_NS0_6memory8policies11unroll_baseILi512ESt5arrayIPcLm3EE23TrivialOffsetCalculatorILi2EjESD_ILi1EjENS7_12LoadWithCastILi2EEENS7_13StoreWithCastILi1EEELi32ELi1EEEEEvT0_T1_@rel64+4
	s_wait_kmcnt 0x0
	s_bfe_u32 s11, s10, 0x80008
	v_dual_mov_b32 v7, s10 :: v_dual_mov_b32 v9, s16
	v_dual_mov_b32 v10, s17 :: v_dual_mov_b32 v11, s18
	;; [unrolled: 1-line block ×3, first 2 shown]
	s_swap_pc_i64 s[30:31], s[0:1]
	s_endpgm
	.section	.rodata,"a",@progbits
	.p2align	6, 0x0
	.amdhsa_kernel _ZN2at6native39vectorized_templated_elementwise_kernelILi2EZZZNS0_12prelu_kernelERNS_14TensorIteratorEENKUlvE_clEvENKUlvE0_clEvEUlffE_St5arrayIPcLm3EE23TrivialOffsetCalculatorILi2EjESA_ILi1EjENS0_6memory12LoadWithCastILi2EEENSD_13StoreWithCastILi1EEEN3c104HalfEJSJ_fEEEviT0_T1_T2_T3_T4_T5_
		.amdhsa_group_segment_fixed_size 0
		.amdhsa_private_segment_fixed_size 272
		.amdhsa_kernarg_size 312
		.amdhsa_user_sgpr_count 2
		.amdhsa_user_sgpr_dispatch_ptr 0
		.amdhsa_user_sgpr_queue_ptr 0
		.amdhsa_user_sgpr_kernarg_segment_ptr 1
		.amdhsa_user_sgpr_dispatch_id 0
		.amdhsa_user_sgpr_kernarg_preload_length 0
		.amdhsa_user_sgpr_kernarg_preload_offset 0
		.amdhsa_user_sgpr_private_segment_size 0
		.amdhsa_wavefront_size32 1
		.amdhsa_uses_dynamic_stack 0
		.amdhsa_enable_private_segment 1
		.amdhsa_system_sgpr_workgroup_id_x 1
		.amdhsa_system_sgpr_workgroup_id_y 0
		.amdhsa_system_sgpr_workgroup_id_z 0
		.amdhsa_system_sgpr_workgroup_info 0
		.amdhsa_system_vgpr_workitem_id 0
		.amdhsa_next_free_vgpr 120
		.amdhsa_next_free_sgpr 96
		.amdhsa_named_barrier_count 0
		.amdhsa_reserve_vcc 1
		.amdhsa_float_round_mode_32 0
		.amdhsa_float_round_mode_16_64 0
		.amdhsa_float_denorm_mode_32 3
		.amdhsa_float_denorm_mode_16_64 3
		.amdhsa_fp16_overflow 0
		.amdhsa_memory_ordered 1
		.amdhsa_forward_progress 1
		.amdhsa_inst_pref_size 14
		.amdhsa_round_robin_scheduling 0
		.amdhsa_exception_fp_ieee_invalid_op 0
		.amdhsa_exception_fp_denorm_src 0
		.amdhsa_exception_fp_ieee_div_zero 0
		.amdhsa_exception_fp_ieee_overflow 0
		.amdhsa_exception_fp_ieee_underflow 0
		.amdhsa_exception_fp_ieee_inexact 0
		.amdhsa_exception_int_div_zero 0
	.end_amdhsa_kernel
	.section	.text._ZN2at6native39vectorized_templated_elementwise_kernelILi2EZZZNS0_12prelu_kernelERNS_14TensorIteratorEENKUlvE_clEvENKUlvE0_clEvEUlffE_St5arrayIPcLm3EE23TrivialOffsetCalculatorILi2EjESA_ILi1EjENS0_6memory12LoadWithCastILi2EEENSD_13StoreWithCastILi1EEEN3c104HalfEJSJ_fEEEviT0_T1_T2_T3_T4_T5_,"axG",@progbits,_ZN2at6native39vectorized_templated_elementwise_kernelILi2EZZZNS0_12prelu_kernelERNS_14TensorIteratorEENKUlvE_clEvENKUlvE0_clEvEUlffE_St5arrayIPcLm3EE23TrivialOffsetCalculatorILi2EjESA_ILi1EjENS0_6memory12LoadWithCastILi2EEENSD_13StoreWithCastILi1EEEN3c104HalfEJSJ_fEEEviT0_T1_T2_T3_T4_T5_,comdat
.Lfunc_end32:
	.size	_ZN2at6native39vectorized_templated_elementwise_kernelILi2EZZZNS0_12prelu_kernelERNS_14TensorIteratorEENKUlvE_clEvENKUlvE0_clEvEUlffE_St5arrayIPcLm3EE23TrivialOffsetCalculatorILi2EjESA_ILi1EjENS0_6memory12LoadWithCastILi2EEENSD_13StoreWithCastILi1EEEN3c104HalfEJSJ_fEEEviT0_T1_T2_T3_T4_T5_, .Lfunc_end32-_ZN2at6native39vectorized_templated_elementwise_kernelILi2EZZZNS0_12prelu_kernelERNS_14TensorIteratorEENKUlvE_clEvENKUlvE0_clEvEUlffE_St5arrayIPcLm3EE23TrivialOffsetCalculatorILi2EjESA_ILi1EjENS0_6memory12LoadWithCastILi2EEENSD_13StoreWithCastILi1EEEN3c104HalfEJSJ_fEEEviT0_T1_T2_T3_T4_T5_
                                        ; -- End function
	.set _ZN2at6native39vectorized_templated_elementwise_kernelILi2EZZZNS0_12prelu_kernelERNS_14TensorIteratorEENKUlvE_clEvENKUlvE0_clEvEUlffE_St5arrayIPcLm3EE23TrivialOffsetCalculatorILi2EjESA_ILi1EjENS0_6memory12LoadWithCastILi2EEENSD_13StoreWithCastILi1EEEN3c104HalfEJSJ_fEEEviT0_T1_T2_T3_T4_T5_.num_vgpr, max(60, .L_ZN2at6native25elementwise_kernel_helperILb1EZZZNS0_12prelu_kernelERNS_14TensorIteratorEENKUlvE_clEvENKUlvE0_clEvEUlffE_NS0_6memory8policies11unroll_baseILi512ESt5arrayIPcLm3EE23TrivialOffsetCalculatorILi2EjESD_ILi1EjENS7_12LoadWithCastILi2EEENS7_13StoreWithCastILi1EEELi32ELi1EEEEEvT0_T1_.num_vgpr)
	.set _ZN2at6native39vectorized_templated_elementwise_kernelILi2EZZZNS0_12prelu_kernelERNS_14TensorIteratorEENKUlvE_clEvENKUlvE0_clEvEUlffE_St5arrayIPcLm3EE23TrivialOffsetCalculatorILi2EjESA_ILi1EjENS0_6memory12LoadWithCastILi2EEENSD_13StoreWithCastILi1EEEN3c104HalfEJSJ_fEEEviT0_T1_T2_T3_T4_T5_.num_agpr, max(0, .L_ZN2at6native25elementwise_kernel_helperILb1EZZZNS0_12prelu_kernelERNS_14TensorIteratorEENKUlvE_clEvENKUlvE0_clEvEUlffE_NS0_6memory8policies11unroll_baseILi512ESt5arrayIPcLm3EE23TrivialOffsetCalculatorILi2EjESD_ILi1EjENS7_12LoadWithCastILi2EEENS7_13StoreWithCastILi1EEELi32ELi1EEEEEvT0_T1_.num_agpr)
	.set _ZN2at6native39vectorized_templated_elementwise_kernelILi2EZZZNS0_12prelu_kernelERNS_14TensorIteratorEENKUlvE_clEvENKUlvE0_clEvEUlffE_St5arrayIPcLm3EE23TrivialOffsetCalculatorILi2EjESA_ILi1EjENS0_6memory12LoadWithCastILi2EEENSD_13StoreWithCastILi1EEEN3c104HalfEJSJ_fEEEviT0_T1_T2_T3_T4_T5_.numbered_sgpr, max(33, .L_ZN2at6native25elementwise_kernel_helperILb1EZZZNS0_12prelu_kernelERNS_14TensorIteratorEENKUlvE_clEvENKUlvE0_clEvEUlffE_NS0_6memory8policies11unroll_baseILi512ESt5arrayIPcLm3EE23TrivialOffsetCalculatorILi2EjESD_ILi1EjENS7_12LoadWithCastILi2EEENS7_13StoreWithCastILi1EEELi32ELi1EEEEEvT0_T1_.numbered_sgpr)
	.set _ZN2at6native39vectorized_templated_elementwise_kernelILi2EZZZNS0_12prelu_kernelERNS_14TensorIteratorEENKUlvE_clEvENKUlvE0_clEvEUlffE_St5arrayIPcLm3EE23TrivialOffsetCalculatorILi2EjESA_ILi1EjENS0_6memory12LoadWithCastILi2EEENSD_13StoreWithCastILi1EEEN3c104HalfEJSJ_fEEEviT0_T1_T2_T3_T4_T5_.num_named_barrier, max(0, .L_ZN2at6native25elementwise_kernel_helperILb1EZZZNS0_12prelu_kernelERNS_14TensorIteratorEENKUlvE_clEvENKUlvE0_clEvEUlffE_NS0_6memory8policies11unroll_baseILi512ESt5arrayIPcLm3EE23TrivialOffsetCalculatorILi2EjESD_ILi1EjENS7_12LoadWithCastILi2EEENS7_13StoreWithCastILi1EEELi32ELi1EEEEEvT0_T1_.num_named_barrier)
	.set _ZN2at6native39vectorized_templated_elementwise_kernelILi2EZZZNS0_12prelu_kernelERNS_14TensorIteratorEENKUlvE_clEvENKUlvE0_clEvEUlffE_St5arrayIPcLm3EE23TrivialOffsetCalculatorILi2EjESA_ILi1EjENS0_6memory12LoadWithCastILi2EEENSD_13StoreWithCastILi1EEEN3c104HalfEJSJ_fEEEviT0_T1_T2_T3_T4_T5_.private_seg_size, 0+max(.L_ZN2at6native25elementwise_kernel_helperILb1EZZZNS0_12prelu_kernelERNS_14TensorIteratorEENKUlvE_clEvENKUlvE0_clEvEUlffE_NS0_6memory8policies11unroll_baseILi512ESt5arrayIPcLm3EE23TrivialOffsetCalculatorILi2EjESD_ILi1EjENS7_12LoadWithCastILi2EEENS7_13StoreWithCastILi1EEELi32ELi1EEEEEvT0_T1_.private_seg_size)
	.set _ZN2at6native39vectorized_templated_elementwise_kernelILi2EZZZNS0_12prelu_kernelERNS_14TensorIteratorEENKUlvE_clEvENKUlvE0_clEvEUlffE_St5arrayIPcLm3EE23TrivialOffsetCalculatorILi2EjESA_ILi1EjENS0_6memory12LoadWithCastILi2EEENSD_13StoreWithCastILi1EEEN3c104HalfEJSJ_fEEEviT0_T1_T2_T3_T4_T5_.uses_vcc, or(1, .L_ZN2at6native25elementwise_kernel_helperILb1EZZZNS0_12prelu_kernelERNS_14TensorIteratorEENKUlvE_clEvENKUlvE0_clEvEUlffE_NS0_6memory8policies11unroll_baseILi512ESt5arrayIPcLm3EE23TrivialOffsetCalculatorILi2EjESD_ILi1EjENS7_12LoadWithCastILi2EEENS7_13StoreWithCastILi1EEELi32ELi1EEEEEvT0_T1_.uses_vcc)
	.set _ZN2at6native39vectorized_templated_elementwise_kernelILi2EZZZNS0_12prelu_kernelERNS_14TensorIteratorEENKUlvE_clEvENKUlvE0_clEvEUlffE_St5arrayIPcLm3EE23TrivialOffsetCalculatorILi2EjESA_ILi1EjENS0_6memory12LoadWithCastILi2EEENSD_13StoreWithCastILi1EEEN3c104HalfEJSJ_fEEEviT0_T1_T2_T3_T4_T5_.uses_flat_scratch, or(0, .L_ZN2at6native25elementwise_kernel_helperILb1EZZZNS0_12prelu_kernelERNS_14TensorIteratorEENKUlvE_clEvENKUlvE0_clEvEUlffE_NS0_6memory8policies11unroll_baseILi512ESt5arrayIPcLm3EE23TrivialOffsetCalculatorILi2EjESD_ILi1EjENS7_12LoadWithCastILi2EEENS7_13StoreWithCastILi1EEELi32ELi1EEEEEvT0_T1_.uses_flat_scratch)
	.set _ZN2at6native39vectorized_templated_elementwise_kernelILi2EZZZNS0_12prelu_kernelERNS_14TensorIteratorEENKUlvE_clEvENKUlvE0_clEvEUlffE_St5arrayIPcLm3EE23TrivialOffsetCalculatorILi2EjESA_ILi1EjENS0_6memory12LoadWithCastILi2EEENSD_13StoreWithCastILi1EEEN3c104HalfEJSJ_fEEEviT0_T1_T2_T3_T4_T5_.has_dyn_sized_stack, or(0, .L_ZN2at6native25elementwise_kernel_helperILb1EZZZNS0_12prelu_kernelERNS_14TensorIteratorEENKUlvE_clEvENKUlvE0_clEvEUlffE_NS0_6memory8policies11unroll_baseILi512ESt5arrayIPcLm3EE23TrivialOffsetCalculatorILi2EjESD_ILi1EjENS7_12LoadWithCastILi2EEENS7_13StoreWithCastILi1EEELi32ELi1EEEEEvT0_T1_.has_dyn_sized_stack)
	.set _ZN2at6native39vectorized_templated_elementwise_kernelILi2EZZZNS0_12prelu_kernelERNS_14TensorIteratorEENKUlvE_clEvENKUlvE0_clEvEUlffE_St5arrayIPcLm3EE23TrivialOffsetCalculatorILi2EjESA_ILi1EjENS0_6memory12LoadWithCastILi2EEENSD_13StoreWithCastILi1EEEN3c104HalfEJSJ_fEEEviT0_T1_T2_T3_T4_T5_.has_recursion, or(0, .L_ZN2at6native25elementwise_kernel_helperILb1EZZZNS0_12prelu_kernelERNS_14TensorIteratorEENKUlvE_clEvENKUlvE0_clEvEUlffE_NS0_6memory8policies11unroll_baseILi512ESt5arrayIPcLm3EE23TrivialOffsetCalculatorILi2EjESD_ILi1EjENS7_12LoadWithCastILi2EEENS7_13StoreWithCastILi1EEELi32ELi1EEEEEvT0_T1_.has_recursion)
	.set _ZN2at6native39vectorized_templated_elementwise_kernelILi2EZZZNS0_12prelu_kernelERNS_14TensorIteratorEENKUlvE_clEvENKUlvE0_clEvEUlffE_St5arrayIPcLm3EE23TrivialOffsetCalculatorILi2EjESA_ILi1EjENS0_6memory12LoadWithCastILi2EEENSD_13StoreWithCastILi1EEEN3c104HalfEJSJ_fEEEviT0_T1_T2_T3_T4_T5_.has_indirect_call, or(0, .L_ZN2at6native25elementwise_kernel_helperILb1EZZZNS0_12prelu_kernelERNS_14TensorIteratorEENKUlvE_clEvENKUlvE0_clEvEUlffE_NS0_6memory8policies11unroll_baseILi512ESt5arrayIPcLm3EE23TrivialOffsetCalculatorILi2EjESD_ILi1EjENS7_12LoadWithCastILi2EEENS7_13StoreWithCastILi1EEELi32ELi1EEEEEvT0_T1_.has_indirect_call)
	.section	.AMDGPU.csdata,"",@progbits
; Kernel info:
; codeLenInByte = 1752
; TotalNumSgprs: 98
; NumVgprs: 120
; ScratchSize: 272
; MemoryBound: 0
; FloatMode: 240
; IeeeMode: 1
; LDSByteSize: 0 bytes/workgroup (compile time only)
; SGPRBlocks: 0
; VGPRBlocks: 7
; NumSGPRsForWavesPerEU: 98
; NumVGPRsForWavesPerEU: 120
; NamedBarCnt: 0
; Occupancy: 8
; WaveLimiterHint : 1
; COMPUTE_PGM_RSRC2:SCRATCH_EN: 1
; COMPUTE_PGM_RSRC2:USER_SGPR: 2
; COMPUTE_PGM_RSRC2:TRAP_HANDLER: 0
; COMPUTE_PGM_RSRC2:TGID_X_EN: 1
; COMPUTE_PGM_RSRC2:TGID_Y_EN: 0
; COMPUTE_PGM_RSRC2:TGID_Z_EN: 0
; COMPUTE_PGM_RSRC2:TIDIG_COMP_CNT: 0
	.section	.text._ZN2at6native32elementwise_kernel_manual_unrollILi128ELi4EZNS0_15gpu_kernel_implIZZZNS0_12prelu_kernelERNS_14TensorIteratorEENKUlvE_clEvENKUlvE0_clEvEUlffE_EEvRNS_18TensorIteratorBaseERKT_EUlibE_EEviT1_,"axG",@progbits,_ZN2at6native32elementwise_kernel_manual_unrollILi128ELi4EZNS0_15gpu_kernel_implIZZZNS0_12prelu_kernelERNS_14TensorIteratorEENKUlvE_clEvENKUlvE0_clEvEUlffE_EEvRNS_18TensorIteratorBaseERKT_EUlibE_EEviT1_,comdat
	.globl	_ZN2at6native32elementwise_kernel_manual_unrollILi128ELi4EZNS0_15gpu_kernel_implIZZZNS0_12prelu_kernelERNS_14TensorIteratorEENKUlvE_clEvENKUlvE0_clEvEUlffE_EEvRNS_18TensorIteratorBaseERKT_EUlibE_EEviT1_ ; -- Begin function _ZN2at6native32elementwise_kernel_manual_unrollILi128ELi4EZNS0_15gpu_kernel_implIZZZNS0_12prelu_kernelERNS_14TensorIteratorEENKUlvE_clEvENKUlvE0_clEvEUlffE_EEvRNS_18TensorIteratorBaseERKT_EUlibE_EEviT1_
	.p2align	8
	.type	_ZN2at6native32elementwise_kernel_manual_unrollILi128ELi4EZNS0_15gpu_kernel_implIZZZNS0_12prelu_kernelERNS_14TensorIteratorEENKUlvE_clEvENKUlvE0_clEvEUlffE_EEvRNS_18TensorIteratorBaseERKT_EUlibE_EEviT1_,@function
_ZN2at6native32elementwise_kernel_manual_unrollILi128ELi4EZNS0_15gpu_kernel_implIZZZNS0_12prelu_kernelERNS_14TensorIteratorEENKUlvE_clEvENKUlvE0_clEvEUlffE_EEvRNS_18TensorIteratorBaseERKT_EUlibE_EEviT1_: ; @_ZN2at6native32elementwise_kernel_manual_unrollILi128ELi4EZNS0_15gpu_kernel_implIZZZNS0_12prelu_kernelERNS_14TensorIteratorEENKUlvE_clEvENKUlvE0_clEvEUlffE_EEvRNS_18TensorIteratorBaseERKT_EUlibE_EEviT1_
; %bb.0:
	v_mov_b32_e32 v1, 0
	s_bfe_u32 s4, ttmp6, 0x4000c
	s_load_b32 s16, s[0:1], 0x0
	s_add_co_i32 s13, s4, 1
	s_load_b128 s[4:7], s[0:1], 0x8
	s_clause 0x1
	global_load_u16 v2, v1, s[0:1] offset:45
	global_load_i8 v3, v1, s[0:1] offset:47
	s_clause 0x1
	s_load_b64 s[2:3], s[0:1], 0x18
	s_load_b96 s[8:10], s[0:1], 0x20
	s_and_b32 s12, ttmp6, 15
	s_wait_xcnt 0x0
	s_mul_i32 s0, ttmp9, s13
	s_getreg_b32 s14, hwreg(HW_REG_IB_STS2, 6, 4)
	s_add_co_i32 s12, s12, s0
	s_mov_b32 s15, 0
	s_wait_loadcnt 0x1
	v_readfirstlane_b32 s11, v2
	s_wait_loadcnt 0x0
	v_readfirstlane_b32 s1, v3
	s_lshr_b32 s13, s11, 8
	s_cmp_eq_u32 s14, 0
	s_cselect_b32 s0, ttmp9, s12
	s_mov_b32 s12, 0
	v_lshl_or_b32 v6, s0, 9, v0
	s_mov_b32 s0, exec_lo
	s_delay_alu instid0(VALU_DEP_1) | instskip(SKIP_1) | instid1(VALU_DEP_1)
	v_or_b32_e32 v0, 0x180, v6
	s_wait_kmcnt 0x0
	v_cmpx_le_i32_e64 s16, v0
	s_xor_b32 s14, exec_lo, s0
	s_cbranch_execz .LBB33_1543
; %bb.1:
	s_mov_b32 s23, -1
	s_mov_b32 s20, 0
	s_mov_b32 s18, 0
	;; [unrolled: 1-line block ×3, first 2 shown]
	s_mov_b32 s19, exec_lo
	v_cmpx_gt_i32_e64 s16, v6
	s_cbranch_execz .LBB33_381
; %bb.2:
	v_mul_lo_u32 v0, v6, s9
	s_and_b32 s0, s13, 0xff
	s_delay_alu instid0(SALU_CYCLE_1) | instskip(NEXT) | instid1(VALU_DEP_1)
	s_cmp_lt_i32 s0, 11
	v_ashrrev_i32_e32 v1, 31, v0
	s_delay_alu instid0(VALU_DEP_1)
	v_add_nc_u64_e32 v[0:1], s[6:7], v[0:1]
	s_cbranch_scc1 .LBB33_9
; %bb.3:
	s_and_b32 s15, 0xffff, s0
	s_delay_alu instid0(SALU_CYCLE_1)
	s_cmp_gt_i32 s15, 25
	s_cbranch_scc0 .LBB33_18
; %bb.4:
	s_cmp_gt_i32 s15, 28
	s_cbranch_scc0 .LBB33_67
; %bb.5:
	s_cmp_gt_i32 s15, 43
	s_cbranch_scc0 .LBB33_69
; %bb.6:
	s_cmp_gt_i32 s15, 45
	s_cbranch_scc0 .LBB33_72
; %bb.7:
	s_cmp_eq_u32 s15, 46
	s_mov_b32 s21, 0
	s_cbranch_scc0 .LBB33_75
; %bb.8:
	global_load_b32 v2, v[0:1], off
	s_mov_b32 s17, -1
	s_wait_loadcnt 0x0
	v_lshlrev_b32_e32 v2, 16, v2
	s_branch .LBB33_77
.LBB33_9:
                                        ; implicit-def: $vgpr2
	s_cbranch_execnz .LBB33_143
.LBB33_10:
	s_and_not1_b32 vcc_lo, exec_lo, s17
	s_cbranch_vccnz .LBB33_190
.LBB33_11:
	s_wait_xcnt 0x0
	v_mul_lo_u32 v0, v6, s10
	s_and_b32 s0, s1, 0xff
	s_delay_alu instid0(SALU_CYCLE_1) | instskip(NEXT) | instid1(VALU_DEP_1)
	s_cmp_lt_i32 s0, 11
	v_ashrrev_i32_e32 v1, 31, v0
	s_delay_alu instid0(VALU_DEP_1)
	v_add_nc_u64_e32 v[0:1], s[2:3], v[0:1]
	s_cbranch_scc1 .LBB33_19
; %bb.12:
	s_and_b32 s15, 0xffff, s0
	s_delay_alu instid0(SALU_CYCLE_1)
	s_cmp_gt_i32 s15, 25
	s_cbranch_scc0 .LBB33_68
; %bb.13:
	s_cmp_gt_i32 s15, 28
	s_cbranch_scc0 .LBB33_70
; %bb.14:
	;; [unrolled: 3-line block ×4, first 2 shown]
	s_cmp_eq_u32 s15, 46
	s_mov_b32 s22, 0
	s_cbranch_scc0 .LBB33_191
; %bb.17:
	global_load_b32 v3, v[0:1], off
	s_mov_b32 s21, -1
	s_mov_b32 s17, 0
	s_wait_loadcnt 0x0
	v_lshlrev_b32_e32 v3, 16, v3
	s_branch .LBB33_193
.LBB33_18:
                                        ; implicit-def: $vgpr2
	s_cbranch_execnz .LBB33_108
	s_branch .LBB33_142
.LBB33_19:
	s_mov_b32 s17, 0
	s_mov_b32 s21, 0
                                        ; implicit-def: $vgpr3
	s_cbranch_execnz .LBB33_330
.LBB33_20:
	s_and_not1_b32 vcc_lo, exec_lo, s21
	s_cbranch_vccnz .LBB33_378
.LBB33_21:
	s_wait_xcnt 0x0
	v_mul_lo_u32 v0, v6, s8
	s_wait_loadcnt 0x0
	v_cmp_lt_f32_e32 vcc_lo, 0, v2
	s_and_b32 s15, s11, 0xff
	s_mov_b32 s0, 0
	s_mov_b32 s21, -1
	s_cmp_lt_i32 s15, 11
	s_mov_b32 s22, 0
	s_delay_alu instid0(VALU_DEP_2) | instskip(NEXT) | instid1(VALU_DEP_1)
	v_dual_mul_f32 v3, v2, v3 :: v_dual_ashrrev_i32 v1, 31, v0
	v_cndmask_b32_e32 v2, v3, v2, vcc_lo
	s_delay_alu instid0(VALU_DEP_2)
	v_add_nc_u64_e32 v[0:1], s[4:5], v[0:1]
	s_cbranch_scc1 .LBB33_28
; %bb.22:
	s_and_b32 s21, 0xffff, s15
	s_delay_alu instid0(SALU_CYCLE_1)
	s_cmp_gt_i32 s21, 25
	s_cbranch_scc0 .LBB33_71
; %bb.23:
	s_cmp_gt_i32 s21, 28
	s_cbranch_scc0 .LBB33_74
; %bb.24:
	;; [unrolled: 3-line block ×4, first 2 shown]
	s_mov_b32 s23, 0
	s_mov_b32 s0, -1
	s_cmp_eq_u32 s21, 46
	s_cbranch_scc0 .LBB33_197
; %bb.27:
	v_bfe_u32 v3, v2, 16, 1
	v_cmp_o_f32_e32 vcc_lo, v2, v2
	s_mov_b32 s22, -1
	s_mov_b32 s0, 0
	s_delay_alu instid0(VALU_DEP_2) | instskip(NEXT) | instid1(VALU_DEP_1)
	v_add3_u32 v3, v2, v3, 0x7fff
	v_lshrrev_b32_e32 v3, 16, v3
	s_delay_alu instid0(VALU_DEP_1)
	v_cndmask_b32_e32 v3, 0x7fc0, v3, vcc_lo
	global_store_b32 v[0:1], v3, off
	s_branch .LBB33_197
.LBB33_28:
	s_and_b32 vcc_lo, exec_lo, s21
	s_cbranch_vccz .LBB33_266
; %bb.29:
	s_and_b32 s15, 0xffff, s15
	s_mov_b32 s21, -1
	s_cmp_lt_i32 s15, 5
	s_cbranch_scc1 .LBB33_50
; %bb.30:
	s_cmp_lt_i32 s15, 8
	s_cbranch_scc1 .LBB33_40
; %bb.31:
	;; [unrolled: 3-line block ×3, first 2 shown]
	s_cmp_gt_i32 s15, 9
	s_cbranch_scc0 .LBB33_34
; %bb.33:
	v_cvt_f64_f32_e32 v[8:9], v2
	v_mov_b32_e32 v10, 0
	s_mov_b32 s21, 0
	s_delay_alu instid0(VALU_DEP_1)
	v_mov_b32_e32 v11, v10
	global_store_b128 v[0:1], v[8:11], off
.LBB33_34:
	s_and_not1_b32 vcc_lo, exec_lo, s21
	s_cbranch_vccnz .LBB33_36
; %bb.35:
	s_wait_xcnt 0x0
	v_mov_b32_e32 v3, 0
	global_store_b64 v[0:1], v[2:3], off
.LBB33_36:
	s_mov_b32 s21, 0
.LBB33_37:
	s_delay_alu instid0(SALU_CYCLE_1)
	s_and_not1_b32 vcc_lo, exec_lo, s21
	s_cbranch_vccnz .LBB33_39
; %bb.38:
	s_wait_xcnt 0x0
	v_cvt_f16_f32_e32 v3, v2
	s_delay_alu instid0(VALU_DEP_1)
	v_and_b32_e32 v3, 0xffff, v3
	global_store_b32 v[0:1], v3, off
.LBB33_39:
	s_mov_b32 s21, 0
.LBB33_40:
	s_delay_alu instid0(SALU_CYCLE_1)
	s_and_not1_b32 vcc_lo, exec_lo, s21
	s_cbranch_vccnz .LBB33_49
; %bb.41:
	s_cmp_lt_i32 s15, 6
	s_mov_b32 s21, -1
	s_cbranch_scc1 .LBB33_47
; %bb.42:
	s_cmp_gt_i32 s15, 6
	s_cbranch_scc0 .LBB33_44
; %bb.43:
	s_wait_xcnt 0x0
	v_cvt_f64_f32_e32 v[4:5], v2
	s_mov_b32 s21, 0
	global_store_b64 v[0:1], v[4:5], off
.LBB33_44:
	s_and_not1_b32 vcc_lo, exec_lo, s21
	s_cbranch_vccnz .LBB33_46
; %bb.45:
	global_store_b32 v[0:1], v2, off
.LBB33_46:
	s_mov_b32 s21, 0
.LBB33_47:
	s_delay_alu instid0(SALU_CYCLE_1)
	s_and_not1_b32 vcc_lo, exec_lo, s21
	s_cbranch_vccnz .LBB33_49
; %bb.48:
	s_wait_xcnt 0x0
	v_cvt_f16_f32_e32 v3, v2
	global_store_b16 v[0:1], v3, off
.LBB33_49:
	s_mov_b32 s21, 0
.LBB33_50:
	s_delay_alu instid0(SALU_CYCLE_1)
	s_and_not1_b32 vcc_lo, exec_lo, s21
	s_cbranch_vccnz .LBB33_66
; %bb.51:
	s_cmp_lt_i32 s15, 2
	s_mov_b32 s21, -1
	s_cbranch_scc1 .LBB33_61
; %bb.52:
	s_cmp_lt_i32 s15, 3
	s_cbranch_scc1 .LBB33_58
; %bb.53:
	s_cmp_gt_i32 s15, 3
	s_cbranch_scc0 .LBB33_55
; %bb.54:
	s_wait_xcnt 0x0
	v_trunc_f32_e32 v3, v2
	s_mov_b32 s21, 0
	s_delay_alu instid0(VALU_DEP_1) | instskip(NEXT) | instid1(VALU_DEP_1)
	v_mul_f32_e64 v4, 0x2f800000, |v3|
	v_floor_f32_e32 v5, v4
	v_ashrrev_i32_e32 v4, 31, v3
	s_delay_alu instid0(VALU_DEP_2) | instskip(SKIP_1) | instid1(VALU_DEP_3)
	v_fma_f32 v7, 0xcf800000, v5, |v3|
	v_cvt_u32_f32_e32 v3, v5
	v_mov_b32_e32 v5, v4
	s_delay_alu instid0(VALU_DEP_3) | instskip(NEXT) | instid1(VALU_DEP_3)
	v_cvt_u32_f32_e32 v7, v7
	v_xor_b32_e32 v9, v3, v4
	s_delay_alu instid0(VALU_DEP_2) | instskip(NEXT) | instid1(VALU_DEP_1)
	v_xor_b32_e32 v8, v7, v4
	v_sub_nc_u64_e32 v[4:5], v[8:9], v[4:5]
	global_store_b64 v[0:1], v[4:5], off
.LBB33_55:
	s_and_not1_b32 vcc_lo, exec_lo, s21
	s_cbranch_vccnz .LBB33_57
; %bb.56:
	s_wait_xcnt 0x0
	v_cvt_i32_f32_e32 v3, v2
	global_store_b32 v[0:1], v3, off
.LBB33_57:
	s_mov_b32 s21, 0
.LBB33_58:
	s_delay_alu instid0(SALU_CYCLE_1)
	s_and_not1_b32 vcc_lo, exec_lo, s21
	s_cbranch_vccnz .LBB33_60
; %bb.59:
	s_wait_xcnt 0x0
	v_cvt_i32_f32_e32 v3, v2
	global_store_b16 v[0:1], v3, off
.LBB33_60:
	s_mov_b32 s21, 0
.LBB33_61:
	s_delay_alu instid0(SALU_CYCLE_1)
	s_and_not1_b32 vcc_lo, exec_lo, s21
	s_cbranch_vccnz .LBB33_66
; %bb.62:
	s_cmp_gt_i32 s15, 0
	s_mov_b32 s15, -1
	s_cbranch_scc0 .LBB33_64
; %bb.63:
	s_wait_xcnt 0x0
	v_cvt_i32_f32_e32 v3, v2
	s_mov_b32 s15, 0
	global_store_b8 v[0:1], v3, off
.LBB33_64:
	s_and_not1_b32 vcc_lo, exec_lo, s15
	s_cbranch_vccnz .LBB33_66
; %bb.65:
	s_wait_xcnt 0x0
	v_trunc_f32_e32 v2, v2
	s_delay_alu instid0(VALU_DEP_1) | instskip(NEXT) | instid1(VALU_DEP_1)
	v_mul_f32_e64 v3, 0x2f800000, |v2|
	v_floor_f32_e32 v3, v3
	s_delay_alu instid0(VALU_DEP_1) | instskip(SKIP_1) | instid1(VALU_DEP_2)
	v_fma_f32 v3, 0xcf800000, v3, |v2|
	v_ashrrev_i32_e32 v2, 31, v2
	v_cvt_u32_f32_e32 v3, v3
	s_delay_alu instid0(VALU_DEP_1) | instskip(NEXT) | instid1(VALU_DEP_1)
	v_xor_b32_e32 v3, v3, v2
	v_sub_nc_u32_e32 v2, v3, v2
	global_store_b8 v[0:1], v2, off
.LBB33_66:
	s_branch .LBB33_267
.LBB33_67:
	s_mov_b32 s21, -1
                                        ; implicit-def: $vgpr2
	s_branch .LBB33_89
.LBB33_68:
	s_mov_b32 s22, -1
	s_mov_b32 s17, 0
	s_mov_b32 s21, 0
                                        ; implicit-def: $vgpr3
	s_branch .LBB33_294
.LBB33_69:
	s_mov_b32 s21, -1
                                        ; implicit-def: $vgpr2
	s_branch .LBB33_84
.LBB33_70:
	s_mov_b32 s22, -1
	s_mov_b32 s17, 0
	s_mov_b32 s21, 0
                                        ; implicit-def: $vgpr3
	s_branch .LBB33_275
.LBB33_71:
	s_mov_b32 s23, -1
	s_branch .LBB33_224
.LBB33_72:
	s_mov_b32 s21, -1
	s_branch .LBB33_76
.LBB33_73:
	s_mov_b32 s22, -1
	s_mov_b32 s17, 0
	s_mov_b32 s21, 0
                                        ; implicit-def: $vgpr3
	s_branch .LBB33_270
.LBB33_74:
	s_mov_b32 s23, -1
	s_branch .LBB33_207
.LBB33_75:
	s_mov_b32 s18, -1
.LBB33_76:
                                        ; implicit-def: $vgpr2
.LBB33_77:
	s_and_b32 vcc_lo, exec_lo, s21
	s_cbranch_vccz .LBB33_83
; %bb.78:
	s_cmp_eq_u32 s15, 44
	s_cbranch_scc0 .LBB33_82
; %bb.79:
	global_load_u8 v2, v[0:1], off
	s_mov_b32 s18, 0
	s_mov_b32 s17, -1
	s_wait_loadcnt 0x0
	v_lshlrev_b32_e32 v3, 23, v2
	v_cmp_ne_u32_e32 vcc_lo, 0xff, v2
	s_delay_alu instid0(VALU_DEP_2) | instskip(SKIP_1) | instid1(VALU_DEP_2)
	v_cndmask_b32_e32 v3, 0x7f800001, v3, vcc_lo
	v_cmp_ne_u32_e32 vcc_lo, 0, v2
	v_cndmask_b32_e32 v2, 0x400000, v3, vcc_lo
	s_branch .LBB33_83
.LBB33_80:
	s_mov_b32 s22, -1
	s_mov_b32 s17, 0
	s_branch .LBB33_192
.LBB33_81:
	s_mov_b32 s23, -1
	s_branch .LBB33_203
.LBB33_82:
	s_mov_b32 s18, -1
                                        ; implicit-def: $vgpr2
.LBB33_83:
	s_mov_b32 s21, 0
.LBB33_84:
	s_delay_alu instid0(SALU_CYCLE_1)
	s_and_b32 vcc_lo, exec_lo, s21
	s_cbranch_vccz .LBB33_88
; %bb.85:
	s_cmp_eq_u32 s15, 29
	s_cbranch_scc0 .LBB33_87
; %bb.86:
	global_load_b64 v[2:3], v[0:1], off
	s_mov_b32 s17, -1
	s_mov_b32 s18, 0
	s_mov_b32 s21, 0
	s_wait_loadcnt 0x0
	v_clz_i32_u32_e32 v4, v3
	s_delay_alu instid0(VALU_DEP_1) | instskip(NEXT) | instid1(VALU_DEP_1)
	v_min_u32_e32 v4, 32, v4
	v_lshlrev_b64_e32 v[2:3], v4, v[2:3]
	s_delay_alu instid0(VALU_DEP_1) | instskip(NEXT) | instid1(VALU_DEP_1)
	v_min_u32_e32 v2, 1, v2
	v_dual_sub_nc_u32 v3, 32, v4 :: v_dual_bitop2_b32 v2, v3, v2 bitop3:0x54
	s_delay_alu instid0(VALU_DEP_1) | instskip(NEXT) | instid1(VALU_DEP_1)
	v_cvt_f32_u32_e32 v2, v2
	v_ldexp_f32 v2, v2, v3
	s_branch .LBB33_89
.LBB33_87:
	s_mov_b32 s18, -1
                                        ; implicit-def: $vgpr2
.LBB33_88:
	s_mov_b32 s21, 0
.LBB33_89:
	s_delay_alu instid0(SALU_CYCLE_1)
	s_and_b32 vcc_lo, exec_lo, s21
	s_cbranch_vccz .LBB33_107
; %bb.90:
	s_cmp_lt_i32 s15, 27
	s_cbranch_scc1 .LBB33_93
; %bb.91:
	s_cmp_gt_i32 s15, 27
	s_cbranch_scc0 .LBB33_94
; %bb.92:
	global_load_b32 v2, v[0:1], off
	s_mov_b32 s17, 0
	s_wait_loadcnt 0x0
	v_cvt_f32_u32_e32 v2, v2
	s_branch .LBB33_95
.LBB33_93:
	s_mov_b32 s17, -1
                                        ; implicit-def: $vgpr2
	s_branch .LBB33_98
.LBB33_94:
	s_mov_b32 s17, -1
                                        ; implicit-def: $vgpr2
.LBB33_95:
	s_delay_alu instid0(SALU_CYCLE_1)
	s_and_not1_b32 vcc_lo, exec_lo, s17
	s_cbranch_vccnz .LBB33_97
; %bb.96:
	global_load_u16 v2, v[0:1], off
	s_wait_loadcnt 0x0
	v_cvt_f32_u32_e32 v2, v2
.LBB33_97:
	s_mov_b32 s17, 0
.LBB33_98:
	s_delay_alu instid0(SALU_CYCLE_1)
	s_and_not1_b32 vcc_lo, exec_lo, s17
	s_cbranch_vccnz .LBB33_106
; %bb.99:
	global_load_u8 v3, v[0:1], off
	s_mov_b32 s17, 0
	s_mov_b32 s21, exec_lo
	s_wait_loadcnt 0x0
	v_cmpx_lt_i16_e32 0x7f, v3
	s_xor_b32 s21, exec_lo, s21
	s_cbranch_execz .LBB33_119
; %bb.100:
	s_mov_b32 s17, -1
	s_mov_b32 s22, exec_lo
	v_cmpx_eq_u16_e32 0x80, v3
; %bb.101:
	s_xor_b32 s17, exec_lo, -1
; %bb.102:
	s_or_b32 exec_lo, exec_lo, s22
	s_delay_alu instid0(SALU_CYCLE_1)
	s_and_b32 s17, s17, exec_lo
	s_or_saveexec_b32 s21, s21
	v_mov_b32_e32 v2, 0x7f800001
	s_xor_b32 exec_lo, exec_lo, s21
	s_cbranch_execnz .LBB33_120
.LBB33_103:
	s_or_b32 exec_lo, exec_lo, s21
	s_and_saveexec_b32 s21, s17
	s_cbranch_execz .LBB33_105
.LBB33_104:
	v_and_b32_e32 v2, 0xffff, v3
	s_delay_alu instid0(VALU_DEP_1) | instskip(SKIP_1) | instid1(VALU_DEP_2)
	v_and_b32_e32 v4, 7, v2
	v_bfe_u32 v8, v2, 3, 4
	v_clz_i32_u32_e32 v5, v4
	s_delay_alu instid0(VALU_DEP_2) | instskip(NEXT) | instid1(VALU_DEP_2)
	v_cmp_eq_u32_e32 vcc_lo, 0, v8
	v_min_u32_e32 v5, 32, v5
	s_delay_alu instid0(VALU_DEP_1) | instskip(NEXT) | instid1(VALU_DEP_1)
	v_subrev_nc_u32_e32 v7, 28, v5
	v_dual_lshlrev_b32 v2, v7, v2 :: v_dual_sub_nc_u32 v5, 29, v5
	s_delay_alu instid0(VALU_DEP_1) | instskip(NEXT) | instid1(VALU_DEP_2)
	v_dual_lshlrev_b32 v3, 24, v3 :: v_dual_bitop2_b32 v2, 7, v2 bitop3:0x40
	v_cndmask_b32_e32 v5, v8, v5, vcc_lo
	s_delay_alu instid0(VALU_DEP_2) | instskip(NEXT) | instid1(VALU_DEP_3)
	v_cndmask_b32_e32 v2, v4, v2, vcc_lo
	v_and_b32_e32 v3, 0x80000000, v3
	s_delay_alu instid0(VALU_DEP_3) | instskip(NEXT) | instid1(VALU_DEP_3)
	v_lshl_add_u32 v4, v5, 23, 0x3b800000
	v_lshlrev_b32_e32 v2, 20, v2
	s_delay_alu instid0(VALU_DEP_1)
	v_or3_b32 v2, v3, v4, v2
.LBB33_105:
	s_or_b32 exec_lo, exec_lo, s21
.LBB33_106:
	s_mov_b32 s17, -1
.LBB33_107:
	s_branch .LBB33_142
.LBB33_108:
	s_cmp_gt_i32 s15, 22
	s_cbranch_scc0 .LBB33_118
; %bb.109:
	s_cmp_lt_i32 s15, 24
	s_cbranch_scc1 .LBB33_121
; %bb.110:
	s_cmp_gt_i32 s15, 24
	s_cbranch_scc0 .LBB33_122
; %bb.111:
	global_load_u8 v3, v[0:1], off
	s_mov_b32 s17, 0
	s_mov_b32 s21, exec_lo
	s_wait_loadcnt 0x0
	v_cmpx_lt_i16_e32 0x7f, v3
	s_xor_b32 s21, exec_lo, s21
	s_cbranch_execz .LBB33_134
; %bb.112:
	s_mov_b32 s17, -1
	s_mov_b32 s22, exec_lo
	v_cmpx_eq_u16_e32 0x80, v3
; %bb.113:
	s_xor_b32 s17, exec_lo, -1
; %bb.114:
	s_or_b32 exec_lo, exec_lo, s22
	s_delay_alu instid0(SALU_CYCLE_1)
	s_and_b32 s17, s17, exec_lo
	s_or_saveexec_b32 s21, s21
	v_mov_b32_e32 v2, 0x7f800001
	s_xor_b32 exec_lo, exec_lo, s21
	s_cbranch_execnz .LBB33_135
.LBB33_115:
	s_or_b32 exec_lo, exec_lo, s21
	s_and_saveexec_b32 s21, s17
	s_cbranch_execz .LBB33_117
.LBB33_116:
	v_and_b32_e32 v2, 0xffff, v3
	s_delay_alu instid0(VALU_DEP_1) | instskip(SKIP_1) | instid1(VALU_DEP_2)
	v_and_b32_e32 v4, 3, v2
	v_bfe_u32 v8, v2, 2, 5
	v_clz_i32_u32_e32 v5, v4
	s_delay_alu instid0(VALU_DEP_2) | instskip(NEXT) | instid1(VALU_DEP_2)
	v_cmp_eq_u32_e32 vcc_lo, 0, v8
	v_min_u32_e32 v5, 32, v5
	s_delay_alu instid0(VALU_DEP_1) | instskip(NEXT) | instid1(VALU_DEP_1)
	v_subrev_nc_u32_e32 v7, 29, v5
	v_dual_lshlrev_b32 v2, v7, v2 :: v_dual_sub_nc_u32 v5, 30, v5
	s_delay_alu instid0(VALU_DEP_1) | instskip(NEXT) | instid1(VALU_DEP_2)
	v_dual_lshlrev_b32 v3, 24, v3 :: v_dual_bitop2_b32 v2, 3, v2 bitop3:0x40
	v_cndmask_b32_e32 v5, v8, v5, vcc_lo
	s_delay_alu instid0(VALU_DEP_2) | instskip(NEXT) | instid1(VALU_DEP_3)
	v_cndmask_b32_e32 v2, v4, v2, vcc_lo
	v_and_b32_e32 v3, 0x80000000, v3
	s_delay_alu instid0(VALU_DEP_3) | instskip(NEXT) | instid1(VALU_DEP_3)
	v_lshl_add_u32 v4, v5, 23, 0x37800000
	v_lshlrev_b32_e32 v2, 21, v2
	s_delay_alu instid0(VALU_DEP_1)
	v_or3_b32 v2, v3, v4, v2
.LBB33_117:
	s_or_b32 exec_lo, exec_lo, s21
	s_mov_b32 s17, 0
	s_branch .LBB33_123
.LBB33_118:
	s_mov_b32 s21, -1
                                        ; implicit-def: $vgpr2
	s_branch .LBB33_129
.LBB33_119:
	s_or_saveexec_b32 s21, s21
	v_mov_b32_e32 v2, 0x7f800001
	s_xor_b32 exec_lo, exec_lo, s21
	s_cbranch_execz .LBB33_103
.LBB33_120:
	v_cmp_ne_u16_e32 vcc_lo, 0, v3
	v_mov_b32_e32 v2, 0
	s_and_not1_b32 s17, s17, exec_lo
	s_and_b32 s22, vcc_lo, exec_lo
	s_delay_alu instid0(SALU_CYCLE_1)
	s_or_b32 s17, s17, s22
	s_or_b32 exec_lo, exec_lo, s21
	s_and_saveexec_b32 s21, s17
	s_cbranch_execnz .LBB33_104
	s_branch .LBB33_105
.LBB33_121:
	s_mov_b32 s17, -1
                                        ; implicit-def: $vgpr2
	s_branch .LBB33_126
.LBB33_122:
	s_mov_b32 s17, -1
                                        ; implicit-def: $vgpr2
.LBB33_123:
	s_delay_alu instid0(SALU_CYCLE_1)
	s_and_b32 vcc_lo, exec_lo, s17
	s_cbranch_vccz .LBB33_125
; %bb.124:
	global_load_u8 v2, v[0:1], off
	s_wait_loadcnt 0x0
	v_lshlrev_b32_e32 v2, 24, v2
	s_delay_alu instid0(VALU_DEP_1) | instskip(NEXT) | instid1(VALU_DEP_1)
	v_and_b32_e32 v3, 0x7f000000, v2
	v_clz_i32_u32_e32 v4, v3
	v_add_nc_u32_e32 v7, 0x1000000, v3
	v_cmp_ne_u32_e32 vcc_lo, 0, v3
	s_delay_alu instid0(VALU_DEP_3) | instskip(NEXT) | instid1(VALU_DEP_1)
	v_min_u32_e32 v4, 32, v4
	v_sub_nc_u32_e64 v4, v4, 4 clamp
	s_delay_alu instid0(VALU_DEP_1) | instskip(NEXT) | instid1(VALU_DEP_1)
	v_dual_lshlrev_b32 v5, v4, v3 :: v_dual_lshlrev_b32 v4, 23, v4
	v_lshrrev_b32_e32 v5, 4, v5
	s_delay_alu instid0(VALU_DEP_1) | instskip(NEXT) | instid1(VALU_DEP_1)
	v_dual_sub_nc_u32 v4, v5, v4 :: v_dual_ashrrev_i32 v5, 8, v7
	v_add_nc_u32_e32 v4, 0x3c000000, v4
	s_delay_alu instid0(VALU_DEP_1) | instskip(NEXT) | instid1(VALU_DEP_1)
	v_and_or_b32 v4, 0x7f800000, v5, v4
	v_cndmask_b32_e32 v3, 0, v4, vcc_lo
	s_delay_alu instid0(VALU_DEP_1)
	v_and_or_b32 v2, 0x80000000, v2, v3
.LBB33_125:
	s_mov_b32 s17, 0
.LBB33_126:
	s_delay_alu instid0(SALU_CYCLE_1)
	s_and_not1_b32 vcc_lo, exec_lo, s17
	s_cbranch_vccnz .LBB33_128
; %bb.127:
	global_load_u8 v2, v[0:1], off
	s_wait_loadcnt 0x0
	v_lshlrev_b32_e32 v3, 25, v2
	v_lshlrev_b16 v2, 8, v2
	s_delay_alu instid0(VALU_DEP_1) | instskip(SKIP_1) | instid1(VALU_DEP_2)
	v_and_or_b32 v5, 0x7f00, v2, 0.5
	v_bfe_i32 v2, v2, 0, 16
	v_dual_add_f32 v5, -0.5, v5 :: v_dual_lshrrev_b32 v4, 4, v3
	v_cmp_gt_u32_e32 vcc_lo, 0x8000000, v3
	s_delay_alu instid0(VALU_DEP_2) | instskip(NEXT) | instid1(VALU_DEP_1)
	v_or_b32_e32 v4, 0x70000000, v4
	v_mul_f32_e32 v4, 0x7800000, v4
	s_delay_alu instid0(VALU_DEP_1) | instskip(NEXT) | instid1(VALU_DEP_1)
	v_cndmask_b32_e32 v3, v4, v5, vcc_lo
	v_and_or_b32 v2, 0x80000000, v2, v3
.LBB33_128:
	s_mov_b32 s21, 0
	s_mov_b32 s17, -1
.LBB33_129:
	s_and_not1_b32 vcc_lo, exec_lo, s21
	s_cbranch_vccnz .LBB33_142
; %bb.130:
	s_cmp_gt_i32 s15, 14
	s_cbranch_scc0 .LBB33_133
; %bb.131:
	s_cmp_eq_u32 s15, 15
	s_cbranch_scc0 .LBB33_136
; %bb.132:
	global_load_u16 v2, v[0:1], off
	s_mov_b32 s17, -1
	s_mov_b32 s18, 0
	s_wait_loadcnt 0x0
	v_lshlrev_b32_e32 v2, 16, v2
	s_branch .LBB33_137
.LBB33_133:
	s_mov_b32 s21, -1
                                        ; implicit-def: $vgpr2
	s_branch .LBB33_138
.LBB33_134:
	s_or_saveexec_b32 s21, s21
	v_mov_b32_e32 v2, 0x7f800001
	s_xor_b32 exec_lo, exec_lo, s21
	s_cbranch_execz .LBB33_115
.LBB33_135:
	v_cmp_ne_u16_e32 vcc_lo, 0, v3
	v_mov_b32_e32 v2, 0
	s_and_not1_b32 s17, s17, exec_lo
	s_and_b32 s22, vcc_lo, exec_lo
	s_delay_alu instid0(SALU_CYCLE_1)
	s_or_b32 s17, s17, s22
	s_or_b32 exec_lo, exec_lo, s21
	s_and_saveexec_b32 s21, s17
	s_cbranch_execnz .LBB33_116
	s_branch .LBB33_117
.LBB33_136:
	s_mov_b32 s18, -1
                                        ; implicit-def: $vgpr2
.LBB33_137:
	s_mov_b32 s21, 0
.LBB33_138:
	s_delay_alu instid0(SALU_CYCLE_1)
	s_and_b32 vcc_lo, exec_lo, s21
	s_cbranch_vccz .LBB33_142
; %bb.139:
	s_cmp_eq_u32 s15, 11
	s_cbranch_scc0 .LBB33_141
; %bb.140:
	global_load_u8 v2, v[0:1], off
	s_mov_b32 s18, 0
	s_mov_b32 s17, -1
	s_wait_loadcnt 0x0
	v_cmp_ne_u16_e32 vcc_lo, 0, v2
	v_cndmask_b32_e64 v2, 0, 1.0, vcc_lo
	s_branch .LBB33_142
.LBB33_141:
	s_mov_b32 s18, -1
                                        ; implicit-def: $vgpr2
.LBB33_142:
	s_branch .LBB33_10
.LBB33_143:
	s_and_b32 s0, 0xffff, s0
	s_delay_alu instid0(SALU_CYCLE_1)
	s_cmp_lt_i32 s0, 5
	s_cbranch_scc1 .LBB33_148
; %bb.144:
	s_cmp_lt_i32 s0, 8
	s_cbranch_scc1 .LBB33_149
; %bb.145:
	;; [unrolled: 3-line block ×3, first 2 shown]
	s_cmp_gt_i32 s0, 9
	s_cbranch_scc0 .LBB33_151
; %bb.147:
	global_load_b64 v[2:3], v[0:1], off
	s_mov_b32 s15, 0
	s_wait_loadcnt 0x0
	v_cvt_f32_f64_e32 v2, v[2:3]
	s_branch .LBB33_152
.LBB33_148:
                                        ; implicit-def: $vgpr2
	s_branch .LBB33_170
.LBB33_149:
	s_mov_b32 s15, -1
                                        ; implicit-def: $vgpr2
	s_branch .LBB33_158
.LBB33_150:
	s_mov_b32 s15, -1
                                        ; implicit-def: $vgpr2
	s_branch .LBB33_155
.LBB33_151:
	s_mov_b32 s15, -1
                                        ; implicit-def: $vgpr2
.LBB33_152:
	s_delay_alu instid0(SALU_CYCLE_1)
	s_and_not1_b32 vcc_lo, exec_lo, s15
	s_cbranch_vccnz .LBB33_154
; %bb.153:
	global_load_b32 v2, v[0:1], off
.LBB33_154:
	s_mov_b32 s15, 0
.LBB33_155:
	s_delay_alu instid0(SALU_CYCLE_1)
	s_and_not1_b32 vcc_lo, exec_lo, s15
	s_cbranch_vccnz .LBB33_157
; %bb.156:
	s_wait_loadcnt 0x0
	global_load_b32 v2, v[0:1], off
	s_wait_loadcnt 0x0
	v_cvt_f32_f16_e32 v2, v2
.LBB33_157:
	s_mov_b32 s15, 0
.LBB33_158:
	s_delay_alu instid0(SALU_CYCLE_1)
	s_and_not1_b32 vcc_lo, exec_lo, s15
	s_cbranch_vccnz .LBB33_169
; %bb.159:
	s_cmp_lt_i32 s0, 6
	s_cbranch_scc1 .LBB33_162
; %bb.160:
	s_cmp_gt_i32 s0, 6
	s_cbranch_scc0 .LBB33_163
; %bb.161:
	s_wait_loadcnt 0x0
	global_load_b64 v[2:3], v[0:1], off
	s_mov_b32 s15, 0
	s_wait_loadcnt 0x0
	v_cvt_f32_f64_e32 v2, v[2:3]
	s_branch .LBB33_164
.LBB33_162:
	s_mov_b32 s15, -1
                                        ; implicit-def: $vgpr2
	s_branch .LBB33_167
.LBB33_163:
	s_mov_b32 s15, -1
                                        ; implicit-def: $vgpr2
.LBB33_164:
	s_delay_alu instid0(SALU_CYCLE_1)
	s_and_not1_b32 vcc_lo, exec_lo, s15
	s_cbranch_vccnz .LBB33_166
; %bb.165:
	s_wait_loadcnt 0x0
	global_load_b32 v2, v[0:1], off
.LBB33_166:
	s_mov_b32 s15, 0
.LBB33_167:
	s_delay_alu instid0(SALU_CYCLE_1)
	s_and_not1_b32 vcc_lo, exec_lo, s15
	s_cbranch_vccnz .LBB33_169
; %bb.168:
	s_wait_loadcnt 0x0
	global_load_u16 v2, v[0:1], off
	s_wait_loadcnt 0x0
	v_cvt_f32_f16_e32 v2, v2
.LBB33_169:
	s_cbranch_execnz .LBB33_189
.LBB33_170:
	s_cmp_lt_i32 s0, 2
	s_cbranch_scc1 .LBB33_174
; %bb.171:
	s_cmp_lt_i32 s0, 3
	s_cbranch_scc1 .LBB33_175
; %bb.172:
	s_cmp_gt_i32 s0, 3
	s_cbranch_scc0 .LBB33_176
; %bb.173:
	s_wait_loadcnt 0x0
	global_load_b64 v[2:3], v[0:1], off
	s_mov_b32 s15, 0
	s_wait_loadcnt 0x0
	v_xor_b32_e32 v4, v2, v3
	v_cls_i32_e32 v5, v3
	s_delay_alu instid0(VALU_DEP_2) | instskip(NEXT) | instid1(VALU_DEP_1)
	v_ashrrev_i32_e32 v4, 31, v4
	v_add_nc_u32_e32 v4, 32, v4
	s_delay_alu instid0(VALU_DEP_1) | instskip(NEXT) | instid1(VALU_DEP_1)
	v_add_min_u32_e64 v4, v5, -1, v4
	v_lshlrev_b64_e32 v[2:3], v4, v[2:3]
	s_delay_alu instid0(VALU_DEP_1) | instskip(NEXT) | instid1(VALU_DEP_1)
	v_min_u32_e32 v2, 1, v2
	v_dual_sub_nc_u32 v3, 32, v4 :: v_dual_bitop2_b32 v2, v3, v2 bitop3:0x54
	s_delay_alu instid0(VALU_DEP_1) | instskip(NEXT) | instid1(VALU_DEP_1)
	v_cvt_f32_i32_e32 v2, v2
	v_ldexp_f32 v2, v2, v3
	s_branch .LBB33_177
.LBB33_174:
	s_mov_b32 s15, -1
                                        ; implicit-def: $vgpr2
	s_branch .LBB33_183
.LBB33_175:
	s_mov_b32 s15, -1
                                        ; implicit-def: $vgpr2
	s_branch .LBB33_180
.LBB33_176:
	s_mov_b32 s15, -1
                                        ; implicit-def: $vgpr2
.LBB33_177:
	s_delay_alu instid0(SALU_CYCLE_1)
	s_and_not1_b32 vcc_lo, exec_lo, s15
	s_cbranch_vccnz .LBB33_179
; %bb.178:
	s_wait_loadcnt 0x0
	global_load_b32 v2, v[0:1], off
	s_wait_loadcnt 0x0
	v_cvt_f32_i32_e32 v2, v2
.LBB33_179:
	s_mov_b32 s15, 0
.LBB33_180:
	s_delay_alu instid0(SALU_CYCLE_1)
	s_and_not1_b32 vcc_lo, exec_lo, s15
	s_cbranch_vccnz .LBB33_182
; %bb.181:
	s_wait_loadcnt 0x0
	global_load_i16 v2, v[0:1], off
	s_wait_loadcnt 0x0
	v_cvt_f32_i32_e32 v2, v2
.LBB33_182:
	s_mov_b32 s15, 0
.LBB33_183:
	s_delay_alu instid0(SALU_CYCLE_1)
	s_and_not1_b32 vcc_lo, exec_lo, s15
	s_cbranch_vccnz .LBB33_189
; %bb.184:
	s_cmp_gt_i32 s0, 0
	s_mov_b32 s0, 0
	s_cbranch_scc0 .LBB33_186
; %bb.185:
	s_wait_loadcnt 0x0
	global_load_i8 v2, v[0:1], off
	s_wait_loadcnt 0x0
	v_cvt_f32_i32_e32 v2, v2
	s_branch .LBB33_187
.LBB33_186:
	s_mov_b32 s0, -1
                                        ; implicit-def: $vgpr2
.LBB33_187:
	s_delay_alu instid0(SALU_CYCLE_1)
	s_and_not1_b32 vcc_lo, exec_lo, s0
	s_cbranch_vccnz .LBB33_189
; %bb.188:
	global_load_u8 v0, v[0:1], off
	s_wait_loadcnt 0x0
	v_cvt_f32_ubyte0_e32 v2, v0
.LBB33_189:
	s_branch .LBB33_11
.LBB33_190:
	s_mov_b32 s0, 0
	s_mov_b32 s17, 0
	s_branch .LBB33_379
.LBB33_191:
	s_mov_b32 s17, -1
.LBB33_192:
	s_mov_b32 s21, 0
                                        ; implicit-def: $vgpr3
.LBB33_193:
	s_and_b32 vcc_lo, exec_lo, s22
	s_cbranch_vccz .LBB33_269
; %bb.194:
	s_cmp_eq_u32 s15, 44
	s_cbranch_scc0 .LBB33_268
; %bb.195:
	global_load_u8 v3, v[0:1], off
	s_mov_b32 s17, 0
	s_mov_b32 s21, -1
	s_wait_loadcnt 0x0
	v_lshlrev_b32_e32 v4, 23, v3
	v_cmp_ne_u32_e32 vcc_lo, 0xff, v3
	s_delay_alu instid0(VALU_DEP_2) | instskip(SKIP_1) | instid1(VALU_DEP_2)
	v_cndmask_b32_e32 v4, 0x7f800001, v4, vcc_lo
	v_cmp_ne_u32_e32 vcc_lo, 0, v3
	v_cndmask_b32_e32 v3, 0x400000, v4, vcc_lo
	s_branch .LBB33_269
.LBB33_196:
	s_mov_b32 s23, -1
.LBB33_197:
	s_delay_alu instid0(SALU_CYCLE_1)
	s_and_b32 vcc_lo, exec_lo, s23
	s_cbranch_vccz .LBB33_202
; %bb.198:
	s_cmp_eq_u32 s21, 44
	s_mov_b32 s0, -1
	s_cbranch_scc0 .LBB33_202
; %bb.199:
	v_bfe_u32 v4, v2, 23, 8
	s_wait_xcnt 0x0
	v_mov_b32_e32 v3, 0xff
	s_mov_b32 s22, exec_lo
	s_delay_alu instid0(VALU_DEP_2)
	v_cmpx_ne_u32_e32 0xff, v4
	s_cbranch_execz .LBB33_201
; %bb.200:
	v_and_b32_e32 v3, 0x400000, v2
	v_and_or_b32 v4, 0x3fffff, v2, v4
	s_delay_alu instid0(VALU_DEP_2) | instskip(NEXT) | instid1(VALU_DEP_2)
	v_cmp_ne_u32_e32 vcc_lo, 0, v3
	v_cmp_ne_u32_e64 s0, 0, v4
	v_lshrrev_b32_e32 v3, 23, v2
	s_and_b32 s0, vcc_lo, s0
	s_delay_alu instid0(SALU_CYCLE_1) | instskip(NEXT) | instid1(VALU_DEP_1)
	v_cndmask_b32_e64 v4, 0, 1, s0
	v_add_nc_u32_e32 v3, v3, v4
.LBB33_201:
	s_or_b32 exec_lo, exec_lo, s22
	s_mov_b32 s22, -1
	s_mov_b32 s0, 0
	global_store_b8 v[0:1], v3, off
.LBB33_202:
	s_mov_b32 s23, 0
.LBB33_203:
	s_delay_alu instid0(SALU_CYCLE_1)
	s_and_b32 vcc_lo, exec_lo, s23
	s_cbranch_vccz .LBB33_206
; %bb.204:
	s_cmp_eq_u32 s21, 29
	s_mov_b32 s0, -1
	s_cbranch_scc0 .LBB33_206
; %bb.205:
	s_wait_xcnt 0x0
	v_trunc_f32_e32 v3, v2
	s_mov_b32 s22, -1
	s_mov_b32 s0, 0
	s_mov_b32 s23, 0
	s_delay_alu instid0(VALU_DEP_1) | instskip(NEXT) | instid1(VALU_DEP_1)
	v_mul_f32_e32 v4, 0x2f800000, v3
	v_floor_f32_e32 v4, v4
	s_delay_alu instid0(VALU_DEP_1) | instskip(SKIP_1) | instid1(VALU_DEP_2)
	v_fmamk_f32 v3, v4, 0xcf800000, v3
	v_cvt_u32_f32_e32 v5, v4
	v_cvt_u32_f32_e32 v4, v3
	global_store_b64 v[0:1], v[4:5], off
	s_branch .LBB33_207
.LBB33_206:
	s_mov_b32 s23, 0
.LBB33_207:
	s_delay_alu instid0(SALU_CYCLE_1)
	s_and_b32 vcc_lo, exec_lo, s23
	s_cbranch_vccz .LBB33_223
; %bb.208:
	s_cmp_lt_i32 s21, 27
	s_mov_b32 s22, -1
	s_cbranch_scc1 .LBB33_214
; %bb.209:
	s_wait_xcnt 0x0
	v_cvt_u32_f32_e32 v3, v2
	s_cmp_gt_i32 s21, 27
	s_cbranch_scc0 .LBB33_211
; %bb.210:
	s_mov_b32 s22, 0
	global_store_b32 v[0:1], v3, off
.LBB33_211:
	s_and_not1_b32 vcc_lo, exec_lo, s22
	s_cbranch_vccnz .LBB33_213
; %bb.212:
	global_store_b16 v[0:1], v3, off
.LBB33_213:
	s_mov_b32 s22, 0
.LBB33_214:
	s_delay_alu instid0(SALU_CYCLE_1)
	s_and_not1_b32 vcc_lo, exec_lo, s22
	s_cbranch_vccnz .LBB33_222
; %bb.215:
	s_wait_xcnt 0x0
	v_and_b32_e32 v3, 0x7fffffff, v2
	v_mov_b32_e32 v4, 0x80
	s_mov_b32 s22, exec_lo
	s_delay_alu instid0(VALU_DEP_2)
	v_cmpx_gt_u32_e32 0x43800000, v3
	s_cbranch_execz .LBB33_221
; %bb.216:
	v_cmp_lt_u32_e32 vcc_lo, 0x3bffffff, v3
	s_mov_b32 s23, 0
                                        ; implicit-def: $vgpr3
	s_and_saveexec_b32 s24, vcc_lo
	s_delay_alu instid0(SALU_CYCLE_1)
	s_xor_b32 s24, exec_lo, s24
	s_cbranch_execz .LBB33_410
; %bb.217:
	v_bfe_u32 v3, v2, 20, 1
	s_mov_b32 s23, exec_lo
	s_delay_alu instid0(VALU_DEP_1) | instskip(NEXT) | instid1(VALU_DEP_1)
	v_add3_u32 v3, v2, v3, 0x487ffff
	v_lshrrev_b32_e32 v3, 20, v3
	s_and_not1_saveexec_b32 s24, s24
	s_cbranch_execnz .LBB33_411
.LBB33_218:
	s_or_b32 exec_lo, exec_lo, s24
	v_mov_b32_e32 v4, 0
	s_and_saveexec_b32 s24, s23
.LBB33_219:
	v_lshrrev_b32_e32 v4, 24, v2
	s_delay_alu instid0(VALU_DEP_1)
	v_and_or_b32 v4, 0x80, v4, v3
.LBB33_220:
	s_or_b32 exec_lo, exec_lo, s24
.LBB33_221:
	s_delay_alu instid0(SALU_CYCLE_1)
	s_or_b32 exec_lo, exec_lo, s22
	global_store_b8 v[0:1], v4, off
.LBB33_222:
	s_mov_b32 s22, -1
.LBB33_223:
	s_mov_b32 s23, 0
.LBB33_224:
	s_delay_alu instid0(SALU_CYCLE_1)
	s_and_b32 vcc_lo, exec_lo, s23
	s_cbranch_vccz .LBB33_265
; %bb.225:
	s_cmp_gt_i32 s21, 22
	s_mov_b32 s23, -1
	s_cbranch_scc0 .LBB33_257
; %bb.226:
	s_cmp_lt_i32 s21, 24
	s_mov_b32 s22, -1
	s_cbranch_scc1 .LBB33_246
; %bb.227:
	s_cmp_gt_i32 s21, 24
	s_cbranch_scc0 .LBB33_235
; %bb.228:
	s_wait_xcnt 0x0
	v_and_b32_e32 v3, 0x7fffffff, v2
	v_mov_b32_e32 v4, 0x80
	s_mov_b32 s22, exec_lo
	s_delay_alu instid0(VALU_DEP_2)
	v_cmpx_gt_u32_e32 0x47800000, v3
	s_cbranch_execz .LBB33_234
; %bb.229:
	v_cmp_lt_u32_e32 vcc_lo, 0x37ffffff, v3
	s_mov_b32 s23, 0
                                        ; implicit-def: $vgpr3
	s_and_saveexec_b32 s24, vcc_lo
	s_delay_alu instid0(SALU_CYCLE_1)
	s_xor_b32 s24, exec_lo, s24
	s_cbranch_execz .LBB33_529
; %bb.230:
	v_bfe_u32 v3, v2, 21, 1
	s_mov_b32 s23, exec_lo
	s_delay_alu instid0(VALU_DEP_1) | instskip(NEXT) | instid1(VALU_DEP_1)
	v_add3_u32 v3, v2, v3, 0x88fffff
	v_lshrrev_b32_e32 v3, 21, v3
	s_and_not1_saveexec_b32 s24, s24
	s_cbranch_execnz .LBB33_530
.LBB33_231:
	s_or_b32 exec_lo, exec_lo, s24
	v_mov_b32_e32 v4, 0
	s_and_saveexec_b32 s24, s23
.LBB33_232:
	v_lshrrev_b32_e32 v4, 24, v2
	s_delay_alu instid0(VALU_DEP_1)
	v_and_or_b32 v4, 0x80, v4, v3
.LBB33_233:
	s_or_b32 exec_lo, exec_lo, s24
.LBB33_234:
	s_delay_alu instid0(SALU_CYCLE_1)
	s_or_b32 exec_lo, exec_lo, s22
	s_mov_b32 s22, 0
	global_store_b8 v[0:1], v4, off
.LBB33_235:
	s_and_b32 vcc_lo, exec_lo, s22
	s_cbranch_vccz .LBB33_245
; %bb.236:
	s_wait_xcnt 0x0
	v_and_b32_e32 v4, 0x7fffffff, v2
	s_mov_b32 s22, exec_lo
                                        ; implicit-def: $vgpr3
	s_delay_alu instid0(VALU_DEP_1)
	v_cmpx_gt_u32_e32 0x43f00000, v4
	s_xor_b32 s22, exec_lo, s22
	s_cbranch_execz .LBB33_242
; %bb.237:
	s_mov_b32 s23, exec_lo
                                        ; implicit-def: $vgpr3
	v_cmpx_lt_u32_e32 0x3c7fffff, v4
	s_xor_b32 s23, exec_lo, s23
; %bb.238:
	v_bfe_u32 v3, v2, 20, 1
	s_delay_alu instid0(VALU_DEP_1) | instskip(NEXT) | instid1(VALU_DEP_1)
	v_add3_u32 v3, v2, v3, 0x407ffff
	v_and_b32_e32 v4, 0xff00000, v3
	v_lshrrev_b32_e32 v3, 20, v3
	s_delay_alu instid0(VALU_DEP_2) | instskip(NEXT) | instid1(VALU_DEP_2)
	v_cmp_ne_u32_e32 vcc_lo, 0x7f00000, v4
	v_cndmask_b32_e32 v3, 0x7e, v3, vcc_lo
; %bb.239:
	s_and_not1_saveexec_b32 s23, s23
; %bb.240:
	v_add_f32_e64 v3, 0x46800000, |v2|
; %bb.241:
	s_or_b32 exec_lo, exec_lo, s23
                                        ; implicit-def: $vgpr4
.LBB33_242:
	s_and_not1_saveexec_b32 s22, s22
; %bb.243:
	v_mov_b32_e32 v3, 0x7f
	v_cmp_lt_u32_e32 vcc_lo, 0x7f800000, v4
	s_delay_alu instid0(VALU_DEP_2)
	v_cndmask_b32_e32 v3, 0x7e, v3, vcc_lo
; %bb.244:
	s_or_b32 exec_lo, exec_lo, s22
	v_lshrrev_b32_e32 v4, 24, v2
	s_delay_alu instid0(VALU_DEP_1)
	v_and_or_b32 v3, 0x80, v4, v3
	global_store_b8 v[0:1], v3, off
.LBB33_245:
	s_mov_b32 s22, 0
.LBB33_246:
	s_delay_alu instid0(SALU_CYCLE_1)
	s_and_not1_b32 vcc_lo, exec_lo, s22
	s_cbranch_vccnz .LBB33_256
; %bb.247:
	s_wait_xcnt 0x0
	v_and_b32_e32 v4, 0x7fffffff, v2
	s_mov_b32 s22, exec_lo
                                        ; implicit-def: $vgpr3
	s_delay_alu instid0(VALU_DEP_1)
	v_cmpx_gt_u32_e32 0x47800000, v4
	s_xor_b32 s22, exec_lo, s22
	s_cbranch_execz .LBB33_253
; %bb.248:
	s_mov_b32 s23, exec_lo
                                        ; implicit-def: $vgpr3
	v_cmpx_lt_u32_e32 0x387fffff, v4
	s_xor_b32 s23, exec_lo, s23
; %bb.249:
	v_bfe_u32 v3, v2, 21, 1
	s_delay_alu instid0(VALU_DEP_1) | instskip(NEXT) | instid1(VALU_DEP_1)
	v_add3_u32 v3, v2, v3, 0x80fffff
	v_lshrrev_b32_e32 v3, 21, v3
; %bb.250:
	s_and_not1_saveexec_b32 s23, s23
; %bb.251:
	v_add_f32_e64 v3, 0x43000000, |v2|
; %bb.252:
	s_or_b32 exec_lo, exec_lo, s23
                                        ; implicit-def: $vgpr4
.LBB33_253:
	s_and_not1_saveexec_b32 s22, s22
; %bb.254:
	v_mov_b32_e32 v3, 0x7f
	v_cmp_lt_u32_e32 vcc_lo, 0x7f800000, v4
	s_delay_alu instid0(VALU_DEP_2)
	v_cndmask_b32_e32 v3, 0x7c, v3, vcc_lo
; %bb.255:
	s_or_b32 exec_lo, exec_lo, s22
	v_lshrrev_b32_e32 v4, 24, v2
	s_delay_alu instid0(VALU_DEP_1)
	v_and_or_b32 v3, 0x80, v4, v3
	global_store_b8 v[0:1], v3, off
.LBB33_256:
	s_mov_b32 s23, 0
	s_mov_b32 s22, -1
.LBB33_257:
	s_and_not1_b32 vcc_lo, exec_lo, s23
	s_cbranch_vccnz .LBB33_265
; %bb.258:
	s_cmp_gt_i32 s21, 14
	s_mov_b32 s23, -1
	s_cbranch_scc0 .LBB33_262
; %bb.259:
	s_cmp_eq_u32 s21, 15
	s_mov_b32 s0, -1
	s_cbranch_scc0 .LBB33_261
; %bb.260:
	s_wait_xcnt 0x0
	v_bfe_u32 v3, v2, 16, 1
	v_cmp_o_f32_e32 vcc_lo, v2, v2
	s_mov_b32 s22, -1
	s_mov_b32 s0, 0
	s_delay_alu instid0(VALU_DEP_2) | instskip(NEXT) | instid1(VALU_DEP_1)
	v_add3_u32 v3, v2, v3, 0x7fff
	v_lshrrev_b32_e32 v3, 16, v3
	s_delay_alu instid0(VALU_DEP_1)
	v_cndmask_b32_e32 v3, 0x7fc0, v3, vcc_lo
	global_store_b16 v[0:1], v3, off
.LBB33_261:
	s_mov_b32 s23, 0
.LBB33_262:
	s_delay_alu instid0(SALU_CYCLE_1)
	s_and_b32 vcc_lo, exec_lo, s23
	s_cbranch_vccz .LBB33_265
; %bb.263:
	s_cmp_eq_u32 s21, 11
	s_mov_b32 s0, -1
	s_cbranch_scc0 .LBB33_265
; %bb.264:
	v_cmp_neq_f32_e32 vcc_lo, 0, v2
	s_mov_b32 s0, 0
	s_mov_b32 s22, -1
	s_wait_xcnt 0x0
	v_cndmask_b32_e64 v3, 0, 1, vcc_lo
	global_store_b8 v[0:1], v3, off
.LBB33_265:
.LBB33_266:
	s_and_not1_b32 vcc_lo, exec_lo, s22
	s_cbranch_vccnz .LBB33_379
.LBB33_267:
	v_add_nc_u32_e32 v6, 0x80, v6
	s_mov_b32 s21, -1
	s_branch .LBB33_380
.LBB33_268:
	s_mov_b32 s17, -1
                                        ; implicit-def: $vgpr3
.LBB33_269:
	s_mov_b32 s22, 0
.LBB33_270:
	s_delay_alu instid0(SALU_CYCLE_1)
	s_and_b32 vcc_lo, exec_lo, s22
	s_cbranch_vccz .LBB33_274
; %bb.271:
	s_cmp_eq_u32 s15, 29
	s_cbranch_scc0 .LBB33_273
; %bb.272:
	global_load_b64 v[4:5], v[0:1], off
	s_mov_b32 s21, -1
	s_mov_b32 s17, 0
	s_mov_b32 s22, 0
	s_wait_loadcnt 0x0
	v_clz_i32_u32_e32 v3, v5
	s_delay_alu instid0(VALU_DEP_1) | instskip(NEXT) | instid1(VALU_DEP_1)
	v_min_u32_e32 v3, 32, v3
	v_lshlrev_b64_e32 v[4:5], v3, v[4:5]
	v_sub_nc_u32_e32 v3, 32, v3
	s_delay_alu instid0(VALU_DEP_2) | instskip(NEXT) | instid1(VALU_DEP_1)
	v_min_u32_e32 v4, 1, v4
	v_or_b32_e32 v4, v5, v4
	s_delay_alu instid0(VALU_DEP_1) | instskip(NEXT) | instid1(VALU_DEP_1)
	v_cvt_f32_u32_e32 v4, v4
	v_ldexp_f32 v3, v4, v3
	s_branch .LBB33_275
.LBB33_273:
	s_mov_b32 s17, -1
                                        ; implicit-def: $vgpr3
.LBB33_274:
	s_mov_b32 s22, 0
.LBB33_275:
	s_delay_alu instid0(SALU_CYCLE_1)
	s_and_b32 vcc_lo, exec_lo, s22
	s_cbranch_vccz .LBB33_293
; %bb.276:
	s_cmp_lt_i32 s15, 27
	s_cbranch_scc1 .LBB33_279
; %bb.277:
	s_cmp_gt_i32 s15, 27
	s_cbranch_scc0 .LBB33_280
; %bb.278:
	global_load_b32 v3, v[0:1], off
	s_mov_b32 s21, 0
	s_wait_loadcnt 0x0
	v_cvt_f32_u32_e32 v3, v3
	s_branch .LBB33_281
.LBB33_279:
	s_mov_b32 s21, -1
                                        ; implicit-def: $vgpr3
	s_branch .LBB33_284
.LBB33_280:
	s_mov_b32 s21, -1
                                        ; implicit-def: $vgpr3
.LBB33_281:
	s_delay_alu instid0(SALU_CYCLE_1)
	s_and_not1_b32 vcc_lo, exec_lo, s21
	s_cbranch_vccnz .LBB33_283
; %bb.282:
	global_load_u16 v3, v[0:1], off
	s_wait_loadcnt 0x0
	v_cvt_f32_u32_e32 v3, v3
.LBB33_283:
	s_mov_b32 s21, 0
.LBB33_284:
	s_delay_alu instid0(SALU_CYCLE_1)
	s_and_not1_b32 vcc_lo, exec_lo, s21
	s_cbranch_vccnz .LBB33_292
; %bb.285:
	global_load_u8 v4, v[0:1], off
	s_mov_b32 s21, 0
	s_mov_b32 s22, exec_lo
	s_wait_loadcnt 0x0
	v_cmpx_lt_i16_e32 0x7f, v4
	s_xor_b32 s22, exec_lo, s22
	s_cbranch_execz .LBB33_306
; %bb.286:
	s_mov_b32 s21, -1
	s_mov_b32 s23, exec_lo
	v_cmpx_eq_u16_e32 0x80, v4
; %bb.287:
	s_xor_b32 s21, exec_lo, -1
; %bb.288:
	s_or_b32 exec_lo, exec_lo, s23
	s_delay_alu instid0(SALU_CYCLE_1)
	s_and_b32 s21, s21, exec_lo
	s_or_saveexec_b32 s22, s22
	v_mov_b32_e32 v3, 0x7f800001
	s_xor_b32 exec_lo, exec_lo, s22
	s_cbranch_execnz .LBB33_307
.LBB33_289:
	s_or_b32 exec_lo, exec_lo, s22
	s_and_saveexec_b32 s22, s21
	s_cbranch_execz .LBB33_291
.LBB33_290:
	v_and_b32_e32 v3, 0xffff, v4
	s_delay_alu instid0(VALU_DEP_1) | instskip(SKIP_1) | instid1(VALU_DEP_2)
	v_dual_lshlrev_b32 v4, 24, v4 :: v_dual_bitop2_b32 v5, 7, v3 bitop3:0x40
	v_bfe_u32 v9, v3, 3, 4
	v_and_b32_e32 v4, 0x80000000, v4
	s_delay_alu instid0(VALU_DEP_3) | instskip(NEXT) | instid1(VALU_DEP_3)
	v_clz_i32_u32_e32 v7, v5
	v_cmp_eq_u32_e32 vcc_lo, 0, v9
	s_delay_alu instid0(VALU_DEP_2) | instskip(NEXT) | instid1(VALU_DEP_1)
	v_min_u32_e32 v7, 32, v7
	v_subrev_nc_u32_e32 v8, 28, v7
	v_sub_nc_u32_e32 v7, 29, v7
	s_delay_alu instid0(VALU_DEP_2) | instskip(NEXT) | instid1(VALU_DEP_2)
	v_lshlrev_b32_e32 v3, v8, v3
	v_cndmask_b32_e32 v7, v9, v7, vcc_lo
	s_delay_alu instid0(VALU_DEP_2) | instskip(NEXT) | instid1(VALU_DEP_1)
	v_and_b32_e32 v3, 7, v3
	v_cndmask_b32_e32 v3, v5, v3, vcc_lo
	s_delay_alu instid0(VALU_DEP_3) | instskip(NEXT) | instid1(VALU_DEP_2)
	v_lshl_add_u32 v5, v7, 23, 0x3b800000
	v_lshlrev_b32_e32 v3, 20, v3
	s_delay_alu instid0(VALU_DEP_1)
	v_or3_b32 v3, v4, v5, v3
.LBB33_291:
	s_or_b32 exec_lo, exec_lo, s22
.LBB33_292:
	s_mov_b32 s21, -1
.LBB33_293:
	s_mov_b32 s22, 0
.LBB33_294:
	s_delay_alu instid0(SALU_CYCLE_1)
	s_and_b32 vcc_lo, exec_lo, s22
	s_cbranch_vccz .LBB33_329
; %bb.295:
	s_cmp_gt_i32 s15, 22
	s_cbranch_scc0 .LBB33_305
; %bb.296:
	s_cmp_lt_i32 s15, 24
	s_cbranch_scc1 .LBB33_308
; %bb.297:
	s_cmp_gt_i32 s15, 24
	s_cbranch_scc0 .LBB33_309
; %bb.298:
	global_load_u8 v4, v[0:1], off
	s_mov_b32 s21, 0
	s_mov_b32 s22, exec_lo
	s_wait_loadcnt 0x0
	v_cmpx_lt_i16_e32 0x7f, v4
	s_xor_b32 s22, exec_lo, s22
	s_cbranch_execz .LBB33_321
; %bb.299:
	s_mov_b32 s21, -1
	s_mov_b32 s23, exec_lo
	v_cmpx_eq_u16_e32 0x80, v4
; %bb.300:
	s_xor_b32 s21, exec_lo, -1
; %bb.301:
	s_or_b32 exec_lo, exec_lo, s23
	s_delay_alu instid0(SALU_CYCLE_1)
	s_and_b32 s21, s21, exec_lo
	s_or_saveexec_b32 s22, s22
	v_mov_b32_e32 v3, 0x7f800001
	s_xor_b32 exec_lo, exec_lo, s22
	s_cbranch_execnz .LBB33_322
.LBB33_302:
	s_or_b32 exec_lo, exec_lo, s22
	s_and_saveexec_b32 s22, s21
	s_cbranch_execz .LBB33_304
.LBB33_303:
	v_and_b32_e32 v3, 0xffff, v4
	s_delay_alu instid0(VALU_DEP_1) | instskip(SKIP_1) | instid1(VALU_DEP_2)
	v_dual_lshlrev_b32 v4, 24, v4 :: v_dual_bitop2_b32 v5, 3, v3 bitop3:0x40
	v_bfe_u32 v9, v3, 2, 5
	v_and_b32_e32 v4, 0x80000000, v4
	s_delay_alu instid0(VALU_DEP_3) | instskip(NEXT) | instid1(VALU_DEP_3)
	v_clz_i32_u32_e32 v7, v5
	v_cmp_eq_u32_e32 vcc_lo, 0, v9
	s_delay_alu instid0(VALU_DEP_2) | instskip(NEXT) | instid1(VALU_DEP_1)
	v_min_u32_e32 v7, 32, v7
	v_subrev_nc_u32_e32 v8, 29, v7
	v_sub_nc_u32_e32 v7, 30, v7
	s_delay_alu instid0(VALU_DEP_2) | instskip(NEXT) | instid1(VALU_DEP_2)
	v_lshlrev_b32_e32 v3, v8, v3
	v_cndmask_b32_e32 v7, v9, v7, vcc_lo
	s_delay_alu instid0(VALU_DEP_2) | instskip(NEXT) | instid1(VALU_DEP_1)
	v_and_b32_e32 v3, 3, v3
	v_cndmask_b32_e32 v3, v5, v3, vcc_lo
	s_delay_alu instid0(VALU_DEP_3) | instskip(NEXT) | instid1(VALU_DEP_2)
	v_lshl_add_u32 v5, v7, 23, 0x37800000
	v_lshlrev_b32_e32 v3, 21, v3
	s_delay_alu instid0(VALU_DEP_1)
	v_or3_b32 v3, v4, v5, v3
.LBB33_304:
	s_or_b32 exec_lo, exec_lo, s22
	s_mov_b32 s21, 0
	s_branch .LBB33_310
.LBB33_305:
	s_mov_b32 s22, -1
                                        ; implicit-def: $vgpr3
	s_branch .LBB33_316
.LBB33_306:
	s_or_saveexec_b32 s22, s22
	v_mov_b32_e32 v3, 0x7f800001
	s_xor_b32 exec_lo, exec_lo, s22
	s_cbranch_execz .LBB33_289
.LBB33_307:
	v_cmp_ne_u16_e32 vcc_lo, 0, v4
	v_mov_b32_e32 v3, 0
	s_and_not1_b32 s21, s21, exec_lo
	s_and_b32 s23, vcc_lo, exec_lo
	s_delay_alu instid0(SALU_CYCLE_1)
	s_or_b32 s21, s21, s23
	s_or_b32 exec_lo, exec_lo, s22
	s_and_saveexec_b32 s22, s21
	s_cbranch_execnz .LBB33_290
	s_branch .LBB33_291
.LBB33_308:
	s_mov_b32 s21, -1
                                        ; implicit-def: $vgpr3
	s_branch .LBB33_313
.LBB33_309:
	s_mov_b32 s21, -1
                                        ; implicit-def: $vgpr3
.LBB33_310:
	s_delay_alu instid0(SALU_CYCLE_1)
	s_and_b32 vcc_lo, exec_lo, s21
	s_cbranch_vccz .LBB33_312
; %bb.311:
	global_load_u8 v3, v[0:1], off
	s_wait_loadcnt 0x0
	v_lshlrev_b32_e32 v3, 24, v3
	s_delay_alu instid0(VALU_DEP_1) | instskip(NEXT) | instid1(VALU_DEP_1)
	v_and_b32_e32 v4, 0x7f000000, v3
	v_clz_i32_u32_e32 v5, v4
	v_add_nc_u32_e32 v8, 0x1000000, v4
	v_cmp_ne_u32_e32 vcc_lo, 0, v4
	s_delay_alu instid0(VALU_DEP_3) | instskip(NEXT) | instid1(VALU_DEP_1)
	v_min_u32_e32 v5, 32, v5
	v_sub_nc_u32_e64 v5, v5, 4 clamp
	s_delay_alu instid0(VALU_DEP_1) | instskip(NEXT) | instid1(VALU_DEP_1)
	v_dual_lshlrev_b32 v7, v5, v4 :: v_dual_lshlrev_b32 v5, 23, v5
	v_lshrrev_b32_e32 v7, 4, v7
	s_delay_alu instid0(VALU_DEP_1) | instskip(NEXT) | instid1(VALU_DEP_1)
	v_dual_sub_nc_u32 v5, v7, v5 :: v_dual_ashrrev_i32 v7, 8, v8
	v_add_nc_u32_e32 v5, 0x3c000000, v5
	s_delay_alu instid0(VALU_DEP_1) | instskip(NEXT) | instid1(VALU_DEP_1)
	v_and_or_b32 v5, 0x7f800000, v7, v5
	v_cndmask_b32_e32 v4, 0, v5, vcc_lo
	s_delay_alu instid0(VALU_DEP_1)
	v_and_or_b32 v3, 0x80000000, v3, v4
.LBB33_312:
	s_mov_b32 s21, 0
.LBB33_313:
	s_delay_alu instid0(SALU_CYCLE_1)
	s_and_not1_b32 vcc_lo, exec_lo, s21
	s_cbranch_vccnz .LBB33_315
; %bb.314:
	global_load_u8 v3, v[0:1], off
	s_wait_loadcnt 0x0
	v_lshlrev_b32_e32 v4, 25, v3
	v_lshlrev_b16 v3, 8, v3
	s_delay_alu instid0(VALU_DEP_1) | instskip(NEXT) | instid1(VALU_DEP_3)
	v_and_or_b32 v7, 0x7f00, v3, 0.5
	v_lshrrev_b32_e32 v5, 4, v4
	v_bfe_i32 v3, v3, 0, 16
	s_delay_alu instid0(VALU_DEP_3) | instskip(NEXT) | instid1(VALU_DEP_3)
	v_add_f32_e32 v7, -0.5, v7
	v_or_b32_e32 v5, 0x70000000, v5
	s_delay_alu instid0(VALU_DEP_1) | instskip(SKIP_1) | instid1(VALU_DEP_2)
	v_mul_f32_e32 v5, 0x7800000, v5
	v_cmp_gt_u32_e32 vcc_lo, 0x8000000, v4
	v_cndmask_b32_e32 v4, v5, v7, vcc_lo
	s_delay_alu instid0(VALU_DEP_1)
	v_and_or_b32 v3, 0x80000000, v3, v4
.LBB33_315:
	s_mov_b32 s22, 0
	s_mov_b32 s21, -1
.LBB33_316:
	s_and_not1_b32 vcc_lo, exec_lo, s22
	s_cbranch_vccnz .LBB33_329
; %bb.317:
	s_cmp_gt_i32 s15, 14
	s_cbranch_scc0 .LBB33_320
; %bb.318:
	s_cmp_eq_u32 s15, 15
	s_cbranch_scc0 .LBB33_323
; %bb.319:
	global_load_u16 v3, v[0:1], off
	s_mov_b32 s21, -1
	s_mov_b32 s17, 0
	s_wait_loadcnt 0x0
	v_lshlrev_b32_e32 v3, 16, v3
	s_branch .LBB33_324
.LBB33_320:
	s_mov_b32 s22, -1
                                        ; implicit-def: $vgpr3
	s_branch .LBB33_325
.LBB33_321:
	s_or_saveexec_b32 s22, s22
	v_mov_b32_e32 v3, 0x7f800001
	s_xor_b32 exec_lo, exec_lo, s22
	s_cbranch_execz .LBB33_302
.LBB33_322:
	v_cmp_ne_u16_e32 vcc_lo, 0, v4
	v_mov_b32_e32 v3, 0
	s_and_not1_b32 s21, s21, exec_lo
	s_and_b32 s23, vcc_lo, exec_lo
	s_delay_alu instid0(SALU_CYCLE_1)
	s_or_b32 s21, s21, s23
	s_or_b32 exec_lo, exec_lo, s22
	s_and_saveexec_b32 s22, s21
	s_cbranch_execnz .LBB33_303
	s_branch .LBB33_304
.LBB33_323:
	s_mov_b32 s17, -1
                                        ; implicit-def: $vgpr3
.LBB33_324:
	s_mov_b32 s22, 0
.LBB33_325:
	s_delay_alu instid0(SALU_CYCLE_1)
	s_and_b32 vcc_lo, exec_lo, s22
	s_cbranch_vccz .LBB33_329
; %bb.326:
	s_cmp_eq_u32 s15, 11
	s_cbranch_scc0 .LBB33_328
; %bb.327:
	global_load_u8 v3, v[0:1], off
	s_mov_b32 s17, 0
	s_mov_b32 s21, -1
	s_wait_loadcnt 0x0
	v_cmp_ne_u16_e32 vcc_lo, 0, v3
	v_cndmask_b32_e64 v3, 0, 1.0, vcc_lo
	s_branch .LBB33_329
.LBB33_328:
	s_mov_b32 s17, -1
                                        ; implicit-def: $vgpr3
.LBB33_329:
	s_branch .LBB33_20
.LBB33_330:
	s_and_b32 s0, 0xffff, s0
	s_delay_alu instid0(SALU_CYCLE_1)
	s_cmp_lt_i32 s0, 5
	s_cbranch_scc1 .LBB33_335
; %bb.331:
	s_cmp_lt_i32 s0, 8
	s_cbranch_scc1 .LBB33_336
; %bb.332:
	;; [unrolled: 3-line block ×3, first 2 shown]
	s_cmp_gt_i32 s0, 9
	s_cbranch_scc0 .LBB33_338
; %bb.334:
	global_load_b64 v[4:5], v[0:1], off
	s_mov_b32 s15, 0
	s_wait_loadcnt 0x0
	v_cvt_f32_f64_e32 v3, v[4:5]
	s_branch .LBB33_339
.LBB33_335:
	s_mov_b32 s15, -1
                                        ; implicit-def: $vgpr3
	s_branch .LBB33_357
.LBB33_336:
	s_mov_b32 s15, -1
                                        ; implicit-def: $vgpr3
	s_branch .LBB33_345
.LBB33_337:
	s_mov_b32 s15, -1
                                        ; implicit-def: $vgpr3
	s_branch .LBB33_342
.LBB33_338:
	s_mov_b32 s15, -1
                                        ; implicit-def: $vgpr3
.LBB33_339:
	s_delay_alu instid0(SALU_CYCLE_1)
	s_and_not1_b32 vcc_lo, exec_lo, s15
	s_cbranch_vccnz .LBB33_341
; %bb.340:
	global_load_b32 v3, v[0:1], off
.LBB33_341:
	s_mov_b32 s15, 0
.LBB33_342:
	s_delay_alu instid0(SALU_CYCLE_1)
	s_and_not1_b32 vcc_lo, exec_lo, s15
	s_cbranch_vccnz .LBB33_344
; %bb.343:
	s_wait_loadcnt 0x0
	global_load_b32 v3, v[0:1], off
	s_wait_loadcnt 0x0
	v_cvt_f32_f16_e32 v3, v3
.LBB33_344:
	s_mov_b32 s15, 0
.LBB33_345:
	s_delay_alu instid0(SALU_CYCLE_1)
	s_and_not1_b32 vcc_lo, exec_lo, s15
	s_cbranch_vccnz .LBB33_356
; %bb.346:
	s_cmp_lt_i32 s0, 6
	s_cbranch_scc1 .LBB33_349
; %bb.347:
	s_cmp_gt_i32 s0, 6
	s_cbranch_scc0 .LBB33_350
; %bb.348:
	global_load_b64 v[4:5], v[0:1], off
	s_mov_b32 s15, 0
	s_wait_loadcnt 0x0
	v_cvt_f32_f64_e32 v3, v[4:5]
	s_branch .LBB33_351
.LBB33_349:
	s_mov_b32 s15, -1
                                        ; implicit-def: $vgpr3
	s_branch .LBB33_354
.LBB33_350:
	s_mov_b32 s15, -1
                                        ; implicit-def: $vgpr3
.LBB33_351:
	s_delay_alu instid0(SALU_CYCLE_1)
	s_and_not1_b32 vcc_lo, exec_lo, s15
	s_cbranch_vccnz .LBB33_353
; %bb.352:
	s_wait_loadcnt 0x0
	global_load_b32 v3, v[0:1], off
.LBB33_353:
	s_mov_b32 s15, 0
.LBB33_354:
	s_delay_alu instid0(SALU_CYCLE_1)
	s_and_not1_b32 vcc_lo, exec_lo, s15
	s_cbranch_vccnz .LBB33_356
; %bb.355:
	s_wait_loadcnt 0x0
	global_load_u16 v3, v[0:1], off
	s_wait_loadcnt 0x0
	v_cvt_f32_f16_e32 v3, v3
.LBB33_356:
	s_mov_b32 s15, 0
.LBB33_357:
	s_delay_alu instid0(SALU_CYCLE_1)
	s_and_not1_b32 vcc_lo, exec_lo, s15
	s_cbranch_vccnz .LBB33_377
; %bb.358:
	s_cmp_lt_i32 s0, 2
	s_cbranch_scc1 .LBB33_362
; %bb.359:
	s_cmp_lt_i32 s0, 3
	s_cbranch_scc1 .LBB33_363
; %bb.360:
	s_cmp_gt_i32 s0, 3
	s_cbranch_scc0 .LBB33_364
; %bb.361:
	global_load_b64 v[4:5], v[0:1], off
	s_mov_b32 s15, 0
	s_wait_loadcnt 0x0
	v_xor_b32_e32 v3, v4, v5
	v_cls_i32_e32 v7, v5
	s_delay_alu instid0(VALU_DEP_2) | instskip(NEXT) | instid1(VALU_DEP_1)
	v_ashrrev_i32_e32 v3, 31, v3
	v_add_nc_u32_e32 v3, 32, v3
	s_delay_alu instid0(VALU_DEP_1) | instskip(NEXT) | instid1(VALU_DEP_1)
	v_add_min_u32_e64 v3, v7, -1, v3
	v_lshlrev_b64_e32 v[4:5], v3, v[4:5]
	v_sub_nc_u32_e32 v3, 32, v3
	s_delay_alu instid0(VALU_DEP_2) | instskip(NEXT) | instid1(VALU_DEP_1)
	v_min_u32_e32 v4, 1, v4
	v_or_b32_e32 v4, v5, v4
	s_delay_alu instid0(VALU_DEP_1) | instskip(NEXT) | instid1(VALU_DEP_1)
	v_cvt_f32_i32_e32 v4, v4
	v_ldexp_f32 v3, v4, v3
	s_branch .LBB33_365
.LBB33_362:
	s_mov_b32 s15, -1
                                        ; implicit-def: $vgpr3
	s_branch .LBB33_371
.LBB33_363:
	s_mov_b32 s15, -1
                                        ; implicit-def: $vgpr3
	s_branch .LBB33_368
.LBB33_364:
	s_mov_b32 s15, -1
                                        ; implicit-def: $vgpr3
.LBB33_365:
	s_delay_alu instid0(SALU_CYCLE_1)
	s_and_not1_b32 vcc_lo, exec_lo, s15
	s_cbranch_vccnz .LBB33_367
; %bb.366:
	s_wait_loadcnt 0x0
	global_load_b32 v3, v[0:1], off
	s_wait_loadcnt 0x0
	v_cvt_f32_i32_e32 v3, v3
.LBB33_367:
	s_mov_b32 s15, 0
.LBB33_368:
	s_delay_alu instid0(SALU_CYCLE_1)
	s_and_not1_b32 vcc_lo, exec_lo, s15
	s_cbranch_vccnz .LBB33_370
; %bb.369:
	s_wait_loadcnt 0x0
	global_load_i16 v3, v[0:1], off
	s_wait_loadcnt 0x0
	v_cvt_f32_i32_e32 v3, v3
.LBB33_370:
	s_mov_b32 s15, 0
.LBB33_371:
	s_delay_alu instid0(SALU_CYCLE_1)
	s_and_not1_b32 vcc_lo, exec_lo, s15
	s_cbranch_vccnz .LBB33_377
; %bb.372:
	s_cmp_gt_i32 s0, 0
	s_mov_b32 s0, 0
	s_cbranch_scc0 .LBB33_374
; %bb.373:
	s_wait_loadcnt 0x0
	global_load_i8 v3, v[0:1], off
	s_wait_loadcnt 0x0
	v_cvt_f32_i32_e32 v3, v3
	s_branch .LBB33_375
.LBB33_374:
	s_mov_b32 s0, -1
                                        ; implicit-def: $vgpr3
.LBB33_375:
	s_delay_alu instid0(SALU_CYCLE_1)
	s_and_not1_b32 vcc_lo, exec_lo, s0
	s_cbranch_vccnz .LBB33_377
; %bb.376:
	global_load_u8 v0, v[0:1], off
	s_wait_loadcnt 0x0
	v_cvt_f32_ubyte0_e32 v3, v0
.LBB33_377:
	s_branch .LBB33_21
.LBB33_378:
	s_mov_b32 s0, 0
.LBB33_379:
	s_mov_b32 s21, 0
                                        ; implicit-def: $vgpr6
.LBB33_380:
	s_and_b32 s15, s0, exec_lo
	s_and_b32 s17, s17, exec_lo
	;; [unrolled: 1-line block ×3, first 2 shown]
	s_or_not1_b32 s23, s21, exec_lo
.LBB33_381:
	s_wait_xcnt 0x0
	s_or_b32 exec_lo, exec_lo, s19
	s_mov_b32 s22, 0
	s_mov_b32 s21, 0
                                        ; implicit-def: $sgpr0
                                        ; implicit-def: $vgpr0_vgpr1
                                        ; implicit-def: $vgpr3
	s_and_saveexec_b32 s19, s23
	s_cbranch_execz .LBB33_390
; %bb.382:
	s_mov_b32 s25, -1
	s_mov_b32 s20, s18
	s_mov_b32 s22, s17
	;; [unrolled: 1-line block ×3, first 2 shown]
	s_mov_b32 s23, exec_lo
	v_cmpx_gt_i32_e64 s16, v6
	s_cbranch_execz .LBB33_698
; %bb.383:
	v_mul_lo_u32 v0, v6, s9
	s_and_b32 s0, s13, 0xff
	s_delay_alu instid0(SALU_CYCLE_1) | instskip(NEXT) | instid1(VALU_DEP_1)
	s_cmp_lt_i32 s0, 11
	v_ashrrev_i32_e32 v1, 31, v0
	s_delay_alu instid0(VALU_DEP_1)
	v_add_nc_u64_e32 v[0:1], s[6:7], v[0:1]
	s_cbranch_scc1 .LBB33_393
; %bb.384:
	s_and_b32 s21, 0xffff, s0
	s_delay_alu instid0(SALU_CYCLE_1)
	s_cmp_gt_i32 s21, 25
	s_cbranch_scc0 .LBB33_402
; %bb.385:
	s_cmp_gt_i32 s21, 28
	s_cbranch_scc0 .LBB33_404
; %bb.386:
	;; [unrolled: 3-line block ×4, first 2 shown]
	s_cmp_eq_u32 s21, 46
	s_mov_b32 s24, 0
	s_cbranch_scc0 .LBB33_412
; %bb.389:
	s_wait_loadcnt 0x0
	global_load_b32 v2, v[0:1], off
	s_mov_b32 s22, -1
	s_mov_b32 s20, 0
	s_wait_loadcnt 0x0
	v_lshlrev_b32_e32 v2, 16, v2
	s_branch .LBB33_414
.LBB33_390:
	s_or_b32 exec_lo, exec_lo, s19
	s_mov_b32 s16, 0
	s_and_saveexec_b32 s19, s18
	s_cbranch_execnz .LBB33_1248
.LBB33_391:
	s_or_b32 exec_lo, exec_lo, s19
	s_and_saveexec_b32 s18, s20
	s_delay_alu instid0(SALU_CYCLE_1)
	s_xor_b32 s18, exec_lo, s18
	s_cbranch_execz .LBB33_1249
.LBB33_392:
	s_wait_loadcnt 0x0
	global_load_u8 v2, v[0:1], off
	s_or_b32 s21, s21, exec_lo
	s_wait_loadcnt 0x0
	v_cmp_ne_u16_e32 vcc_lo, 0, v2
	v_cndmask_b32_e64 v3, 0, 1.0, vcc_lo
	s_wait_xcnt 0x0
	s_or_b32 exec_lo, exec_lo, s18
	s_and_saveexec_b32 s18, s22
	s_cbranch_execz .LBB33_1295
	s_branch .LBB33_1250
.LBB33_393:
	s_mov_b32 s22, 0
	s_mov_b32 s20, s18
                                        ; implicit-def: $vgpr2
	s_cbranch_execnz .LBB33_480
.LBB33_394:
	s_and_not1_b32 vcc_lo, exec_lo, s22
	s_cbranch_vccnz .LBB33_528
.LBB33_395:
	s_wait_xcnt 0x0
	v_mul_lo_u32 v0, v6, s10
	s_and_b32 s0, s1, 0xff
	s_delay_alu instid0(SALU_CYCLE_1) | instskip(NEXT) | instid1(VALU_DEP_1)
	s_cmp_lt_i32 s0, 11
	v_ashrrev_i32_e32 v1, 31, v0
	s_delay_alu instid0(VALU_DEP_1)
	v_add_nc_u64_e32 v[0:1], s[2:3], v[0:1]
	s_cbranch_scc1 .LBB33_403
; %bb.396:
	s_and_b32 s21, 0xffff, s0
	s_delay_alu instid0(SALU_CYCLE_1)
	s_cmp_gt_i32 s21, 25
	s_cbranch_scc0 .LBB33_405
; %bb.397:
	s_cmp_gt_i32 s21, 28
	s_cbranch_scc0 .LBB33_407
; %bb.398:
	s_cmp_gt_i32 s21, 43
	s_cbranch_scc0 .LBB33_409
; %bb.399:
	s_cmp_gt_i32 s21, 45
	s_cbranch_scc0 .LBB33_417
; %bb.400:
	s_cmp_eq_u32 s21, 46
	s_mov_b32 s25, 0
	s_cbranch_scc0 .LBB33_531
; %bb.401:
	s_wait_loadcnt 0x0
	global_load_b32 v3, v[0:1], off
	s_mov_b32 s24, -1
	s_mov_b32 s22, 0
	s_wait_loadcnt 0x0
	v_lshlrev_b32_e32 v3, 16, v3
	s_branch .LBB33_533
.LBB33_402:
	s_mov_b32 s24, -1
	s_mov_b32 s22, 0
	s_mov_b32 s20, s18
                                        ; implicit-def: $vgpr2
	s_branch .LBB33_444
.LBB33_403:
	s_mov_b32 s21, -1
	s_mov_b32 s24, 0
	s_mov_b32 s22, s17
                                        ; implicit-def: $vgpr3
	s_branch .LBB33_598
.LBB33_404:
	s_mov_b32 s24, -1
	s_mov_b32 s22, 0
	s_mov_b32 s20, s18
                                        ; implicit-def: $vgpr2
	s_branch .LBB33_425
.LBB33_405:
	s_mov_b32 s25, -1
	s_mov_b32 s24, 0
	s_mov_b32 s22, s17
                                        ; implicit-def: $vgpr3
	s_branch .LBB33_562
.LBB33_406:
	s_mov_b32 s24, -1
	s_mov_b32 s22, 0
	s_mov_b32 s20, s18
                                        ; implicit-def: $vgpr2
	s_branch .LBB33_420
.LBB33_407:
	s_mov_b32 s25, -1
	s_mov_b32 s24, 0
	s_mov_b32 s22, s17
                                        ; implicit-def: $vgpr3
	s_branch .LBB33_543
.LBB33_408:
	s_mov_b32 s24, -1
	s_mov_b32 s22, 0
	s_mov_b32 s20, s18
	s_branch .LBB33_413
.LBB33_409:
	s_mov_b32 s25, -1
	s_mov_b32 s24, 0
	s_mov_b32 s22, s17
                                        ; implicit-def: $vgpr3
	s_branch .LBB33_538
.LBB33_410:
	s_and_not1_saveexec_b32 s24, s24
	s_cbranch_execz .LBB33_218
.LBB33_411:
	v_add_f32_e64 v3, 0x46000000, |v2|
	s_and_not1_b32 s23, s23, exec_lo
	s_delay_alu instid0(VALU_DEP_1) | instskip(NEXT) | instid1(VALU_DEP_1)
	v_and_b32_e32 v3, 0xff, v3
	v_cmp_ne_u32_e32 vcc_lo, 0, v3
	s_and_b32 s25, vcc_lo, exec_lo
	s_delay_alu instid0(SALU_CYCLE_1)
	s_or_b32 s23, s23, s25
	s_or_b32 exec_lo, exec_lo, s24
	v_mov_b32_e32 v4, 0
	s_and_saveexec_b32 s24, s23
	s_cbranch_execnz .LBB33_219
	s_branch .LBB33_220
.LBB33_412:
	s_mov_b32 s20, -1
	s_mov_b32 s22, 0
.LBB33_413:
                                        ; implicit-def: $vgpr2
.LBB33_414:
	s_and_b32 vcc_lo, exec_lo, s24
	s_cbranch_vccz .LBB33_419
; %bb.415:
	s_cmp_eq_u32 s21, 44
	s_cbranch_scc0 .LBB33_418
; %bb.416:
	s_wait_loadcnt 0x0
	global_load_u8 v2, v[0:1], off
	s_mov_b32 s20, 0
	s_mov_b32 s22, -1
	s_wait_loadcnt 0x0
	v_lshlrev_b32_e32 v3, 23, v2
	v_cmp_ne_u32_e32 vcc_lo, 0xff, v2
	s_delay_alu instid0(VALU_DEP_2) | instskip(SKIP_1) | instid1(VALU_DEP_2)
	v_cndmask_b32_e32 v3, 0x7f800001, v3, vcc_lo
	v_cmp_ne_u32_e32 vcc_lo, 0, v2
	v_cndmask_b32_e32 v2, 0x400000, v3, vcc_lo
	s_branch .LBB33_419
.LBB33_417:
	s_mov_b32 s25, -1
	s_mov_b32 s24, 0
	s_mov_b32 s22, s17
	s_branch .LBB33_532
.LBB33_418:
	s_mov_b32 s20, -1
                                        ; implicit-def: $vgpr2
.LBB33_419:
	s_mov_b32 s24, 0
.LBB33_420:
	s_delay_alu instid0(SALU_CYCLE_1)
	s_and_b32 vcc_lo, exec_lo, s24
	s_cbranch_vccz .LBB33_424
; %bb.421:
	s_cmp_eq_u32 s21, 29
	s_cbranch_scc0 .LBB33_423
; %bb.422:
	s_wait_loadcnt 0x0
	global_load_b64 v[2:3], v[0:1], off
	s_mov_b32 s22, -1
	s_mov_b32 s20, 0
	s_mov_b32 s24, 0
	s_wait_loadcnt 0x0
	v_clz_i32_u32_e32 v4, v3
	s_delay_alu instid0(VALU_DEP_1) | instskip(NEXT) | instid1(VALU_DEP_1)
	v_min_u32_e32 v4, 32, v4
	v_lshlrev_b64_e32 v[2:3], v4, v[2:3]
	s_delay_alu instid0(VALU_DEP_1) | instskip(NEXT) | instid1(VALU_DEP_1)
	v_min_u32_e32 v2, 1, v2
	v_dual_sub_nc_u32 v3, 32, v4 :: v_dual_bitop2_b32 v2, v3, v2 bitop3:0x54
	s_delay_alu instid0(VALU_DEP_1) | instskip(NEXT) | instid1(VALU_DEP_1)
	v_cvt_f32_u32_e32 v2, v2
	v_ldexp_f32 v2, v2, v3
	s_branch .LBB33_425
.LBB33_423:
	s_mov_b32 s20, -1
                                        ; implicit-def: $vgpr2
.LBB33_424:
	s_mov_b32 s24, 0
.LBB33_425:
	s_delay_alu instid0(SALU_CYCLE_1)
	s_and_b32 vcc_lo, exec_lo, s24
	s_cbranch_vccz .LBB33_443
; %bb.426:
	s_cmp_lt_i32 s21, 27
	s_cbranch_scc1 .LBB33_429
; %bb.427:
	s_cmp_gt_i32 s21, 27
	s_cbranch_scc0 .LBB33_430
; %bb.428:
	s_wait_loadcnt 0x0
	global_load_b32 v2, v[0:1], off
	s_mov_b32 s22, 0
	s_wait_loadcnt 0x0
	v_cvt_f32_u32_e32 v2, v2
	s_branch .LBB33_431
.LBB33_429:
	s_mov_b32 s22, -1
                                        ; implicit-def: $vgpr2
	s_branch .LBB33_434
.LBB33_430:
	s_mov_b32 s22, -1
                                        ; implicit-def: $vgpr2
.LBB33_431:
	s_delay_alu instid0(SALU_CYCLE_1)
	s_and_not1_b32 vcc_lo, exec_lo, s22
	s_cbranch_vccnz .LBB33_433
; %bb.432:
	s_wait_loadcnt 0x0
	global_load_u16 v2, v[0:1], off
	s_wait_loadcnt 0x0
	v_cvt_f32_u32_e32 v2, v2
.LBB33_433:
	s_mov_b32 s22, 0
.LBB33_434:
	s_delay_alu instid0(SALU_CYCLE_1)
	s_and_not1_b32 vcc_lo, exec_lo, s22
	s_cbranch_vccnz .LBB33_442
; %bb.435:
	s_wait_loadcnt 0x0
	global_load_u8 v3, v[0:1], off
	s_mov_b32 s22, 0
	s_mov_b32 s24, exec_lo
	s_wait_loadcnt 0x0
	v_cmpx_lt_i16_e32 0x7f, v3
	s_xor_b32 s24, exec_lo, s24
	s_cbranch_execz .LBB33_456
; %bb.436:
	s_mov_b32 s22, -1
	s_mov_b32 s25, exec_lo
	v_cmpx_eq_u16_e32 0x80, v3
; %bb.437:
	s_xor_b32 s22, exec_lo, -1
; %bb.438:
	s_or_b32 exec_lo, exec_lo, s25
	s_delay_alu instid0(SALU_CYCLE_1)
	s_and_b32 s22, s22, exec_lo
	s_or_saveexec_b32 s24, s24
	v_mov_b32_e32 v2, 0x7f800001
	s_xor_b32 exec_lo, exec_lo, s24
	s_cbranch_execnz .LBB33_457
.LBB33_439:
	s_or_b32 exec_lo, exec_lo, s24
	s_and_saveexec_b32 s24, s22
	s_cbranch_execz .LBB33_441
.LBB33_440:
	v_and_b32_e32 v2, 0xffff, v3
	s_delay_alu instid0(VALU_DEP_1) | instskip(SKIP_1) | instid1(VALU_DEP_2)
	v_and_b32_e32 v4, 7, v2
	v_bfe_u32 v8, v2, 3, 4
	v_clz_i32_u32_e32 v5, v4
	s_delay_alu instid0(VALU_DEP_2) | instskip(NEXT) | instid1(VALU_DEP_2)
	v_cmp_eq_u32_e32 vcc_lo, 0, v8
	v_min_u32_e32 v5, 32, v5
	s_delay_alu instid0(VALU_DEP_1) | instskip(NEXT) | instid1(VALU_DEP_1)
	v_subrev_nc_u32_e32 v7, 28, v5
	v_dual_lshlrev_b32 v2, v7, v2 :: v_dual_sub_nc_u32 v5, 29, v5
	s_delay_alu instid0(VALU_DEP_1) | instskip(NEXT) | instid1(VALU_DEP_2)
	v_dual_lshlrev_b32 v3, 24, v3 :: v_dual_bitop2_b32 v2, 7, v2 bitop3:0x40
	v_cndmask_b32_e32 v5, v8, v5, vcc_lo
	s_delay_alu instid0(VALU_DEP_2) | instskip(NEXT) | instid1(VALU_DEP_3)
	v_cndmask_b32_e32 v2, v4, v2, vcc_lo
	v_and_b32_e32 v3, 0x80000000, v3
	s_delay_alu instid0(VALU_DEP_3) | instskip(NEXT) | instid1(VALU_DEP_3)
	v_lshl_add_u32 v4, v5, 23, 0x3b800000
	v_lshlrev_b32_e32 v2, 20, v2
	s_delay_alu instid0(VALU_DEP_1)
	v_or3_b32 v2, v3, v4, v2
.LBB33_441:
	s_or_b32 exec_lo, exec_lo, s24
.LBB33_442:
	s_mov_b32 s22, -1
.LBB33_443:
	s_mov_b32 s24, 0
.LBB33_444:
	s_delay_alu instid0(SALU_CYCLE_1)
	s_and_b32 vcc_lo, exec_lo, s24
	s_cbranch_vccz .LBB33_479
; %bb.445:
	s_cmp_gt_i32 s21, 22
	s_cbranch_scc0 .LBB33_455
; %bb.446:
	s_cmp_lt_i32 s21, 24
	s_cbranch_scc1 .LBB33_458
; %bb.447:
	s_cmp_gt_i32 s21, 24
	s_cbranch_scc0 .LBB33_459
; %bb.448:
	s_wait_loadcnt 0x0
	global_load_u8 v3, v[0:1], off
	s_mov_b32 s22, 0
	s_mov_b32 s24, exec_lo
	s_wait_loadcnt 0x0
	v_cmpx_lt_i16_e32 0x7f, v3
	s_xor_b32 s24, exec_lo, s24
	s_cbranch_execz .LBB33_471
; %bb.449:
	s_mov_b32 s22, -1
	s_mov_b32 s25, exec_lo
	v_cmpx_eq_u16_e32 0x80, v3
; %bb.450:
	s_xor_b32 s22, exec_lo, -1
; %bb.451:
	s_or_b32 exec_lo, exec_lo, s25
	s_delay_alu instid0(SALU_CYCLE_1)
	s_and_b32 s22, s22, exec_lo
	s_or_saveexec_b32 s24, s24
	v_mov_b32_e32 v2, 0x7f800001
	s_xor_b32 exec_lo, exec_lo, s24
	s_cbranch_execnz .LBB33_472
.LBB33_452:
	s_or_b32 exec_lo, exec_lo, s24
	s_and_saveexec_b32 s24, s22
	s_cbranch_execz .LBB33_454
.LBB33_453:
	v_and_b32_e32 v2, 0xffff, v3
	s_delay_alu instid0(VALU_DEP_1) | instskip(SKIP_1) | instid1(VALU_DEP_2)
	v_and_b32_e32 v4, 3, v2
	v_bfe_u32 v8, v2, 2, 5
	v_clz_i32_u32_e32 v5, v4
	s_delay_alu instid0(VALU_DEP_2) | instskip(NEXT) | instid1(VALU_DEP_2)
	v_cmp_eq_u32_e32 vcc_lo, 0, v8
	v_min_u32_e32 v5, 32, v5
	s_delay_alu instid0(VALU_DEP_1) | instskip(NEXT) | instid1(VALU_DEP_1)
	v_subrev_nc_u32_e32 v7, 29, v5
	v_dual_lshlrev_b32 v2, v7, v2 :: v_dual_sub_nc_u32 v5, 30, v5
	s_delay_alu instid0(VALU_DEP_1) | instskip(NEXT) | instid1(VALU_DEP_2)
	v_dual_lshlrev_b32 v3, 24, v3 :: v_dual_bitop2_b32 v2, 3, v2 bitop3:0x40
	v_cndmask_b32_e32 v5, v8, v5, vcc_lo
	s_delay_alu instid0(VALU_DEP_2) | instskip(NEXT) | instid1(VALU_DEP_3)
	v_cndmask_b32_e32 v2, v4, v2, vcc_lo
	v_and_b32_e32 v3, 0x80000000, v3
	s_delay_alu instid0(VALU_DEP_3) | instskip(NEXT) | instid1(VALU_DEP_3)
	v_lshl_add_u32 v4, v5, 23, 0x37800000
	v_lshlrev_b32_e32 v2, 21, v2
	s_delay_alu instid0(VALU_DEP_1)
	v_or3_b32 v2, v3, v4, v2
.LBB33_454:
	s_or_b32 exec_lo, exec_lo, s24
	s_mov_b32 s22, 0
	s_branch .LBB33_460
.LBB33_455:
	s_mov_b32 s24, -1
                                        ; implicit-def: $vgpr2
	s_branch .LBB33_466
.LBB33_456:
	s_or_saveexec_b32 s24, s24
	v_mov_b32_e32 v2, 0x7f800001
	s_xor_b32 exec_lo, exec_lo, s24
	s_cbranch_execz .LBB33_439
.LBB33_457:
	v_cmp_ne_u16_e32 vcc_lo, 0, v3
	v_mov_b32_e32 v2, 0
	s_and_not1_b32 s22, s22, exec_lo
	s_and_b32 s25, vcc_lo, exec_lo
	s_delay_alu instid0(SALU_CYCLE_1)
	s_or_b32 s22, s22, s25
	s_or_b32 exec_lo, exec_lo, s24
	s_and_saveexec_b32 s24, s22
	s_cbranch_execnz .LBB33_440
	s_branch .LBB33_441
.LBB33_458:
	s_mov_b32 s22, -1
                                        ; implicit-def: $vgpr2
	s_branch .LBB33_463
.LBB33_459:
	s_mov_b32 s22, -1
                                        ; implicit-def: $vgpr2
.LBB33_460:
	s_delay_alu instid0(SALU_CYCLE_1)
	s_and_b32 vcc_lo, exec_lo, s22
	s_cbranch_vccz .LBB33_462
; %bb.461:
	s_wait_loadcnt 0x0
	global_load_u8 v2, v[0:1], off
	s_wait_loadcnt 0x0
	v_lshlrev_b32_e32 v2, 24, v2
	s_delay_alu instid0(VALU_DEP_1) | instskip(NEXT) | instid1(VALU_DEP_1)
	v_and_b32_e32 v3, 0x7f000000, v2
	v_clz_i32_u32_e32 v4, v3
	v_add_nc_u32_e32 v7, 0x1000000, v3
	v_cmp_ne_u32_e32 vcc_lo, 0, v3
	s_delay_alu instid0(VALU_DEP_3) | instskip(NEXT) | instid1(VALU_DEP_1)
	v_min_u32_e32 v4, 32, v4
	v_sub_nc_u32_e64 v4, v4, 4 clamp
	s_delay_alu instid0(VALU_DEP_1) | instskip(NEXT) | instid1(VALU_DEP_1)
	v_dual_lshlrev_b32 v5, v4, v3 :: v_dual_lshlrev_b32 v4, 23, v4
	v_lshrrev_b32_e32 v5, 4, v5
	s_delay_alu instid0(VALU_DEP_1) | instskip(NEXT) | instid1(VALU_DEP_1)
	v_dual_sub_nc_u32 v4, v5, v4 :: v_dual_ashrrev_i32 v5, 8, v7
	v_add_nc_u32_e32 v4, 0x3c000000, v4
	s_delay_alu instid0(VALU_DEP_1) | instskip(NEXT) | instid1(VALU_DEP_1)
	v_and_or_b32 v4, 0x7f800000, v5, v4
	v_cndmask_b32_e32 v3, 0, v4, vcc_lo
	s_delay_alu instid0(VALU_DEP_1)
	v_and_or_b32 v2, 0x80000000, v2, v3
.LBB33_462:
	s_mov_b32 s22, 0
.LBB33_463:
	s_delay_alu instid0(SALU_CYCLE_1)
	s_and_not1_b32 vcc_lo, exec_lo, s22
	s_cbranch_vccnz .LBB33_465
; %bb.464:
	s_wait_loadcnt 0x0
	global_load_u8 v2, v[0:1], off
	s_wait_loadcnt 0x0
	v_lshlrev_b32_e32 v3, 25, v2
	v_lshlrev_b16 v2, 8, v2
	s_delay_alu instid0(VALU_DEP_1) | instskip(SKIP_1) | instid1(VALU_DEP_2)
	v_and_or_b32 v5, 0x7f00, v2, 0.5
	v_bfe_i32 v2, v2, 0, 16
	v_dual_add_f32 v5, -0.5, v5 :: v_dual_lshrrev_b32 v4, 4, v3
	v_cmp_gt_u32_e32 vcc_lo, 0x8000000, v3
	s_delay_alu instid0(VALU_DEP_2) | instskip(NEXT) | instid1(VALU_DEP_1)
	v_or_b32_e32 v4, 0x70000000, v4
	v_mul_f32_e32 v4, 0x7800000, v4
	s_delay_alu instid0(VALU_DEP_1) | instskip(NEXT) | instid1(VALU_DEP_1)
	v_cndmask_b32_e32 v3, v4, v5, vcc_lo
	v_and_or_b32 v2, 0x80000000, v2, v3
.LBB33_465:
	s_mov_b32 s24, 0
	s_mov_b32 s22, -1
.LBB33_466:
	s_and_not1_b32 vcc_lo, exec_lo, s24
	s_cbranch_vccnz .LBB33_479
; %bb.467:
	s_cmp_gt_i32 s21, 14
	s_cbranch_scc0 .LBB33_470
; %bb.468:
	s_cmp_eq_u32 s21, 15
	s_cbranch_scc0 .LBB33_473
; %bb.469:
	s_wait_loadcnt 0x0
	global_load_u16 v2, v[0:1], off
	s_mov_b32 s22, -1
	s_mov_b32 s20, 0
	s_wait_loadcnt 0x0
	v_lshlrev_b32_e32 v2, 16, v2
	s_branch .LBB33_474
.LBB33_470:
	s_mov_b32 s24, -1
                                        ; implicit-def: $vgpr2
	s_branch .LBB33_475
.LBB33_471:
	s_or_saveexec_b32 s24, s24
	v_mov_b32_e32 v2, 0x7f800001
	s_xor_b32 exec_lo, exec_lo, s24
	s_cbranch_execz .LBB33_452
.LBB33_472:
	v_cmp_ne_u16_e32 vcc_lo, 0, v3
	v_mov_b32_e32 v2, 0
	s_and_not1_b32 s22, s22, exec_lo
	s_and_b32 s25, vcc_lo, exec_lo
	s_delay_alu instid0(SALU_CYCLE_1)
	s_or_b32 s22, s22, s25
	s_or_b32 exec_lo, exec_lo, s24
	s_and_saveexec_b32 s24, s22
	s_cbranch_execnz .LBB33_453
	s_branch .LBB33_454
.LBB33_473:
	s_mov_b32 s20, -1
                                        ; implicit-def: $vgpr2
.LBB33_474:
	s_mov_b32 s24, 0
.LBB33_475:
	s_delay_alu instid0(SALU_CYCLE_1)
	s_and_b32 vcc_lo, exec_lo, s24
	s_cbranch_vccz .LBB33_479
; %bb.476:
	s_cmp_eq_u32 s21, 11
	s_cbranch_scc0 .LBB33_478
; %bb.477:
	s_wait_loadcnt 0x0
	global_load_u8 v2, v[0:1], off
	s_mov_b32 s20, 0
	s_mov_b32 s22, -1
	s_wait_loadcnt 0x0
	v_cmp_ne_u16_e32 vcc_lo, 0, v2
	v_cndmask_b32_e64 v2, 0, 1.0, vcc_lo
	s_branch .LBB33_479
.LBB33_478:
	s_mov_b32 s20, -1
                                        ; implicit-def: $vgpr2
.LBB33_479:
	s_branch .LBB33_394
.LBB33_480:
	s_and_b32 s0, 0xffff, s0
	s_delay_alu instid0(SALU_CYCLE_1)
	s_cmp_lt_i32 s0, 5
	s_cbranch_scc1 .LBB33_485
; %bb.481:
	s_cmp_lt_i32 s0, 8
	s_cbranch_scc1 .LBB33_486
; %bb.482:
	;; [unrolled: 3-line block ×3, first 2 shown]
	s_cmp_gt_i32 s0, 9
	s_cbranch_scc0 .LBB33_488
; %bb.484:
	s_wait_loadcnt 0x0
	global_load_b64 v[2:3], v[0:1], off
	s_mov_b32 s21, 0
	s_wait_loadcnt 0x0
	v_cvt_f32_f64_e32 v2, v[2:3]
	s_branch .LBB33_489
.LBB33_485:
	s_mov_b32 s21, -1
                                        ; implicit-def: $vgpr2
	s_branch .LBB33_507
.LBB33_486:
	s_mov_b32 s21, -1
                                        ; implicit-def: $vgpr2
	s_branch .LBB33_495
.LBB33_487:
	s_mov_b32 s21, -1
                                        ; implicit-def: $vgpr2
	s_branch .LBB33_492
.LBB33_488:
	s_mov_b32 s21, -1
                                        ; implicit-def: $vgpr2
.LBB33_489:
	s_delay_alu instid0(SALU_CYCLE_1)
	s_and_not1_b32 vcc_lo, exec_lo, s21
	s_cbranch_vccnz .LBB33_491
; %bb.490:
	s_wait_loadcnt 0x0
	global_load_b32 v2, v[0:1], off
.LBB33_491:
	s_mov_b32 s21, 0
.LBB33_492:
	s_delay_alu instid0(SALU_CYCLE_1)
	s_and_not1_b32 vcc_lo, exec_lo, s21
	s_cbranch_vccnz .LBB33_494
; %bb.493:
	s_wait_loadcnt 0x0
	global_load_b32 v2, v[0:1], off
	s_wait_loadcnt 0x0
	v_cvt_f32_f16_e32 v2, v2
.LBB33_494:
	s_mov_b32 s21, 0
.LBB33_495:
	s_delay_alu instid0(SALU_CYCLE_1)
	s_and_not1_b32 vcc_lo, exec_lo, s21
	s_cbranch_vccnz .LBB33_506
; %bb.496:
	s_cmp_lt_i32 s0, 6
	s_cbranch_scc1 .LBB33_499
; %bb.497:
	s_cmp_gt_i32 s0, 6
	s_cbranch_scc0 .LBB33_500
; %bb.498:
	s_wait_loadcnt 0x0
	global_load_b64 v[2:3], v[0:1], off
	s_mov_b32 s21, 0
	s_wait_loadcnt 0x0
	v_cvt_f32_f64_e32 v2, v[2:3]
	s_branch .LBB33_501
.LBB33_499:
	s_mov_b32 s21, -1
                                        ; implicit-def: $vgpr2
	s_branch .LBB33_504
.LBB33_500:
	s_mov_b32 s21, -1
                                        ; implicit-def: $vgpr2
.LBB33_501:
	s_delay_alu instid0(SALU_CYCLE_1)
	s_and_not1_b32 vcc_lo, exec_lo, s21
	s_cbranch_vccnz .LBB33_503
; %bb.502:
	s_wait_loadcnt 0x0
	global_load_b32 v2, v[0:1], off
.LBB33_503:
	s_mov_b32 s21, 0
.LBB33_504:
	s_delay_alu instid0(SALU_CYCLE_1)
	s_and_not1_b32 vcc_lo, exec_lo, s21
	s_cbranch_vccnz .LBB33_506
; %bb.505:
	s_wait_loadcnt 0x0
	global_load_u16 v2, v[0:1], off
	s_wait_loadcnt 0x0
	v_cvt_f32_f16_e32 v2, v2
.LBB33_506:
	s_mov_b32 s21, 0
.LBB33_507:
	s_delay_alu instid0(SALU_CYCLE_1)
	s_and_not1_b32 vcc_lo, exec_lo, s21
	s_cbranch_vccnz .LBB33_527
; %bb.508:
	s_cmp_lt_i32 s0, 2
	s_cbranch_scc1 .LBB33_512
; %bb.509:
	s_cmp_lt_i32 s0, 3
	s_cbranch_scc1 .LBB33_513
; %bb.510:
	s_cmp_gt_i32 s0, 3
	s_cbranch_scc0 .LBB33_514
; %bb.511:
	s_wait_loadcnt 0x0
	global_load_b64 v[2:3], v[0:1], off
	s_mov_b32 s21, 0
	s_wait_loadcnt 0x0
	v_xor_b32_e32 v4, v2, v3
	v_cls_i32_e32 v5, v3
	s_delay_alu instid0(VALU_DEP_2) | instskip(NEXT) | instid1(VALU_DEP_1)
	v_ashrrev_i32_e32 v4, 31, v4
	v_add_nc_u32_e32 v4, 32, v4
	s_delay_alu instid0(VALU_DEP_1) | instskip(NEXT) | instid1(VALU_DEP_1)
	v_add_min_u32_e64 v4, v5, -1, v4
	v_lshlrev_b64_e32 v[2:3], v4, v[2:3]
	s_delay_alu instid0(VALU_DEP_1) | instskip(NEXT) | instid1(VALU_DEP_1)
	v_min_u32_e32 v2, 1, v2
	v_dual_sub_nc_u32 v3, 32, v4 :: v_dual_bitop2_b32 v2, v3, v2 bitop3:0x54
	s_delay_alu instid0(VALU_DEP_1) | instskip(NEXT) | instid1(VALU_DEP_1)
	v_cvt_f32_i32_e32 v2, v2
	v_ldexp_f32 v2, v2, v3
	s_branch .LBB33_515
.LBB33_512:
	s_mov_b32 s21, -1
                                        ; implicit-def: $vgpr2
	s_branch .LBB33_521
.LBB33_513:
	s_mov_b32 s21, -1
                                        ; implicit-def: $vgpr2
	s_branch .LBB33_518
.LBB33_514:
	s_mov_b32 s21, -1
                                        ; implicit-def: $vgpr2
.LBB33_515:
	s_delay_alu instid0(SALU_CYCLE_1)
	s_and_not1_b32 vcc_lo, exec_lo, s21
	s_cbranch_vccnz .LBB33_517
; %bb.516:
	s_wait_loadcnt 0x0
	global_load_b32 v2, v[0:1], off
	s_wait_loadcnt 0x0
	v_cvt_f32_i32_e32 v2, v2
.LBB33_517:
	s_mov_b32 s21, 0
.LBB33_518:
	s_delay_alu instid0(SALU_CYCLE_1)
	s_and_not1_b32 vcc_lo, exec_lo, s21
	s_cbranch_vccnz .LBB33_520
; %bb.519:
	s_wait_loadcnt 0x0
	global_load_i16 v2, v[0:1], off
	s_wait_loadcnt 0x0
	v_cvt_f32_i32_e32 v2, v2
.LBB33_520:
	s_mov_b32 s21, 0
.LBB33_521:
	s_delay_alu instid0(SALU_CYCLE_1)
	s_and_not1_b32 vcc_lo, exec_lo, s21
	s_cbranch_vccnz .LBB33_527
; %bb.522:
	s_cmp_gt_i32 s0, 0
	s_mov_b32 s0, 0
	s_cbranch_scc0 .LBB33_524
; %bb.523:
	s_wait_loadcnt 0x0
	global_load_i8 v2, v[0:1], off
	s_wait_loadcnt 0x0
	v_cvt_f32_i32_e32 v2, v2
	s_branch .LBB33_525
.LBB33_524:
	s_mov_b32 s0, -1
                                        ; implicit-def: $vgpr2
.LBB33_525:
	s_delay_alu instid0(SALU_CYCLE_1)
	s_and_not1_b32 vcc_lo, exec_lo, s0
	s_cbranch_vccnz .LBB33_527
; %bb.526:
	global_load_u8 v0, v[0:1], off
	s_wait_loadcnt 0x0
	v_cvt_f32_ubyte0_e32 v2, v0
.LBB33_527:
	s_branch .LBB33_395
.LBB33_528:
	s_mov_b32 s24, 0
	s_mov_b32 s0, s15
	;; [unrolled: 1-line block ×3, first 2 shown]
	s_branch .LBB33_696
.LBB33_529:
	s_and_not1_saveexec_b32 s24, s24
	s_cbranch_execz .LBB33_231
.LBB33_530:
	v_add_f32_e64 v3, 0x42800000, |v2|
	s_and_not1_b32 s23, s23, exec_lo
	s_delay_alu instid0(VALU_DEP_1) | instskip(NEXT) | instid1(VALU_DEP_1)
	v_and_b32_e32 v3, 0xff, v3
	v_cmp_ne_u32_e32 vcc_lo, 0, v3
	s_and_b32 s25, vcc_lo, exec_lo
	s_delay_alu instid0(SALU_CYCLE_1)
	s_or_b32 s23, s23, s25
	s_or_b32 exec_lo, exec_lo, s24
	v_mov_b32_e32 v4, 0
	s_and_saveexec_b32 s24, s23
	s_cbranch_execnz .LBB33_232
	s_branch .LBB33_233
.LBB33_531:
	s_mov_b32 s22, -1
	s_mov_b32 s24, 0
.LBB33_532:
                                        ; implicit-def: $vgpr3
.LBB33_533:
	s_and_b32 vcc_lo, exec_lo, s25
	s_cbranch_vccz .LBB33_537
; %bb.534:
	s_cmp_eq_u32 s21, 44
	s_cbranch_scc0 .LBB33_536
; %bb.535:
	s_wait_loadcnt 0x0
	global_load_u8 v3, v[0:1], off
	s_mov_b32 s22, 0
	s_mov_b32 s24, -1
	s_wait_loadcnt 0x0
	v_lshlrev_b32_e32 v4, 23, v3
	v_cmp_ne_u32_e32 vcc_lo, 0xff, v3
	s_delay_alu instid0(VALU_DEP_2) | instskip(SKIP_1) | instid1(VALU_DEP_2)
	v_cndmask_b32_e32 v4, 0x7f800001, v4, vcc_lo
	v_cmp_ne_u32_e32 vcc_lo, 0, v3
	v_cndmask_b32_e32 v3, 0x400000, v4, vcc_lo
	s_branch .LBB33_537
.LBB33_536:
	s_mov_b32 s22, -1
                                        ; implicit-def: $vgpr3
.LBB33_537:
	s_mov_b32 s25, 0
.LBB33_538:
	s_delay_alu instid0(SALU_CYCLE_1)
	s_and_b32 vcc_lo, exec_lo, s25
	s_cbranch_vccz .LBB33_542
; %bb.539:
	s_cmp_eq_u32 s21, 29
	s_cbranch_scc0 .LBB33_541
; %bb.540:
	global_load_b64 v[4:5], v[0:1], off
	s_mov_b32 s24, -1
	s_mov_b32 s22, 0
	s_mov_b32 s25, 0
	s_wait_loadcnt 0x0
	v_clz_i32_u32_e32 v3, v5
	s_delay_alu instid0(VALU_DEP_1) | instskip(NEXT) | instid1(VALU_DEP_1)
	v_min_u32_e32 v3, 32, v3
	v_lshlrev_b64_e32 v[4:5], v3, v[4:5]
	v_sub_nc_u32_e32 v3, 32, v3
	s_delay_alu instid0(VALU_DEP_2) | instskip(NEXT) | instid1(VALU_DEP_1)
	v_min_u32_e32 v4, 1, v4
	v_or_b32_e32 v4, v5, v4
	s_delay_alu instid0(VALU_DEP_1) | instskip(NEXT) | instid1(VALU_DEP_1)
	v_cvt_f32_u32_e32 v4, v4
	v_ldexp_f32 v3, v4, v3
	s_branch .LBB33_543
.LBB33_541:
	s_mov_b32 s22, -1
                                        ; implicit-def: $vgpr3
.LBB33_542:
	s_mov_b32 s25, 0
.LBB33_543:
	s_delay_alu instid0(SALU_CYCLE_1)
	s_and_b32 vcc_lo, exec_lo, s25
	s_cbranch_vccz .LBB33_561
; %bb.544:
	s_cmp_lt_i32 s21, 27
	s_cbranch_scc1 .LBB33_547
; %bb.545:
	s_cmp_gt_i32 s21, 27
	s_cbranch_scc0 .LBB33_548
; %bb.546:
	s_wait_loadcnt 0x0
	global_load_b32 v3, v[0:1], off
	s_mov_b32 s24, 0
	s_wait_loadcnt 0x0
	v_cvt_f32_u32_e32 v3, v3
	s_branch .LBB33_549
.LBB33_547:
	s_mov_b32 s24, -1
                                        ; implicit-def: $vgpr3
	s_branch .LBB33_552
.LBB33_548:
	s_mov_b32 s24, -1
                                        ; implicit-def: $vgpr3
.LBB33_549:
	s_delay_alu instid0(SALU_CYCLE_1)
	s_and_not1_b32 vcc_lo, exec_lo, s24
	s_cbranch_vccnz .LBB33_551
; %bb.550:
	s_wait_loadcnt 0x0
	global_load_u16 v3, v[0:1], off
	s_wait_loadcnt 0x0
	v_cvt_f32_u32_e32 v3, v3
.LBB33_551:
	s_mov_b32 s24, 0
.LBB33_552:
	s_delay_alu instid0(SALU_CYCLE_1)
	s_and_not1_b32 vcc_lo, exec_lo, s24
	s_cbranch_vccnz .LBB33_560
; %bb.553:
	global_load_u8 v4, v[0:1], off
	s_mov_b32 s24, 0
	s_mov_b32 s25, exec_lo
	s_wait_loadcnt 0x0
	v_cmpx_lt_i16_e32 0x7f, v4
	s_xor_b32 s25, exec_lo, s25
	s_cbranch_execz .LBB33_574
; %bb.554:
	s_mov_b32 s24, -1
	s_mov_b32 s26, exec_lo
	v_cmpx_eq_u16_e32 0x80, v4
; %bb.555:
	s_xor_b32 s24, exec_lo, -1
; %bb.556:
	s_or_b32 exec_lo, exec_lo, s26
	s_delay_alu instid0(SALU_CYCLE_1)
	s_and_b32 s24, s24, exec_lo
	s_or_saveexec_b32 s25, s25
	v_mov_b32_e32 v3, 0x7f800001
	s_xor_b32 exec_lo, exec_lo, s25
	s_cbranch_execnz .LBB33_575
.LBB33_557:
	s_or_b32 exec_lo, exec_lo, s25
	s_and_saveexec_b32 s25, s24
	s_cbranch_execz .LBB33_559
.LBB33_558:
	v_and_b32_e32 v3, 0xffff, v4
	s_delay_alu instid0(VALU_DEP_1) | instskip(SKIP_1) | instid1(VALU_DEP_2)
	v_dual_lshlrev_b32 v4, 24, v4 :: v_dual_bitop2_b32 v5, 7, v3 bitop3:0x40
	v_bfe_u32 v9, v3, 3, 4
	v_and_b32_e32 v4, 0x80000000, v4
	s_delay_alu instid0(VALU_DEP_3) | instskip(NEXT) | instid1(VALU_DEP_3)
	v_clz_i32_u32_e32 v7, v5
	v_cmp_eq_u32_e32 vcc_lo, 0, v9
	s_delay_alu instid0(VALU_DEP_2) | instskip(NEXT) | instid1(VALU_DEP_1)
	v_min_u32_e32 v7, 32, v7
	v_subrev_nc_u32_e32 v8, 28, v7
	v_sub_nc_u32_e32 v7, 29, v7
	s_delay_alu instid0(VALU_DEP_2) | instskip(NEXT) | instid1(VALU_DEP_2)
	v_lshlrev_b32_e32 v3, v8, v3
	v_cndmask_b32_e32 v7, v9, v7, vcc_lo
	s_delay_alu instid0(VALU_DEP_2) | instskip(NEXT) | instid1(VALU_DEP_1)
	v_and_b32_e32 v3, 7, v3
	v_cndmask_b32_e32 v3, v5, v3, vcc_lo
	s_delay_alu instid0(VALU_DEP_3) | instskip(NEXT) | instid1(VALU_DEP_2)
	v_lshl_add_u32 v5, v7, 23, 0x3b800000
	v_lshlrev_b32_e32 v3, 20, v3
	s_delay_alu instid0(VALU_DEP_1)
	v_or3_b32 v3, v4, v5, v3
.LBB33_559:
	s_or_b32 exec_lo, exec_lo, s25
.LBB33_560:
	s_mov_b32 s24, -1
.LBB33_561:
	s_mov_b32 s25, 0
.LBB33_562:
	s_delay_alu instid0(SALU_CYCLE_1)
	s_and_b32 vcc_lo, exec_lo, s25
	s_cbranch_vccz .LBB33_597
; %bb.563:
	s_cmp_gt_i32 s21, 22
	s_cbranch_scc0 .LBB33_573
; %bb.564:
	s_cmp_lt_i32 s21, 24
	s_cbranch_scc1 .LBB33_576
; %bb.565:
	s_cmp_gt_i32 s21, 24
	s_cbranch_scc0 .LBB33_577
; %bb.566:
	global_load_u8 v4, v[0:1], off
	s_mov_b32 s24, 0
	s_mov_b32 s25, exec_lo
	s_wait_loadcnt 0x0
	v_cmpx_lt_i16_e32 0x7f, v4
	s_xor_b32 s25, exec_lo, s25
	s_cbranch_execz .LBB33_589
; %bb.567:
	s_mov_b32 s24, -1
	s_mov_b32 s26, exec_lo
	v_cmpx_eq_u16_e32 0x80, v4
; %bb.568:
	s_xor_b32 s24, exec_lo, -1
; %bb.569:
	s_or_b32 exec_lo, exec_lo, s26
	s_delay_alu instid0(SALU_CYCLE_1)
	s_and_b32 s24, s24, exec_lo
	s_or_saveexec_b32 s25, s25
	v_mov_b32_e32 v3, 0x7f800001
	s_xor_b32 exec_lo, exec_lo, s25
	s_cbranch_execnz .LBB33_590
.LBB33_570:
	s_or_b32 exec_lo, exec_lo, s25
	s_and_saveexec_b32 s25, s24
	s_cbranch_execz .LBB33_572
.LBB33_571:
	v_and_b32_e32 v3, 0xffff, v4
	s_delay_alu instid0(VALU_DEP_1) | instskip(SKIP_1) | instid1(VALU_DEP_2)
	v_dual_lshlrev_b32 v4, 24, v4 :: v_dual_bitop2_b32 v5, 3, v3 bitop3:0x40
	v_bfe_u32 v9, v3, 2, 5
	v_and_b32_e32 v4, 0x80000000, v4
	s_delay_alu instid0(VALU_DEP_3) | instskip(NEXT) | instid1(VALU_DEP_3)
	v_clz_i32_u32_e32 v7, v5
	v_cmp_eq_u32_e32 vcc_lo, 0, v9
	s_delay_alu instid0(VALU_DEP_2) | instskip(NEXT) | instid1(VALU_DEP_1)
	v_min_u32_e32 v7, 32, v7
	v_subrev_nc_u32_e32 v8, 29, v7
	v_sub_nc_u32_e32 v7, 30, v7
	s_delay_alu instid0(VALU_DEP_2) | instskip(NEXT) | instid1(VALU_DEP_2)
	v_lshlrev_b32_e32 v3, v8, v3
	v_cndmask_b32_e32 v7, v9, v7, vcc_lo
	s_delay_alu instid0(VALU_DEP_2) | instskip(NEXT) | instid1(VALU_DEP_1)
	v_and_b32_e32 v3, 3, v3
	v_cndmask_b32_e32 v3, v5, v3, vcc_lo
	s_delay_alu instid0(VALU_DEP_3) | instskip(NEXT) | instid1(VALU_DEP_2)
	v_lshl_add_u32 v5, v7, 23, 0x37800000
	v_lshlrev_b32_e32 v3, 21, v3
	s_delay_alu instid0(VALU_DEP_1)
	v_or3_b32 v3, v4, v5, v3
.LBB33_572:
	s_or_b32 exec_lo, exec_lo, s25
	s_mov_b32 s24, 0
	s_branch .LBB33_578
.LBB33_573:
	s_mov_b32 s25, -1
                                        ; implicit-def: $vgpr3
	s_branch .LBB33_584
.LBB33_574:
	s_or_saveexec_b32 s25, s25
	v_mov_b32_e32 v3, 0x7f800001
	s_xor_b32 exec_lo, exec_lo, s25
	s_cbranch_execz .LBB33_557
.LBB33_575:
	v_cmp_ne_u16_e32 vcc_lo, 0, v4
	v_mov_b32_e32 v3, 0
	s_and_not1_b32 s24, s24, exec_lo
	s_and_b32 s26, vcc_lo, exec_lo
	s_delay_alu instid0(SALU_CYCLE_1)
	s_or_b32 s24, s24, s26
	s_or_b32 exec_lo, exec_lo, s25
	s_and_saveexec_b32 s25, s24
	s_cbranch_execnz .LBB33_558
	s_branch .LBB33_559
.LBB33_576:
	s_mov_b32 s24, -1
                                        ; implicit-def: $vgpr3
	s_branch .LBB33_581
.LBB33_577:
	s_mov_b32 s24, -1
                                        ; implicit-def: $vgpr3
.LBB33_578:
	s_delay_alu instid0(SALU_CYCLE_1)
	s_and_b32 vcc_lo, exec_lo, s24
	s_cbranch_vccz .LBB33_580
; %bb.579:
	s_wait_loadcnt 0x0
	global_load_u8 v3, v[0:1], off
	s_wait_loadcnt 0x0
	v_lshlrev_b32_e32 v3, 24, v3
	s_delay_alu instid0(VALU_DEP_1) | instskip(NEXT) | instid1(VALU_DEP_1)
	v_and_b32_e32 v4, 0x7f000000, v3
	v_clz_i32_u32_e32 v5, v4
	v_add_nc_u32_e32 v8, 0x1000000, v4
	v_cmp_ne_u32_e32 vcc_lo, 0, v4
	s_delay_alu instid0(VALU_DEP_3) | instskip(NEXT) | instid1(VALU_DEP_1)
	v_min_u32_e32 v5, 32, v5
	v_sub_nc_u32_e64 v5, v5, 4 clamp
	s_delay_alu instid0(VALU_DEP_1) | instskip(NEXT) | instid1(VALU_DEP_1)
	v_dual_lshlrev_b32 v7, v5, v4 :: v_dual_lshlrev_b32 v5, 23, v5
	v_lshrrev_b32_e32 v7, 4, v7
	s_delay_alu instid0(VALU_DEP_1) | instskip(NEXT) | instid1(VALU_DEP_1)
	v_dual_sub_nc_u32 v5, v7, v5 :: v_dual_ashrrev_i32 v7, 8, v8
	v_add_nc_u32_e32 v5, 0x3c000000, v5
	s_delay_alu instid0(VALU_DEP_1) | instskip(NEXT) | instid1(VALU_DEP_1)
	v_and_or_b32 v5, 0x7f800000, v7, v5
	v_cndmask_b32_e32 v4, 0, v5, vcc_lo
	s_delay_alu instid0(VALU_DEP_1)
	v_and_or_b32 v3, 0x80000000, v3, v4
.LBB33_580:
	s_mov_b32 s24, 0
.LBB33_581:
	s_delay_alu instid0(SALU_CYCLE_1)
	s_and_not1_b32 vcc_lo, exec_lo, s24
	s_cbranch_vccnz .LBB33_583
; %bb.582:
	s_wait_loadcnt 0x0
	global_load_u8 v3, v[0:1], off
	s_wait_loadcnt 0x0
	v_lshlrev_b32_e32 v4, 25, v3
	v_lshlrev_b16 v3, 8, v3
	s_delay_alu instid0(VALU_DEP_1) | instskip(NEXT) | instid1(VALU_DEP_3)
	v_and_or_b32 v7, 0x7f00, v3, 0.5
	v_lshrrev_b32_e32 v5, 4, v4
	v_bfe_i32 v3, v3, 0, 16
	s_delay_alu instid0(VALU_DEP_3) | instskip(NEXT) | instid1(VALU_DEP_3)
	v_add_f32_e32 v7, -0.5, v7
	v_or_b32_e32 v5, 0x70000000, v5
	s_delay_alu instid0(VALU_DEP_1) | instskip(SKIP_1) | instid1(VALU_DEP_2)
	v_mul_f32_e32 v5, 0x7800000, v5
	v_cmp_gt_u32_e32 vcc_lo, 0x8000000, v4
	v_cndmask_b32_e32 v4, v5, v7, vcc_lo
	s_delay_alu instid0(VALU_DEP_1)
	v_and_or_b32 v3, 0x80000000, v3, v4
.LBB33_583:
	s_mov_b32 s25, 0
	s_mov_b32 s24, -1
.LBB33_584:
	s_and_not1_b32 vcc_lo, exec_lo, s25
	s_cbranch_vccnz .LBB33_597
; %bb.585:
	s_cmp_gt_i32 s21, 14
	s_cbranch_scc0 .LBB33_588
; %bb.586:
	s_cmp_eq_u32 s21, 15
	s_cbranch_scc0 .LBB33_591
; %bb.587:
	s_wait_loadcnt 0x0
	global_load_u16 v3, v[0:1], off
	s_mov_b32 s24, -1
	s_mov_b32 s22, 0
	s_wait_loadcnt 0x0
	v_lshlrev_b32_e32 v3, 16, v3
	s_branch .LBB33_592
.LBB33_588:
	s_mov_b32 s25, -1
                                        ; implicit-def: $vgpr3
	s_branch .LBB33_593
.LBB33_589:
	s_or_saveexec_b32 s25, s25
	v_mov_b32_e32 v3, 0x7f800001
	s_xor_b32 exec_lo, exec_lo, s25
	s_cbranch_execz .LBB33_570
.LBB33_590:
	v_cmp_ne_u16_e32 vcc_lo, 0, v4
	v_mov_b32_e32 v3, 0
	s_and_not1_b32 s24, s24, exec_lo
	s_and_b32 s26, vcc_lo, exec_lo
	s_delay_alu instid0(SALU_CYCLE_1)
	s_or_b32 s24, s24, s26
	s_or_b32 exec_lo, exec_lo, s25
	s_and_saveexec_b32 s25, s24
	s_cbranch_execnz .LBB33_571
	s_branch .LBB33_572
.LBB33_591:
	s_mov_b32 s22, -1
                                        ; implicit-def: $vgpr3
.LBB33_592:
	s_mov_b32 s25, 0
.LBB33_593:
	s_delay_alu instid0(SALU_CYCLE_1)
	s_and_b32 vcc_lo, exec_lo, s25
	s_cbranch_vccz .LBB33_597
; %bb.594:
	s_cmp_eq_u32 s21, 11
	s_cbranch_scc0 .LBB33_596
; %bb.595:
	s_wait_loadcnt 0x0
	global_load_u8 v3, v[0:1], off
	s_mov_b32 s22, 0
	s_mov_b32 s24, -1
	s_wait_loadcnt 0x0
	v_cmp_ne_u16_e32 vcc_lo, 0, v3
	v_cndmask_b32_e64 v3, 0, 1.0, vcc_lo
	s_branch .LBB33_597
.LBB33_596:
	s_mov_b32 s22, -1
                                        ; implicit-def: $vgpr3
.LBB33_597:
	s_mov_b32 s21, 0
.LBB33_598:
	s_delay_alu instid0(SALU_CYCLE_1)
	s_and_b32 vcc_lo, exec_lo, s21
	s_cbranch_vccz .LBB33_647
; %bb.599:
	s_and_b32 s0, 0xffff, s0
	s_delay_alu instid0(SALU_CYCLE_1)
	s_cmp_lt_i32 s0, 5
	s_cbranch_scc1 .LBB33_604
; %bb.600:
	s_cmp_lt_i32 s0, 8
	s_cbranch_scc1 .LBB33_605
; %bb.601:
	;; [unrolled: 3-line block ×3, first 2 shown]
	s_cmp_gt_i32 s0, 9
	s_cbranch_scc0 .LBB33_607
; %bb.603:
	global_load_b64 v[4:5], v[0:1], off
	s_mov_b32 s21, 0
	s_wait_loadcnt 0x0
	v_cvt_f32_f64_e32 v3, v[4:5]
	s_branch .LBB33_608
.LBB33_604:
	s_mov_b32 s21, -1
                                        ; implicit-def: $vgpr3
	s_branch .LBB33_626
.LBB33_605:
	s_mov_b32 s21, -1
                                        ; implicit-def: $vgpr3
	s_branch .LBB33_614
.LBB33_606:
	s_mov_b32 s21, -1
                                        ; implicit-def: $vgpr3
	s_branch .LBB33_611
.LBB33_607:
	s_mov_b32 s21, -1
                                        ; implicit-def: $vgpr3
.LBB33_608:
	s_delay_alu instid0(SALU_CYCLE_1)
	s_and_not1_b32 vcc_lo, exec_lo, s21
	s_cbranch_vccnz .LBB33_610
; %bb.609:
	s_wait_loadcnt 0x0
	global_load_b32 v3, v[0:1], off
.LBB33_610:
	s_mov_b32 s21, 0
.LBB33_611:
	s_delay_alu instid0(SALU_CYCLE_1)
	s_and_not1_b32 vcc_lo, exec_lo, s21
	s_cbranch_vccnz .LBB33_613
; %bb.612:
	s_wait_loadcnt 0x0
	global_load_b32 v3, v[0:1], off
	s_wait_loadcnt 0x0
	v_cvt_f32_f16_e32 v3, v3
.LBB33_613:
	s_mov_b32 s21, 0
.LBB33_614:
	s_delay_alu instid0(SALU_CYCLE_1)
	s_and_not1_b32 vcc_lo, exec_lo, s21
	s_cbranch_vccnz .LBB33_625
; %bb.615:
	s_cmp_lt_i32 s0, 6
	s_cbranch_scc1 .LBB33_618
; %bb.616:
	s_cmp_gt_i32 s0, 6
	s_cbranch_scc0 .LBB33_619
; %bb.617:
	global_load_b64 v[4:5], v[0:1], off
	s_mov_b32 s21, 0
	s_wait_loadcnt 0x0
	v_cvt_f32_f64_e32 v3, v[4:5]
	s_branch .LBB33_620
.LBB33_618:
	s_mov_b32 s21, -1
                                        ; implicit-def: $vgpr3
	s_branch .LBB33_623
.LBB33_619:
	s_mov_b32 s21, -1
                                        ; implicit-def: $vgpr3
.LBB33_620:
	s_delay_alu instid0(SALU_CYCLE_1)
	s_and_not1_b32 vcc_lo, exec_lo, s21
	s_cbranch_vccnz .LBB33_622
; %bb.621:
	s_wait_loadcnt 0x0
	global_load_b32 v3, v[0:1], off
.LBB33_622:
	s_mov_b32 s21, 0
.LBB33_623:
	s_delay_alu instid0(SALU_CYCLE_1)
	s_and_not1_b32 vcc_lo, exec_lo, s21
	s_cbranch_vccnz .LBB33_625
; %bb.624:
	s_wait_loadcnt 0x0
	global_load_u16 v3, v[0:1], off
	s_wait_loadcnt 0x0
	v_cvt_f32_f16_e32 v3, v3
.LBB33_625:
	s_mov_b32 s21, 0
.LBB33_626:
	s_delay_alu instid0(SALU_CYCLE_1)
	s_and_not1_b32 vcc_lo, exec_lo, s21
	s_cbranch_vccnz .LBB33_646
; %bb.627:
	s_cmp_lt_i32 s0, 2
	s_cbranch_scc1 .LBB33_631
; %bb.628:
	s_cmp_lt_i32 s0, 3
	s_cbranch_scc1 .LBB33_632
; %bb.629:
	s_cmp_gt_i32 s0, 3
	s_cbranch_scc0 .LBB33_633
; %bb.630:
	global_load_b64 v[4:5], v[0:1], off
	s_mov_b32 s21, 0
	s_wait_loadcnt 0x0
	v_xor_b32_e32 v3, v4, v5
	v_cls_i32_e32 v7, v5
	s_delay_alu instid0(VALU_DEP_2) | instskip(NEXT) | instid1(VALU_DEP_1)
	v_ashrrev_i32_e32 v3, 31, v3
	v_add_nc_u32_e32 v3, 32, v3
	s_delay_alu instid0(VALU_DEP_1) | instskip(NEXT) | instid1(VALU_DEP_1)
	v_add_min_u32_e64 v3, v7, -1, v3
	v_lshlrev_b64_e32 v[4:5], v3, v[4:5]
	v_sub_nc_u32_e32 v3, 32, v3
	s_delay_alu instid0(VALU_DEP_2) | instskip(NEXT) | instid1(VALU_DEP_1)
	v_min_u32_e32 v4, 1, v4
	v_or_b32_e32 v4, v5, v4
	s_delay_alu instid0(VALU_DEP_1) | instskip(NEXT) | instid1(VALU_DEP_1)
	v_cvt_f32_i32_e32 v4, v4
	v_ldexp_f32 v3, v4, v3
	s_branch .LBB33_634
.LBB33_631:
	s_mov_b32 s21, -1
                                        ; implicit-def: $vgpr3
	s_branch .LBB33_640
.LBB33_632:
	s_mov_b32 s21, -1
                                        ; implicit-def: $vgpr3
	s_branch .LBB33_637
.LBB33_633:
	s_mov_b32 s21, -1
                                        ; implicit-def: $vgpr3
.LBB33_634:
	s_delay_alu instid0(SALU_CYCLE_1)
	s_and_not1_b32 vcc_lo, exec_lo, s21
	s_cbranch_vccnz .LBB33_636
; %bb.635:
	s_wait_loadcnt 0x0
	global_load_b32 v3, v[0:1], off
	s_wait_loadcnt 0x0
	v_cvt_f32_i32_e32 v3, v3
.LBB33_636:
	s_mov_b32 s21, 0
.LBB33_637:
	s_delay_alu instid0(SALU_CYCLE_1)
	s_and_not1_b32 vcc_lo, exec_lo, s21
	s_cbranch_vccnz .LBB33_639
; %bb.638:
	s_wait_loadcnt 0x0
	global_load_i16 v3, v[0:1], off
	s_wait_loadcnt 0x0
	v_cvt_f32_i32_e32 v3, v3
.LBB33_639:
	s_mov_b32 s21, 0
.LBB33_640:
	s_delay_alu instid0(SALU_CYCLE_1)
	s_and_not1_b32 vcc_lo, exec_lo, s21
	s_cbranch_vccnz .LBB33_646
; %bb.641:
	s_cmp_gt_i32 s0, 0
	s_mov_b32 s0, 0
	s_cbranch_scc0 .LBB33_643
; %bb.642:
	s_wait_loadcnt 0x0
	global_load_i8 v3, v[0:1], off
	s_wait_loadcnt 0x0
	v_cvt_f32_i32_e32 v3, v3
	s_branch .LBB33_644
.LBB33_643:
	s_mov_b32 s0, -1
                                        ; implicit-def: $vgpr3
.LBB33_644:
	s_delay_alu instid0(SALU_CYCLE_1)
	s_and_not1_b32 vcc_lo, exec_lo, s0
	s_cbranch_vccnz .LBB33_646
; %bb.645:
	global_load_u8 v0, v[0:1], off
	s_wait_loadcnt 0x0
	v_cvt_f32_ubyte0_e32 v3, v0
.LBB33_646:
	s_mov_b32 s24, -1
.LBB33_647:
	s_delay_alu instid0(SALU_CYCLE_1)
	s_and_not1_b32 vcc_lo, exec_lo, s24
	s_cbranch_vccnz .LBB33_655
; %bb.648:
	s_wait_xcnt 0x0
	v_mul_lo_u32 v0, v6, s8
	s_wait_loadcnt 0x0
	v_cmp_lt_f32_e32 vcc_lo, 0, v2
	s_and_b32 s21, s11, 0xff
	s_mov_b32 s25, 0
	s_mov_b32 s24, -1
	s_cmp_lt_i32 s21, 11
	s_mov_b32 s0, s15
	s_delay_alu instid0(VALU_DEP_2) | instskip(NEXT) | instid1(VALU_DEP_1)
	v_dual_mul_f32 v3, v2, v3 :: v_dual_ashrrev_i32 v1, 31, v0
	v_cndmask_b32_e32 v2, v3, v2, vcc_lo
	s_delay_alu instid0(VALU_DEP_2)
	v_add_nc_u64_e32 v[0:1], s[4:5], v[0:1]
	s_cbranch_scc1 .LBB33_656
; %bb.649:
	s_and_b32 s24, 0xffff, s21
	s_delay_alu instid0(SALU_CYCLE_1)
	s_cmp_gt_i32 s24, 25
	s_cbranch_scc0 .LBB33_709
; %bb.650:
	s_cmp_gt_i32 s24, 28
	s_cbranch_scc0 .LBB33_711
; %bb.651:
	;; [unrolled: 3-line block ×4, first 2 shown]
	s_mov_b32 s26, 0
	s_mov_b32 s0, -1
	s_cmp_eq_u32 s24, 46
	s_cbranch_scc0 .LBB33_716
; %bb.654:
	v_bfe_u32 v3, v2, 16, 1
	v_cmp_o_f32_e32 vcc_lo, v2, v2
	s_mov_b32 s25, -1
	s_mov_b32 s0, 0
	s_delay_alu instid0(VALU_DEP_2) | instskip(NEXT) | instid1(VALU_DEP_1)
	v_add3_u32 v3, v2, v3, 0x7fff
	v_lshrrev_b32_e32 v3, 16, v3
	s_delay_alu instid0(VALU_DEP_1)
	v_cndmask_b32_e32 v3, 0x7fc0, v3, vcc_lo
	global_store_b32 v[0:1], v3, off
	s_branch .LBB33_716
.LBB33_655:
	s_mov_b32 s24, 0
	s_mov_b32 s0, s15
	s_branch .LBB33_696
.LBB33_656:
	s_and_b32 vcc_lo, exec_lo, s24
	s_cbranch_vccz .LBB33_785
; %bb.657:
	s_and_b32 s21, 0xffff, s21
	s_mov_b32 s24, -1
	s_cmp_lt_i32 s21, 5
	s_cbranch_scc1 .LBB33_678
; %bb.658:
	s_cmp_lt_i32 s21, 8
	s_cbranch_scc1 .LBB33_668
; %bb.659:
	;; [unrolled: 3-line block ×3, first 2 shown]
	s_cmp_gt_i32 s21, 9
	s_cbranch_scc0 .LBB33_662
; %bb.661:
	v_cvt_f64_f32_e32 v[8:9], v2
	v_mov_b32_e32 v10, 0
	s_mov_b32 s24, 0
	s_delay_alu instid0(VALU_DEP_1)
	v_mov_b32_e32 v11, v10
	global_store_b128 v[0:1], v[8:11], off
.LBB33_662:
	s_and_not1_b32 vcc_lo, exec_lo, s24
	s_cbranch_vccnz .LBB33_664
; %bb.663:
	s_wait_xcnt 0x0
	v_mov_b32_e32 v3, 0
	global_store_b64 v[0:1], v[2:3], off
.LBB33_664:
	s_mov_b32 s24, 0
.LBB33_665:
	s_delay_alu instid0(SALU_CYCLE_1)
	s_and_not1_b32 vcc_lo, exec_lo, s24
	s_cbranch_vccnz .LBB33_667
; %bb.666:
	s_wait_xcnt 0x0
	v_cvt_f16_f32_e32 v3, v2
	s_delay_alu instid0(VALU_DEP_1)
	v_and_b32_e32 v3, 0xffff, v3
	global_store_b32 v[0:1], v3, off
.LBB33_667:
	s_mov_b32 s24, 0
.LBB33_668:
	s_delay_alu instid0(SALU_CYCLE_1)
	s_and_not1_b32 vcc_lo, exec_lo, s24
	s_cbranch_vccnz .LBB33_677
; %bb.669:
	s_cmp_lt_i32 s21, 6
	s_mov_b32 s24, -1
	s_cbranch_scc1 .LBB33_675
; %bb.670:
	s_cmp_gt_i32 s21, 6
	s_cbranch_scc0 .LBB33_672
; %bb.671:
	s_wait_xcnt 0x0
	v_cvt_f64_f32_e32 v[4:5], v2
	s_mov_b32 s24, 0
	global_store_b64 v[0:1], v[4:5], off
.LBB33_672:
	s_and_not1_b32 vcc_lo, exec_lo, s24
	s_cbranch_vccnz .LBB33_674
; %bb.673:
	global_store_b32 v[0:1], v2, off
.LBB33_674:
	s_mov_b32 s24, 0
.LBB33_675:
	s_delay_alu instid0(SALU_CYCLE_1)
	s_and_not1_b32 vcc_lo, exec_lo, s24
	s_cbranch_vccnz .LBB33_677
; %bb.676:
	s_wait_xcnt 0x0
	v_cvt_f16_f32_e32 v3, v2
	global_store_b16 v[0:1], v3, off
.LBB33_677:
	s_mov_b32 s24, 0
.LBB33_678:
	s_delay_alu instid0(SALU_CYCLE_1)
	s_and_not1_b32 vcc_lo, exec_lo, s24
	s_cbranch_vccnz .LBB33_694
; %bb.679:
	s_cmp_lt_i32 s21, 2
	s_mov_b32 s24, -1
	s_cbranch_scc1 .LBB33_689
; %bb.680:
	s_cmp_lt_i32 s21, 3
	s_cbranch_scc1 .LBB33_686
; %bb.681:
	s_cmp_gt_i32 s21, 3
	s_cbranch_scc0 .LBB33_683
; %bb.682:
	s_wait_xcnt 0x0
	v_trunc_f32_e32 v3, v2
	s_mov_b32 s24, 0
	s_delay_alu instid0(VALU_DEP_1) | instskip(NEXT) | instid1(VALU_DEP_1)
	v_mul_f32_e64 v4, 0x2f800000, |v3|
	v_floor_f32_e32 v5, v4
	v_ashrrev_i32_e32 v4, 31, v3
	s_delay_alu instid0(VALU_DEP_2) | instskip(SKIP_1) | instid1(VALU_DEP_3)
	v_fma_f32 v7, 0xcf800000, v5, |v3|
	v_cvt_u32_f32_e32 v3, v5
	v_mov_b32_e32 v5, v4
	s_delay_alu instid0(VALU_DEP_3) | instskip(NEXT) | instid1(VALU_DEP_3)
	v_cvt_u32_f32_e32 v7, v7
	v_xor_b32_e32 v9, v3, v4
	s_delay_alu instid0(VALU_DEP_2) | instskip(NEXT) | instid1(VALU_DEP_1)
	v_xor_b32_e32 v8, v7, v4
	v_sub_nc_u64_e32 v[4:5], v[8:9], v[4:5]
	global_store_b64 v[0:1], v[4:5], off
.LBB33_683:
	s_and_not1_b32 vcc_lo, exec_lo, s24
	s_cbranch_vccnz .LBB33_685
; %bb.684:
	s_wait_xcnt 0x0
	v_cvt_i32_f32_e32 v3, v2
	global_store_b32 v[0:1], v3, off
.LBB33_685:
	s_mov_b32 s24, 0
.LBB33_686:
	s_delay_alu instid0(SALU_CYCLE_1)
	s_and_not1_b32 vcc_lo, exec_lo, s24
	s_cbranch_vccnz .LBB33_688
; %bb.687:
	s_wait_xcnt 0x0
	v_cvt_i32_f32_e32 v3, v2
	global_store_b16 v[0:1], v3, off
.LBB33_688:
	s_mov_b32 s24, 0
.LBB33_689:
	s_delay_alu instid0(SALU_CYCLE_1)
	s_and_not1_b32 vcc_lo, exec_lo, s24
	s_cbranch_vccnz .LBB33_694
; %bb.690:
	s_cmp_gt_i32 s21, 0
	s_mov_b32 s21, -1
	s_cbranch_scc0 .LBB33_692
; %bb.691:
	s_wait_xcnt 0x0
	v_cvt_i32_f32_e32 v3, v2
	s_mov_b32 s21, 0
	global_store_b8 v[0:1], v3, off
.LBB33_692:
	s_and_not1_b32 vcc_lo, exec_lo, s21
	s_cbranch_vccnz .LBB33_694
; %bb.693:
	s_wait_xcnt 0x0
	v_trunc_f32_e32 v2, v2
	s_delay_alu instid0(VALU_DEP_1) | instskip(NEXT) | instid1(VALU_DEP_1)
	v_mul_f32_e64 v3, 0x2f800000, |v2|
	v_floor_f32_e32 v3, v3
	s_delay_alu instid0(VALU_DEP_1) | instskip(SKIP_1) | instid1(VALU_DEP_2)
	v_fma_f32 v3, 0xcf800000, v3, |v2|
	v_ashrrev_i32_e32 v2, 31, v2
	v_cvt_u32_f32_e32 v3, v3
	s_delay_alu instid0(VALU_DEP_1) | instskip(NEXT) | instid1(VALU_DEP_1)
	v_xor_b32_e32 v3, v3, v2
	v_sub_nc_u32_e32 v2, v3, v2
	global_store_b8 v[0:1], v2, off
.LBB33_694:
	s_branch .LBB33_786
.LBB33_695:
	s_mov_b32 s24, 0
.LBB33_696:
                                        ; implicit-def: $vgpr6
.LBB33_697:
	s_and_not1_b32 s21, s15, exec_lo
	s_and_b32 s0, s0, exec_lo
	s_and_b32 s22, s22, exec_lo
	s_or_b32 s21, s21, s0
	s_and_not1_b32 s0, s17, exec_lo
	s_and_not1_b32 s25, s18, exec_lo
	s_and_b32 s20, s20, exec_lo
	s_or_b32 s22, s0, s22
	s_or_b32 s20, s25, s20
	s_or_not1_b32 s25, s24, exec_lo
.LBB33_698:
	s_wait_xcnt 0x0
	s_or_b32 exec_lo, exec_lo, s23
	s_mov_b32 s24, 0
	s_mov_b32 s26, 0
	;; [unrolled: 1-line block ×3, first 2 shown]
                                        ; implicit-def: $sgpr0
                                        ; implicit-def: $vgpr0_vgpr1
                                        ; implicit-def: $vgpr3
	s_and_saveexec_b32 s23, s25
	s_cbranch_execz .LBB33_1247
; %bb.699:
	s_mov_b32 s31, -1
	s_mov_b32 s25, s20
	s_mov_b32 s26, s22
	;; [unrolled: 1-line block ×3, first 2 shown]
	s_mov_b32 s24, exec_lo
	v_cmpx_gt_i32_e64 s16, v6
	s_cbranch_execz .LBB33_1088
; %bb.700:
	v_mul_lo_u32 v0, v6, s9
	s_and_b32 s0, s13, 0xff
	s_delay_alu instid0(SALU_CYCLE_1) | instskip(NEXT) | instid1(VALU_DEP_1)
	s_cmp_lt_i32 s0, 11
	v_ashrrev_i32_e32 v1, 31, v0
	s_delay_alu instid0(VALU_DEP_1)
	v_add_nc_u64_e32 v[0:1], s[6:7], v[0:1]
	s_cbranch_scc1 .LBB33_707
; %bb.701:
	s_and_b32 s26, 0xffff, s0
	s_delay_alu instid0(SALU_CYCLE_1)
	s_cmp_gt_i32 s26, 25
	s_cbranch_scc0 .LBB33_708
; %bb.702:
	s_cmp_gt_i32 s26, 28
	s_cbranch_scc0 .LBB33_710
; %bb.703:
	;; [unrolled: 3-line block ×4, first 2 shown]
	s_cmp_eq_u32 s26, 46
	s_mov_b32 s28, 0
	s_cbranch_scc0 .LBB33_787
; %bb.706:
	s_wait_loadcnt 0x0
	global_load_b32 v2, v[0:1], off
	s_mov_b32 s27, -1
	s_mov_b32 s25, 0
	s_wait_loadcnt 0x0
	v_lshlrev_b32_e32 v2, 16, v2
	s_branch .LBB33_789
.LBB33_707:
	s_mov_b32 s26, -1
	s_mov_b32 s27, 0
	s_mov_b32 s25, s20
                                        ; implicit-def: $vgpr2
	s_branch .LBB33_856
.LBB33_708:
	s_mov_b32 s28, -1
	s_mov_b32 s27, 0
	s_mov_b32 s25, s20
                                        ; implicit-def: $vgpr2
	s_branch .LBB33_820
.LBB33_709:
	s_mov_b32 s26, -1
	s_mov_b32 s0, s15
	s_branch .LBB33_743
.LBB33_710:
	s_mov_b32 s28, -1
	s_mov_b32 s27, 0
	s_mov_b32 s25, s20
                                        ; implicit-def: $vgpr2
	s_branch .LBB33_801
.LBB33_711:
	s_mov_b32 s26, -1
	s_mov_b32 s0, s15
	s_branch .LBB33_726
.LBB33_712:
	s_mov_b32 s28, -1
	s_mov_b32 s27, 0
	s_mov_b32 s25, s20
                                        ; implicit-def: $vgpr2
	s_branch .LBB33_796
.LBB33_713:
	s_mov_b32 s26, -1
	s_mov_b32 s0, s15
	s_branch .LBB33_722
.LBB33_714:
	s_mov_b32 s28, -1
	s_mov_b32 s27, 0
	s_mov_b32 s25, s20
	s_branch .LBB33_788
.LBB33_715:
	s_mov_b32 s26, -1
	s_mov_b32 s0, s15
.LBB33_716:
	s_and_b32 vcc_lo, exec_lo, s26
	s_cbranch_vccz .LBB33_721
; %bb.717:
	s_cmp_eq_u32 s24, 44
	s_mov_b32 s0, -1
	s_cbranch_scc0 .LBB33_721
; %bb.718:
	v_bfe_u32 v4, v2, 23, 8
	s_wait_xcnt 0x0
	v_mov_b32_e32 v3, 0xff
	s_mov_b32 s25, exec_lo
	s_delay_alu instid0(VALU_DEP_2)
	v_cmpx_ne_u32_e32 0xff, v4
	s_cbranch_execz .LBB33_720
; %bb.719:
	v_and_b32_e32 v3, 0x400000, v2
	v_and_or_b32 v4, 0x3fffff, v2, v4
	s_delay_alu instid0(VALU_DEP_2) | instskip(NEXT) | instid1(VALU_DEP_2)
	v_cmp_ne_u32_e32 vcc_lo, 0, v3
	v_cmp_ne_u32_e64 s0, 0, v4
	v_lshrrev_b32_e32 v3, 23, v2
	s_and_b32 s0, vcc_lo, s0
	s_delay_alu instid0(SALU_CYCLE_1) | instskip(NEXT) | instid1(VALU_DEP_1)
	v_cndmask_b32_e64 v4, 0, 1, s0
	v_add_nc_u32_e32 v3, v3, v4
.LBB33_720:
	s_or_b32 exec_lo, exec_lo, s25
	s_mov_b32 s25, -1
	s_mov_b32 s0, 0
	global_store_b8 v[0:1], v3, off
.LBB33_721:
	s_mov_b32 s26, 0
.LBB33_722:
	s_delay_alu instid0(SALU_CYCLE_1)
	s_and_b32 vcc_lo, exec_lo, s26
	s_cbranch_vccz .LBB33_725
; %bb.723:
	s_cmp_eq_u32 s24, 29
	s_mov_b32 s0, -1
	s_cbranch_scc0 .LBB33_725
; %bb.724:
	s_wait_xcnt 0x0
	v_trunc_f32_e32 v3, v2
	s_mov_b32 s25, -1
	s_mov_b32 s0, 0
	s_mov_b32 s26, 0
	s_delay_alu instid0(VALU_DEP_1) | instskip(NEXT) | instid1(VALU_DEP_1)
	v_mul_f32_e32 v4, 0x2f800000, v3
	v_floor_f32_e32 v4, v4
	s_delay_alu instid0(VALU_DEP_1) | instskip(SKIP_1) | instid1(VALU_DEP_2)
	v_fmamk_f32 v3, v4, 0xcf800000, v3
	v_cvt_u32_f32_e32 v5, v4
	v_cvt_u32_f32_e32 v4, v3
	global_store_b64 v[0:1], v[4:5], off
	s_branch .LBB33_726
.LBB33_725:
	s_mov_b32 s26, 0
.LBB33_726:
	s_delay_alu instid0(SALU_CYCLE_1)
	s_and_b32 vcc_lo, exec_lo, s26
	s_cbranch_vccz .LBB33_742
; %bb.727:
	s_cmp_lt_i32 s24, 27
	s_mov_b32 s25, -1
	s_cbranch_scc1 .LBB33_733
; %bb.728:
	s_wait_xcnt 0x0
	v_cvt_u32_f32_e32 v3, v2
	s_cmp_gt_i32 s24, 27
	s_cbranch_scc0 .LBB33_730
; %bb.729:
	s_mov_b32 s25, 0
	global_store_b32 v[0:1], v3, off
.LBB33_730:
	s_and_not1_b32 vcc_lo, exec_lo, s25
	s_cbranch_vccnz .LBB33_732
; %bb.731:
	global_store_b16 v[0:1], v3, off
.LBB33_732:
	s_mov_b32 s25, 0
.LBB33_733:
	s_delay_alu instid0(SALU_CYCLE_1)
	s_and_not1_b32 vcc_lo, exec_lo, s25
	s_cbranch_vccnz .LBB33_741
; %bb.734:
	s_wait_xcnt 0x0
	v_and_b32_e32 v3, 0x7fffffff, v2
	v_mov_b32_e32 v4, 0x80
	s_mov_b32 s25, exec_lo
	s_delay_alu instid0(VALU_DEP_2)
	v_cmpx_gt_u32_e32 0x43800000, v3
	s_cbranch_execz .LBB33_740
; %bb.735:
	v_cmp_lt_u32_e32 vcc_lo, 0x3bffffff, v3
	s_mov_b32 s26, 0
                                        ; implicit-def: $vgpr3
	s_and_saveexec_b32 s27, vcc_lo
	s_delay_alu instid0(SALU_CYCLE_1)
	s_xor_b32 s27, exec_lo, s27
	s_cbranch_execz .LBB33_792
; %bb.736:
	v_bfe_u32 v3, v2, 20, 1
	s_mov_b32 s26, exec_lo
	s_delay_alu instid0(VALU_DEP_1) | instskip(NEXT) | instid1(VALU_DEP_1)
	v_add3_u32 v3, v2, v3, 0x487ffff
	v_lshrrev_b32_e32 v3, 20, v3
	s_and_not1_saveexec_b32 s27, s27
	s_cbranch_execnz .LBB33_793
.LBB33_737:
	s_or_b32 exec_lo, exec_lo, s27
	v_mov_b32_e32 v4, 0
	s_and_saveexec_b32 s27, s26
.LBB33_738:
	v_lshrrev_b32_e32 v4, 24, v2
	s_delay_alu instid0(VALU_DEP_1)
	v_and_or_b32 v4, 0x80, v4, v3
.LBB33_739:
	s_or_b32 exec_lo, exec_lo, s27
.LBB33_740:
	s_delay_alu instid0(SALU_CYCLE_1)
	s_or_b32 exec_lo, exec_lo, s25
	global_store_b8 v[0:1], v4, off
.LBB33_741:
	s_mov_b32 s25, -1
.LBB33_742:
	s_mov_b32 s26, 0
.LBB33_743:
	s_delay_alu instid0(SALU_CYCLE_1)
	s_and_b32 vcc_lo, exec_lo, s26
	s_cbranch_vccz .LBB33_784
; %bb.744:
	s_cmp_gt_i32 s24, 22
	s_mov_b32 s26, -1
	s_cbranch_scc0 .LBB33_776
; %bb.745:
	s_cmp_lt_i32 s24, 24
	s_mov_b32 s25, -1
	s_cbranch_scc1 .LBB33_765
; %bb.746:
	s_cmp_gt_i32 s24, 24
	s_cbranch_scc0 .LBB33_754
; %bb.747:
	s_wait_xcnt 0x0
	v_and_b32_e32 v3, 0x7fffffff, v2
	v_mov_b32_e32 v4, 0x80
	s_mov_b32 s25, exec_lo
	s_delay_alu instid0(VALU_DEP_2)
	v_cmpx_gt_u32_e32 0x47800000, v3
	s_cbranch_execz .LBB33_753
; %bb.748:
	v_cmp_lt_u32_e32 vcc_lo, 0x37ffffff, v3
	s_mov_b32 s26, 0
                                        ; implicit-def: $vgpr3
	s_and_saveexec_b32 s27, vcc_lo
	s_delay_alu instid0(SALU_CYCLE_1)
	s_xor_b32 s27, exec_lo, s27
	s_cbranch_execz .LBB33_919
; %bb.749:
	v_bfe_u32 v3, v2, 21, 1
	s_mov_b32 s26, exec_lo
	s_delay_alu instid0(VALU_DEP_1) | instskip(NEXT) | instid1(VALU_DEP_1)
	v_add3_u32 v3, v2, v3, 0x88fffff
	v_lshrrev_b32_e32 v3, 21, v3
	s_and_not1_saveexec_b32 s27, s27
	s_cbranch_execnz .LBB33_920
.LBB33_750:
	s_or_b32 exec_lo, exec_lo, s27
	v_mov_b32_e32 v4, 0
	s_and_saveexec_b32 s27, s26
.LBB33_751:
	v_lshrrev_b32_e32 v4, 24, v2
	s_delay_alu instid0(VALU_DEP_1)
	v_and_or_b32 v4, 0x80, v4, v3
.LBB33_752:
	s_or_b32 exec_lo, exec_lo, s27
.LBB33_753:
	s_delay_alu instid0(SALU_CYCLE_1)
	s_or_b32 exec_lo, exec_lo, s25
	s_mov_b32 s25, 0
	global_store_b8 v[0:1], v4, off
.LBB33_754:
	s_and_b32 vcc_lo, exec_lo, s25
	s_cbranch_vccz .LBB33_764
; %bb.755:
	s_wait_xcnt 0x0
	v_and_b32_e32 v4, 0x7fffffff, v2
	s_mov_b32 s25, exec_lo
                                        ; implicit-def: $vgpr3
	s_delay_alu instid0(VALU_DEP_1)
	v_cmpx_gt_u32_e32 0x43f00000, v4
	s_xor_b32 s25, exec_lo, s25
	s_cbranch_execz .LBB33_761
; %bb.756:
	s_mov_b32 s26, exec_lo
                                        ; implicit-def: $vgpr3
	v_cmpx_lt_u32_e32 0x3c7fffff, v4
	s_xor_b32 s26, exec_lo, s26
; %bb.757:
	v_bfe_u32 v3, v2, 20, 1
	s_delay_alu instid0(VALU_DEP_1) | instskip(NEXT) | instid1(VALU_DEP_1)
	v_add3_u32 v3, v2, v3, 0x407ffff
	v_and_b32_e32 v4, 0xff00000, v3
	v_lshrrev_b32_e32 v3, 20, v3
	s_delay_alu instid0(VALU_DEP_2) | instskip(NEXT) | instid1(VALU_DEP_2)
	v_cmp_ne_u32_e32 vcc_lo, 0x7f00000, v4
	v_cndmask_b32_e32 v3, 0x7e, v3, vcc_lo
; %bb.758:
	s_and_not1_saveexec_b32 s26, s26
; %bb.759:
	v_add_f32_e64 v3, 0x46800000, |v2|
; %bb.760:
	s_or_b32 exec_lo, exec_lo, s26
                                        ; implicit-def: $vgpr4
.LBB33_761:
	s_and_not1_saveexec_b32 s25, s25
; %bb.762:
	v_mov_b32_e32 v3, 0x7f
	v_cmp_lt_u32_e32 vcc_lo, 0x7f800000, v4
	s_delay_alu instid0(VALU_DEP_2)
	v_cndmask_b32_e32 v3, 0x7e, v3, vcc_lo
; %bb.763:
	s_or_b32 exec_lo, exec_lo, s25
	v_lshrrev_b32_e32 v4, 24, v2
	s_delay_alu instid0(VALU_DEP_1)
	v_and_or_b32 v3, 0x80, v4, v3
	global_store_b8 v[0:1], v3, off
.LBB33_764:
	s_mov_b32 s25, 0
.LBB33_765:
	s_delay_alu instid0(SALU_CYCLE_1)
	s_and_not1_b32 vcc_lo, exec_lo, s25
	s_cbranch_vccnz .LBB33_775
; %bb.766:
	s_wait_xcnt 0x0
	v_and_b32_e32 v4, 0x7fffffff, v2
	s_mov_b32 s25, exec_lo
                                        ; implicit-def: $vgpr3
	s_delay_alu instid0(VALU_DEP_1)
	v_cmpx_gt_u32_e32 0x47800000, v4
	s_xor_b32 s25, exec_lo, s25
	s_cbranch_execz .LBB33_772
; %bb.767:
	s_mov_b32 s26, exec_lo
                                        ; implicit-def: $vgpr3
	v_cmpx_lt_u32_e32 0x387fffff, v4
	s_xor_b32 s26, exec_lo, s26
; %bb.768:
	v_bfe_u32 v3, v2, 21, 1
	s_delay_alu instid0(VALU_DEP_1) | instskip(NEXT) | instid1(VALU_DEP_1)
	v_add3_u32 v3, v2, v3, 0x80fffff
	v_lshrrev_b32_e32 v3, 21, v3
; %bb.769:
	s_and_not1_saveexec_b32 s26, s26
; %bb.770:
	v_add_f32_e64 v3, 0x43000000, |v2|
; %bb.771:
	s_or_b32 exec_lo, exec_lo, s26
                                        ; implicit-def: $vgpr4
.LBB33_772:
	s_and_not1_saveexec_b32 s25, s25
; %bb.773:
	v_mov_b32_e32 v3, 0x7f
	v_cmp_lt_u32_e32 vcc_lo, 0x7f800000, v4
	s_delay_alu instid0(VALU_DEP_2)
	v_cndmask_b32_e32 v3, 0x7c, v3, vcc_lo
; %bb.774:
	s_or_b32 exec_lo, exec_lo, s25
	v_lshrrev_b32_e32 v4, 24, v2
	s_delay_alu instid0(VALU_DEP_1)
	v_and_or_b32 v3, 0x80, v4, v3
	global_store_b8 v[0:1], v3, off
.LBB33_775:
	s_mov_b32 s26, 0
	s_mov_b32 s25, -1
.LBB33_776:
	s_and_not1_b32 vcc_lo, exec_lo, s26
	s_cbranch_vccnz .LBB33_784
; %bb.777:
	s_cmp_gt_i32 s24, 14
	s_mov_b32 s26, -1
	s_cbranch_scc0 .LBB33_781
; %bb.778:
	s_cmp_eq_u32 s24, 15
	s_mov_b32 s0, -1
	s_cbranch_scc0 .LBB33_780
; %bb.779:
	s_wait_xcnt 0x0
	v_bfe_u32 v3, v2, 16, 1
	v_cmp_o_f32_e32 vcc_lo, v2, v2
	s_mov_b32 s25, -1
	s_mov_b32 s0, 0
	s_delay_alu instid0(VALU_DEP_2) | instskip(NEXT) | instid1(VALU_DEP_1)
	v_add3_u32 v3, v2, v3, 0x7fff
	v_lshrrev_b32_e32 v3, 16, v3
	s_delay_alu instid0(VALU_DEP_1)
	v_cndmask_b32_e32 v3, 0x7fc0, v3, vcc_lo
	global_store_b16 v[0:1], v3, off
.LBB33_780:
	s_mov_b32 s26, 0
.LBB33_781:
	s_delay_alu instid0(SALU_CYCLE_1)
	s_and_b32 vcc_lo, exec_lo, s26
	s_cbranch_vccz .LBB33_784
; %bb.782:
	s_cmp_eq_u32 s24, 11
	s_mov_b32 s0, -1
	s_cbranch_scc0 .LBB33_784
; %bb.783:
	v_cmp_neq_f32_e32 vcc_lo, 0, v2
	s_mov_b32 s0, 0
	s_mov_b32 s25, -1
	s_wait_xcnt 0x0
	v_cndmask_b32_e64 v3, 0, 1, vcc_lo
	global_store_b8 v[0:1], v3, off
.LBB33_784:
.LBB33_785:
	s_and_not1_b32 vcc_lo, exec_lo, s25
	s_cbranch_vccnz .LBB33_695
.LBB33_786:
	v_add_nc_u32_e32 v6, 0x80, v6
	s_mov_b32 s24, -1
	s_branch .LBB33_697
.LBB33_787:
	s_mov_b32 s25, -1
	s_mov_b32 s27, 0
.LBB33_788:
                                        ; implicit-def: $vgpr2
.LBB33_789:
	s_and_b32 vcc_lo, exec_lo, s28
	s_cbranch_vccz .LBB33_795
; %bb.790:
	s_cmp_eq_u32 s26, 44
	s_cbranch_scc0 .LBB33_794
; %bb.791:
	s_wait_loadcnt 0x0
	global_load_u8 v2, v[0:1], off
	s_mov_b32 s25, 0
	s_mov_b32 s27, -1
	s_wait_loadcnt 0x0
	v_lshlrev_b32_e32 v3, 23, v2
	v_cmp_ne_u32_e32 vcc_lo, 0xff, v2
	s_delay_alu instid0(VALU_DEP_2) | instskip(SKIP_1) | instid1(VALU_DEP_2)
	v_cndmask_b32_e32 v3, 0x7f800001, v3, vcc_lo
	v_cmp_ne_u32_e32 vcc_lo, 0, v2
	v_cndmask_b32_e32 v2, 0x400000, v3, vcc_lo
	s_branch .LBB33_795
.LBB33_792:
	s_and_not1_saveexec_b32 s27, s27
	s_cbranch_execz .LBB33_737
.LBB33_793:
	v_add_f32_e64 v3, 0x46000000, |v2|
	s_and_not1_b32 s26, s26, exec_lo
	s_delay_alu instid0(VALU_DEP_1) | instskip(NEXT) | instid1(VALU_DEP_1)
	v_and_b32_e32 v3, 0xff, v3
	v_cmp_ne_u32_e32 vcc_lo, 0, v3
	s_and_b32 s28, vcc_lo, exec_lo
	s_delay_alu instid0(SALU_CYCLE_1)
	s_or_b32 s26, s26, s28
	s_or_b32 exec_lo, exec_lo, s27
	v_mov_b32_e32 v4, 0
	s_and_saveexec_b32 s27, s26
	s_cbranch_execnz .LBB33_738
	s_branch .LBB33_739
.LBB33_794:
	s_mov_b32 s25, -1
                                        ; implicit-def: $vgpr2
.LBB33_795:
	s_mov_b32 s28, 0
.LBB33_796:
	s_delay_alu instid0(SALU_CYCLE_1)
	s_and_b32 vcc_lo, exec_lo, s28
	s_cbranch_vccz .LBB33_800
; %bb.797:
	s_cmp_eq_u32 s26, 29
	s_cbranch_scc0 .LBB33_799
; %bb.798:
	s_wait_loadcnt 0x0
	global_load_b64 v[2:3], v[0:1], off
	s_mov_b32 s27, -1
	s_mov_b32 s25, 0
	s_mov_b32 s28, 0
	s_wait_loadcnt 0x0
	v_clz_i32_u32_e32 v4, v3
	s_delay_alu instid0(VALU_DEP_1) | instskip(NEXT) | instid1(VALU_DEP_1)
	v_min_u32_e32 v4, 32, v4
	v_lshlrev_b64_e32 v[2:3], v4, v[2:3]
	s_delay_alu instid0(VALU_DEP_1) | instskip(NEXT) | instid1(VALU_DEP_1)
	v_min_u32_e32 v2, 1, v2
	v_dual_sub_nc_u32 v3, 32, v4 :: v_dual_bitop2_b32 v2, v3, v2 bitop3:0x54
	s_delay_alu instid0(VALU_DEP_1) | instskip(NEXT) | instid1(VALU_DEP_1)
	v_cvt_f32_u32_e32 v2, v2
	v_ldexp_f32 v2, v2, v3
	s_branch .LBB33_801
.LBB33_799:
	s_mov_b32 s25, -1
                                        ; implicit-def: $vgpr2
.LBB33_800:
	s_mov_b32 s28, 0
.LBB33_801:
	s_delay_alu instid0(SALU_CYCLE_1)
	s_and_b32 vcc_lo, exec_lo, s28
	s_cbranch_vccz .LBB33_819
; %bb.802:
	s_cmp_lt_i32 s26, 27
	s_cbranch_scc1 .LBB33_805
; %bb.803:
	s_cmp_gt_i32 s26, 27
	s_cbranch_scc0 .LBB33_806
; %bb.804:
	s_wait_loadcnt 0x0
	global_load_b32 v2, v[0:1], off
	s_mov_b32 s27, 0
	s_wait_loadcnt 0x0
	v_cvt_f32_u32_e32 v2, v2
	s_branch .LBB33_807
.LBB33_805:
	s_mov_b32 s27, -1
                                        ; implicit-def: $vgpr2
	s_branch .LBB33_810
.LBB33_806:
	s_mov_b32 s27, -1
                                        ; implicit-def: $vgpr2
.LBB33_807:
	s_delay_alu instid0(SALU_CYCLE_1)
	s_and_not1_b32 vcc_lo, exec_lo, s27
	s_cbranch_vccnz .LBB33_809
; %bb.808:
	s_wait_loadcnt 0x0
	global_load_u16 v2, v[0:1], off
	s_wait_loadcnt 0x0
	v_cvt_f32_u32_e32 v2, v2
.LBB33_809:
	s_mov_b32 s27, 0
.LBB33_810:
	s_delay_alu instid0(SALU_CYCLE_1)
	s_and_not1_b32 vcc_lo, exec_lo, s27
	s_cbranch_vccnz .LBB33_818
; %bb.811:
	s_wait_loadcnt 0x0
	global_load_u8 v3, v[0:1], off
	s_mov_b32 s27, 0
	s_mov_b32 s28, exec_lo
	s_wait_loadcnt 0x0
	v_cmpx_lt_i16_e32 0x7f, v3
	s_xor_b32 s28, exec_lo, s28
	s_cbranch_execz .LBB33_832
; %bb.812:
	s_mov_b32 s27, -1
	s_mov_b32 s29, exec_lo
	v_cmpx_eq_u16_e32 0x80, v3
; %bb.813:
	s_xor_b32 s27, exec_lo, -1
; %bb.814:
	s_or_b32 exec_lo, exec_lo, s29
	s_delay_alu instid0(SALU_CYCLE_1)
	s_and_b32 s27, s27, exec_lo
	s_or_saveexec_b32 s28, s28
	v_mov_b32_e32 v2, 0x7f800001
	s_xor_b32 exec_lo, exec_lo, s28
	s_cbranch_execnz .LBB33_833
.LBB33_815:
	s_or_b32 exec_lo, exec_lo, s28
	s_and_saveexec_b32 s28, s27
	s_cbranch_execz .LBB33_817
.LBB33_816:
	v_and_b32_e32 v2, 0xffff, v3
	s_delay_alu instid0(VALU_DEP_1) | instskip(SKIP_1) | instid1(VALU_DEP_2)
	v_and_b32_e32 v4, 7, v2
	v_bfe_u32 v8, v2, 3, 4
	v_clz_i32_u32_e32 v5, v4
	s_delay_alu instid0(VALU_DEP_2) | instskip(NEXT) | instid1(VALU_DEP_2)
	v_cmp_eq_u32_e32 vcc_lo, 0, v8
	v_min_u32_e32 v5, 32, v5
	s_delay_alu instid0(VALU_DEP_1) | instskip(NEXT) | instid1(VALU_DEP_1)
	v_subrev_nc_u32_e32 v7, 28, v5
	v_dual_lshlrev_b32 v2, v7, v2 :: v_dual_sub_nc_u32 v5, 29, v5
	s_delay_alu instid0(VALU_DEP_1) | instskip(NEXT) | instid1(VALU_DEP_2)
	v_dual_lshlrev_b32 v3, 24, v3 :: v_dual_bitop2_b32 v2, 7, v2 bitop3:0x40
	v_cndmask_b32_e32 v5, v8, v5, vcc_lo
	s_delay_alu instid0(VALU_DEP_2) | instskip(NEXT) | instid1(VALU_DEP_3)
	v_cndmask_b32_e32 v2, v4, v2, vcc_lo
	v_and_b32_e32 v3, 0x80000000, v3
	s_delay_alu instid0(VALU_DEP_3) | instskip(NEXT) | instid1(VALU_DEP_3)
	v_lshl_add_u32 v4, v5, 23, 0x3b800000
	v_lshlrev_b32_e32 v2, 20, v2
	s_delay_alu instid0(VALU_DEP_1)
	v_or3_b32 v2, v3, v4, v2
.LBB33_817:
	s_or_b32 exec_lo, exec_lo, s28
.LBB33_818:
	s_mov_b32 s27, -1
.LBB33_819:
	s_mov_b32 s28, 0
.LBB33_820:
	s_delay_alu instid0(SALU_CYCLE_1)
	s_and_b32 vcc_lo, exec_lo, s28
	s_cbranch_vccz .LBB33_855
; %bb.821:
	s_cmp_gt_i32 s26, 22
	s_cbranch_scc0 .LBB33_831
; %bb.822:
	s_cmp_lt_i32 s26, 24
	s_cbranch_scc1 .LBB33_834
; %bb.823:
	s_cmp_gt_i32 s26, 24
	s_cbranch_scc0 .LBB33_835
; %bb.824:
	s_wait_loadcnt 0x0
	global_load_u8 v3, v[0:1], off
	s_mov_b32 s27, 0
	s_mov_b32 s28, exec_lo
	s_wait_loadcnt 0x0
	v_cmpx_lt_i16_e32 0x7f, v3
	s_xor_b32 s28, exec_lo, s28
	s_cbranch_execz .LBB33_847
; %bb.825:
	s_mov_b32 s27, -1
	s_mov_b32 s29, exec_lo
	v_cmpx_eq_u16_e32 0x80, v3
; %bb.826:
	s_xor_b32 s27, exec_lo, -1
; %bb.827:
	s_or_b32 exec_lo, exec_lo, s29
	s_delay_alu instid0(SALU_CYCLE_1)
	s_and_b32 s27, s27, exec_lo
	s_or_saveexec_b32 s28, s28
	v_mov_b32_e32 v2, 0x7f800001
	s_xor_b32 exec_lo, exec_lo, s28
	s_cbranch_execnz .LBB33_848
.LBB33_828:
	s_or_b32 exec_lo, exec_lo, s28
	s_and_saveexec_b32 s28, s27
	s_cbranch_execz .LBB33_830
.LBB33_829:
	v_and_b32_e32 v2, 0xffff, v3
	s_delay_alu instid0(VALU_DEP_1) | instskip(SKIP_1) | instid1(VALU_DEP_2)
	v_and_b32_e32 v4, 3, v2
	v_bfe_u32 v8, v2, 2, 5
	v_clz_i32_u32_e32 v5, v4
	s_delay_alu instid0(VALU_DEP_2) | instskip(NEXT) | instid1(VALU_DEP_2)
	v_cmp_eq_u32_e32 vcc_lo, 0, v8
	v_min_u32_e32 v5, 32, v5
	s_delay_alu instid0(VALU_DEP_1) | instskip(NEXT) | instid1(VALU_DEP_1)
	v_subrev_nc_u32_e32 v7, 29, v5
	v_dual_lshlrev_b32 v2, v7, v2 :: v_dual_sub_nc_u32 v5, 30, v5
	s_delay_alu instid0(VALU_DEP_1) | instskip(NEXT) | instid1(VALU_DEP_2)
	v_dual_lshlrev_b32 v3, 24, v3 :: v_dual_bitop2_b32 v2, 3, v2 bitop3:0x40
	v_cndmask_b32_e32 v5, v8, v5, vcc_lo
	s_delay_alu instid0(VALU_DEP_2) | instskip(NEXT) | instid1(VALU_DEP_3)
	v_cndmask_b32_e32 v2, v4, v2, vcc_lo
	v_and_b32_e32 v3, 0x80000000, v3
	s_delay_alu instid0(VALU_DEP_3) | instskip(NEXT) | instid1(VALU_DEP_3)
	v_lshl_add_u32 v4, v5, 23, 0x37800000
	v_lshlrev_b32_e32 v2, 21, v2
	s_delay_alu instid0(VALU_DEP_1)
	v_or3_b32 v2, v3, v4, v2
.LBB33_830:
	s_or_b32 exec_lo, exec_lo, s28
	s_mov_b32 s27, 0
	s_branch .LBB33_836
.LBB33_831:
	s_mov_b32 s28, -1
                                        ; implicit-def: $vgpr2
	s_branch .LBB33_842
.LBB33_832:
	s_or_saveexec_b32 s28, s28
	v_mov_b32_e32 v2, 0x7f800001
	s_xor_b32 exec_lo, exec_lo, s28
	s_cbranch_execz .LBB33_815
.LBB33_833:
	v_cmp_ne_u16_e32 vcc_lo, 0, v3
	v_mov_b32_e32 v2, 0
	s_and_not1_b32 s27, s27, exec_lo
	s_and_b32 s29, vcc_lo, exec_lo
	s_delay_alu instid0(SALU_CYCLE_1)
	s_or_b32 s27, s27, s29
	s_or_b32 exec_lo, exec_lo, s28
	s_and_saveexec_b32 s28, s27
	s_cbranch_execnz .LBB33_816
	s_branch .LBB33_817
.LBB33_834:
	s_mov_b32 s27, -1
                                        ; implicit-def: $vgpr2
	s_branch .LBB33_839
.LBB33_835:
	s_mov_b32 s27, -1
                                        ; implicit-def: $vgpr2
.LBB33_836:
	s_delay_alu instid0(SALU_CYCLE_1)
	s_and_b32 vcc_lo, exec_lo, s27
	s_cbranch_vccz .LBB33_838
; %bb.837:
	s_wait_loadcnt 0x0
	global_load_u8 v2, v[0:1], off
	s_wait_loadcnt 0x0
	v_lshlrev_b32_e32 v2, 24, v2
	s_delay_alu instid0(VALU_DEP_1) | instskip(NEXT) | instid1(VALU_DEP_1)
	v_and_b32_e32 v3, 0x7f000000, v2
	v_clz_i32_u32_e32 v4, v3
	v_add_nc_u32_e32 v7, 0x1000000, v3
	v_cmp_ne_u32_e32 vcc_lo, 0, v3
	s_delay_alu instid0(VALU_DEP_3) | instskip(NEXT) | instid1(VALU_DEP_1)
	v_min_u32_e32 v4, 32, v4
	v_sub_nc_u32_e64 v4, v4, 4 clamp
	s_delay_alu instid0(VALU_DEP_1) | instskip(NEXT) | instid1(VALU_DEP_1)
	v_dual_lshlrev_b32 v5, v4, v3 :: v_dual_lshlrev_b32 v4, 23, v4
	v_lshrrev_b32_e32 v5, 4, v5
	s_delay_alu instid0(VALU_DEP_1) | instskip(NEXT) | instid1(VALU_DEP_1)
	v_dual_sub_nc_u32 v4, v5, v4 :: v_dual_ashrrev_i32 v5, 8, v7
	v_add_nc_u32_e32 v4, 0x3c000000, v4
	s_delay_alu instid0(VALU_DEP_1) | instskip(NEXT) | instid1(VALU_DEP_1)
	v_and_or_b32 v4, 0x7f800000, v5, v4
	v_cndmask_b32_e32 v3, 0, v4, vcc_lo
	s_delay_alu instid0(VALU_DEP_1)
	v_and_or_b32 v2, 0x80000000, v2, v3
.LBB33_838:
	s_mov_b32 s27, 0
.LBB33_839:
	s_delay_alu instid0(SALU_CYCLE_1)
	s_and_not1_b32 vcc_lo, exec_lo, s27
	s_cbranch_vccnz .LBB33_841
; %bb.840:
	s_wait_loadcnt 0x0
	global_load_u8 v2, v[0:1], off
	s_wait_loadcnt 0x0
	v_lshlrev_b32_e32 v3, 25, v2
	v_lshlrev_b16 v2, 8, v2
	s_delay_alu instid0(VALU_DEP_1) | instskip(SKIP_1) | instid1(VALU_DEP_2)
	v_and_or_b32 v5, 0x7f00, v2, 0.5
	v_bfe_i32 v2, v2, 0, 16
	v_dual_add_f32 v5, -0.5, v5 :: v_dual_lshrrev_b32 v4, 4, v3
	v_cmp_gt_u32_e32 vcc_lo, 0x8000000, v3
	s_delay_alu instid0(VALU_DEP_2) | instskip(NEXT) | instid1(VALU_DEP_1)
	v_or_b32_e32 v4, 0x70000000, v4
	v_mul_f32_e32 v4, 0x7800000, v4
	s_delay_alu instid0(VALU_DEP_1) | instskip(NEXT) | instid1(VALU_DEP_1)
	v_cndmask_b32_e32 v3, v4, v5, vcc_lo
	v_and_or_b32 v2, 0x80000000, v2, v3
.LBB33_841:
	s_mov_b32 s28, 0
	s_mov_b32 s27, -1
.LBB33_842:
	s_and_not1_b32 vcc_lo, exec_lo, s28
	s_cbranch_vccnz .LBB33_855
; %bb.843:
	s_cmp_gt_i32 s26, 14
	s_cbranch_scc0 .LBB33_846
; %bb.844:
	s_cmp_eq_u32 s26, 15
	s_cbranch_scc0 .LBB33_849
; %bb.845:
	s_wait_loadcnt 0x0
	global_load_u16 v2, v[0:1], off
	s_mov_b32 s27, -1
	s_mov_b32 s25, 0
	s_wait_loadcnt 0x0
	v_lshlrev_b32_e32 v2, 16, v2
	s_branch .LBB33_850
.LBB33_846:
	s_mov_b32 s28, -1
                                        ; implicit-def: $vgpr2
	s_branch .LBB33_851
.LBB33_847:
	s_or_saveexec_b32 s28, s28
	v_mov_b32_e32 v2, 0x7f800001
	s_xor_b32 exec_lo, exec_lo, s28
	s_cbranch_execz .LBB33_828
.LBB33_848:
	v_cmp_ne_u16_e32 vcc_lo, 0, v3
	v_mov_b32_e32 v2, 0
	s_and_not1_b32 s27, s27, exec_lo
	s_and_b32 s29, vcc_lo, exec_lo
	s_delay_alu instid0(SALU_CYCLE_1)
	s_or_b32 s27, s27, s29
	s_or_b32 exec_lo, exec_lo, s28
	s_and_saveexec_b32 s28, s27
	s_cbranch_execnz .LBB33_829
	s_branch .LBB33_830
.LBB33_849:
	s_mov_b32 s25, -1
                                        ; implicit-def: $vgpr2
.LBB33_850:
	s_mov_b32 s28, 0
.LBB33_851:
	s_delay_alu instid0(SALU_CYCLE_1)
	s_and_b32 vcc_lo, exec_lo, s28
	s_cbranch_vccz .LBB33_855
; %bb.852:
	s_cmp_eq_u32 s26, 11
	s_cbranch_scc0 .LBB33_854
; %bb.853:
	s_wait_loadcnt 0x0
	global_load_u8 v2, v[0:1], off
	s_mov_b32 s25, 0
	s_mov_b32 s27, -1
	s_wait_loadcnt 0x0
	v_cmp_ne_u16_e32 vcc_lo, 0, v2
	v_cndmask_b32_e64 v2, 0, 1.0, vcc_lo
	s_branch .LBB33_855
.LBB33_854:
	s_mov_b32 s25, -1
                                        ; implicit-def: $vgpr2
.LBB33_855:
	s_mov_b32 s26, 0
.LBB33_856:
	s_delay_alu instid0(SALU_CYCLE_1)
	s_and_b32 vcc_lo, exec_lo, s26
	s_cbranch_vccz .LBB33_905
; %bb.857:
	s_and_b32 s0, 0xffff, s0
	s_delay_alu instid0(SALU_CYCLE_1)
	s_cmp_lt_i32 s0, 5
	s_cbranch_scc1 .LBB33_862
; %bb.858:
	s_cmp_lt_i32 s0, 8
	s_cbranch_scc1 .LBB33_863
; %bb.859:
	;; [unrolled: 3-line block ×3, first 2 shown]
	s_cmp_gt_i32 s0, 9
	s_cbranch_scc0 .LBB33_865
; %bb.861:
	s_wait_loadcnt 0x0
	global_load_b64 v[2:3], v[0:1], off
	s_mov_b32 s26, 0
	s_wait_loadcnt 0x0
	v_cvt_f32_f64_e32 v2, v[2:3]
	s_branch .LBB33_866
.LBB33_862:
	s_mov_b32 s26, -1
                                        ; implicit-def: $vgpr2
	s_branch .LBB33_884
.LBB33_863:
	s_mov_b32 s26, -1
                                        ; implicit-def: $vgpr2
	s_branch .LBB33_872
.LBB33_864:
	s_mov_b32 s26, -1
                                        ; implicit-def: $vgpr2
	s_branch .LBB33_869
.LBB33_865:
	s_mov_b32 s26, -1
                                        ; implicit-def: $vgpr2
.LBB33_866:
	s_delay_alu instid0(SALU_CYCLE_1)
	s_and_not1_b32 vcc_lo, exec_lo, s26
	s_cbranch_vccnz .LBB33_868
; %bb.867:
	s_wait_loadcnt 0x0
	global_load_b32 v2, v[0:1], off
.LBB33_868:
	s_mov_b32 s26, 0
.LBB33_869:
	s_delay_alu instid0(SALU_CYCLE_1)
	s_and_not1_b32 vcc_lo, exec_lo, s26
	s_cbranch_vccnz .LBB33_871
; %bb.870:
	s_wait_loadcnt 0x0
	global_load_b32 v2, v[0:1], off
	s_wait_loadcnt 0x0
	v_cvt_f32_f16_e32 v2, v2
.LBB33_871:
	s_mov_b32 s26, 0
.LBB33_872:
	s_delay_alu instid0(SALU_CYCLE_1)
	s_and_not1_b32 vcc_lo, exec_lo, s26
	s_cbranch_vccnz .LBB33_883
; %bb.873:
	s_cmp_lt_i32 s0, 6
	s_cbranch_scc1 .LBB33_876
; %bb.874:
	s_cmp_gt_i32 s0, 6
	s_cbranch_scc0 .LBB33_877
; %bb.875:
	s_wait_loadcnt 0x0
	global_load_b64 v[2:3], v[0:1], off
	s_mov_b32 s26, 0
	s_wait_loadcnt 0x0
	v_cvt_f32_f64_e32 v2, v[2:3]
	s_branch .LBB33_878
.LBB33_876:
	s_mov_b32 s26, -1
                                        ; implicit-def: $vgpr2
	s_branch .LBB33_881
.LBB33_877:
	s_mov_b32 s26, -1
                                        ; implicit-def: $vgpr2
.LBB33_878:
	s_delay_alu instid0(SALU_CYCLE_1)
	s_and_not1_b32 vcc_lo, exec_lo, s26
	s_cbranch_vccnz .LBB33_880
; %bb.879:
	s_wait_loadcnt 0x0
	global_load_b32 v2, v[0:1], off
.LBB33_880:
	s_mov_b32 s26, 0
.LBB33_881:
	s_delay_alu instid0(SALU_CYCLE_1)
	s_and_not1_b32 vcc_lo, exec_lo, s26
	s_cbranch_vccnz .LBB33_883
; %bb.882:
	s_wait_loadcnt 0x0
	global_load_u16 v2, v[0:1], off
	s_wait_loadcnt 0x0
	v_cvt_f32_f16_e32 v2, v2
.LBB33_883:
	s_mov_b32 s26, 0
.LBB33_884:
	s_delay_alu instid0(SALU_CYCLE_1)
	s_and_not1_b32 vcc_lo, exec_lo, s26
	s_cbranch_vccnz .LBB33_904
; %bb.885:
	s_cmp_lt_i32 s0, 2
	s_cbranch_scc1 .LBB33_889
; %bb.886:
	s_cmp_lt_i32 s0, 3
	s_cbranch_scc1 .LBB33_890
; %bb.887:
	s_cmp_gt_i32 s0, 3
	s_cbranch_scc0 .LBB33_891
; %bb.888:
	s_wait_loadcnt 0x0
	global_load_b64 v[2:3], v[0:1], off
	s_mov_b32 s26, 0
	s_wait_loadcnt 0x0
	v_xor_b32_e32 v4, v2, v3
	v_cls_i32_e32 v5, v3
	s_delay_alu instid0(VALU_DEP_2) | instskip(NEXT) | instid1(VALU_DEP_1)
	v_ashrrev_i32_e32 v4, 31, v4
	v_add_nc_u32_e32 v4, 32, v4
	s_delay_alu instid0(VALU_DEP_1) | instskip(NEXT) | instid1(VALU_DEP_1)
	v_add_min_u32_e64 v4, v5, -1, v4
	v_lshlrev_b64_e32 v[2:3], v4, v[2:3]
	s_delay_alu instid0(VALU_DEP_1) | instskip(NEXT) | instid1(VALU_DEP_1)
	v_min_u32_e32 v2, 1, v2
	v_dual_sub_nc_u32 v3, 32, v4 :: v_dual_bitop2_b32 v2, v3, v2 bitop3:0x54
	s_delay_alu instid0(VALU_DEP_1) | instskip(NEXT) | instid1(VALU_DEP_1)
	v_cvt_f32_i32_e32 v2, v2
	v_ldexp_f32 v2, v2, v3
	s_branch .LBB33_892
.LBB33_889:
	s_mov_b32 s26, -1
                                        ; implicit-def: $vgpr2
	s_branch .LBB33_898
.LBB33_890:
	s_mov_b32 s26, -1
                                        ; implicit-def: $vgpr2
	s_branch .LBB33_895
.LBB33_891:
	s_mov_b32 s26, -1
                                        ; implicit-def: $vgpr2
.LBB33_892:
	s_delay_alu instid0(SALU_CYCLE_1)
	s_and_not1_b32 vcc_lo, exec_lo, s26
	s_cbranch_vccnz .LBB33_894
; %bb.893:
	s_wait_loadcnt 0x0
	global_load_b32 v2, v[0:1], off
	s_wait_loadcnt 0x0
	v_cvt_f32_i32_e32 v2, v2
.LBB33_894:
	s_mov_b32 s26, 0
.LBB33_895:
	s_delay_alu instid0(SALU_CYCLE_1)
	s_and_not1_b32 vcc_lo, exec_lo, s26
	s_cbranch_vccnz .LBB33_897
; %bb.896:
	s_wait_loadcnt 0x0
	global_load_i16 v2, v[0:1], off
	s_wait_loadcnt 0x0
	v_cvt_f32_i32_e32 v2, v2
.LBB33_897:
	s_mov_b32 s26, 0
.LBB33_898:
	s_delay_alu instid0(SALU_CYCLE_1)
	s_and_not1_b32 vcc_lo, exec_lo, s26
	s_cbranch_vccnz .LBB33_904
; %bb.899:
	s_cmp_gt_i32 s0, 0
	s_mov_b32 s0, 0
	s_cbranch_scc0 .LBB33_901
; %bb.900:
	s_wait_loadcnt 0x0
	global_load_i8 v2, v[0:1], off
	s_wait_loadcnt 0x0
	v_cvt_f32_i32_e32 v2, v2
	s_branch .LBB33_902
.LBB33_901:
	s_mov_b32 s0, -1
                                        ; implicit-def: $vgpr2
.LBB33_902:
	s_delay_alu instid0(SALU_CYCLE_1)
	s_and_not1_b32 vcc_lo, exec_lo, s0
	s_cbranch_vccnz .LBB33_904
; %bb.903:
	global_load_u8 v0, v[0:1], off
	s_wait_loadcnt 0x0
	v_cvt_f32_ubyte0_e32 v2, v0
.LBB33_904:
	s_mov_b32 s27, -1
.LBB33_905:
	s_delay_alu instid0(SALU_CYCLE_1)
	s_and_not1_b32 vcc_lo, exec_lo, s27
	s_cbranch_vccnz .LBB33_913
; %bb.906:
	s_wait_xcnt 0x0
	v_mul_lo_u32 v0, v6, s10
	s_and_b32 s0, s1, 0xff
	s_delay_alu instid0(SALU_CYCLE_1) | instskip(NEXT) | instid1(VALU_DEP_1)
	s_cmp_lt_i32 s0, 11
	v_ashrrev_i32_e32 v1, 31, v0
	s_delay_alu instid0(VALU_DEP_1)
	v_add_nc_u64_e32 v[0:1], s[2:3], v[0:1]
	s_cbranch_scc1 .LBB33_914
; %bb.907:
	s_and_b32 s27, 0xffff, s0
	s_delay_alu instid0(SALU_CYCLE_1)
	s_cmp_gt_i32 s27, 25
	s_cbranch_scc0 .LBB33_915
; %bb.908:
	s_cmp_gt_i32 s27, 28
	s_cbranch_scc0 .LBB33_916
; %bb.909:
	;; [unrolled: 3-line block ×4, first 2 shown]
	s_cmp_eq_u32 s27, 46
	s_mov_b32 s29, 0
	s_cbranch_scc0 .LBB33_921
; %bb.912:
	s_wait_loadcnt 0x0
	global_load_b32 v3, v[0:1], off
	s_mov_b32 s28, -1
	s_mov_b32 s26, 0
	s_wait_loadcnt 0x0
	v_lshlrev_b32_e32 v3, 16, v3
	s_branch .LBB33_923
.LBB33_913:
	s_mov_b32 s28, 0
	s_mov_b32 s0, s21
	;; [unrolled: 1-line block ×3, first 2 shown]
	s_branch .LBB33_1086
.LBB33_914:
	s_mov_b32 s27, -1
	s_mov_b32 s28, 0
	s_mov_b32 s26, s22
                                        ; implicit-def: $vgpr3
	s_branch .LBB33_988
.LBB33_915:
	s_mov_b32 s29, -1
	s_mov_b32 s28, 0
	s_mov_b32 s26, s22
                                        ; implicit-def: $vgpr3
	s_branch .LBB33_952
.LBB33_916:
	s_mov_b32 s29, -1
	s_mov_b32 s28, 0
	s_mov_b32 s26, s22
                                        ; implicit-def: $vgpr3
	s_branch .LBB33_933
.LBB33_917:
	s_mov_b32 s29, -1
	s_mov_b32 s28, 0
	s_mov_b32 s26, s22
                                        ; implicit-def: $vgpr3
	s_branch .LBB33_928
.LBB33_918:
	s_mov_b32 s29, -1
	s_mov_b32 s28, 0
	s_mov_b32 s26, s22
	s_branch .LBB33_922
.LBB33_919:
	s_and_not1_saveexec_b32 s27, s27
	s_cbranch_execz .LBB33_750
.LBB33_920:
	v_add_f32_e64 v3, 0x42800000, |v2|
	s_and_not1_b32 s26, s26, exec_lo
	s_delay_alu instid0(VALU_DEP_1) | instskip(NEXT) | instid1(VALU_DEP_1)
	v_and_b32_e32 v3, 0xff, v3
	v_cmp_ne_u32_e32 vcc_lo, 0, v3
	s_and_b32 s28, vcc_lo, exec_lo
	s_delay_alu instid0(SALU_CYCLE_1)
	s_or_b32 s26, s26, s28
	s_or_b32 exec_lo, exec_lo, s27
	v_mov_b32_e32 v4, 0
	s_and_saveexec_b32 s27, s26
	s_cbranch_execnz .LBB33_751
	s_branch .LBB33_752
.LBB33_921:
	s_mov_b32 s26, -1
	s_mov_b32 s28, 0
.LBB33_922:
                                        ; implicit-def: $vgpr3
.LBB33_923:
	s_and_b32 vcc_lo, exec_lo, s29
	s_cbranch_vccz .LBB33_927
; %bb.924:
	s_cmp_eq_u32 s27, 44
	s_cbranch_scc0 .LBB33_926
; %bb.925:
	s_wait_loadcnt 0x0
	global_load_u8 v3, v[0:1], off
	s_mov_b32 s26, 0
	s_mov_b32 s28, -1
	s_wait_loadcnt 0x0
	v_lshlrev_b32_e32 v4, 23, v3
	v_cmp_ne_u32_e32 vcc_lo, 0xff, v3
	s_delay_alu instid0(VALU_DEP_2) | instskip(SKIP_1) | instid1(VALU_DEP_2)
	v_cndmask_b32_e32 v4, 0x7f800001, v4, vcc_lo
	v_cmp_ne_u32_e32 vcc_lo, 0, v3
	v_cndmask_b32_e32 v3, 0x400000, v4, vcc_lo
	s_branch .LBB33_927
.LBB33_926:
	s_mov_b32 s26, -1
                                        ; implicit-def: $vgpr3
.LBB33_927:
	s_mov_b32 s29, 0
.LBB33_928:
	s_delay_alu instid0(SALU_CYCLE_1)
	s_and_b32 vcc_lo, exec_lo, s29
	s_cbranch_vccz .LBB33_932
; %bb.929:
	s_cmp_eq_u32 s27, 29
	s_cbranch_scc0 .LBB33_931
; %bb.930:
	global_load_b64 v[4:5], v[0:1], off
	s_mov_b32 s28, -1
	s_mov_b32 s26, 0
	s_mov_b32 s29, 0
	s_wait_loadcnt 0x0
	v_clz_i32_u32_e32 v3, v5
	s_delay_alu instid0(VALU_DEP_1) | instskip(NEXT) | instid1(VALU_DEP_1)
	v_min_u32_e32 v3, 32, v3
	v_lshlrev_b64_e32 v[4:5], v3, v[4:5]
	v_sub_nc_u32_e32 v3, 32, v3
	s_delay_alu instid0(VALU_DEP_2) | instskip(NEXT) | instid1(VALU_DEP_1)
	v_min_u32_e32 v4, 1, v4
	v_or_b32_e32 v4, v5, v4
	s_delay_alu instid0(VALU_DEP_1) | instskip(NEXT) | instid1(VALU_DEP_1)
	v_cvt_f32_u32_e32 v4, v4
	v_ldexp_f32 v3, v4, v3
	s_branch .LBB33_933
.LBB33_931:
	s_mov_b32 s26, -1
                                        ; implicit-def: $vgpr3
.LBB33_932:
	s_mov_b32 s29, 0
.LBB33_933:
	s_delay_alu instid0(SALU_CYCLE_1)
	s_and_b32 vcc_lo, exec_lo, s29
	s_cbranch_vccz .LBB33_951
; %bb.934:
	s_cmp_lt_i32 s27, 27
	s_cbranch_scc1 .LBB33_937
; %bb.935:
	s_cmp_gt_i32 s27, 27
	s_cbranch_scc0 .LBB33_938
; %bb.936:
	s_wait_loadcnt 0x0
	global_load_b32 v3, v[0:1], off
	s_mov_b32 s28, 0
	s_wait_loadcnt 0x0
	v_cvt_f32_u32_e32 v3, v3
	s_branch .LBB33_939
.LBB33_937:
	s_mov_b32 s28, -1
                                        ; implicit-def: $vgpr3
	s_branch .LBB33_942
.LBB33_938:
	s_mov_b32 s28, -1
                                        ; implicit-def: $vgpr3
.LBB33_939:
	s_delay_alu instid0(SALU_CYCLE_1)
	s_and_not1_b32 vcc_lo, exec_lo, s28
	s_cbranch_vccnz .LBB33_941
; %bb.940:
	s_wait_loadcnt 0x0
	global_load_u16 v3, v[0:1], off
	s_wait_loadcnt 0x0
	v_cvt_f32_u32_e32 v3, v3
.LBB33_941:
	s_mov_b32 s28, 0
.LBB33_942:
	s_delay_alu instid0(SALU_CYCLE_1)
	s_and_not1_b32 vcc_lo, exec_lo, s28
	s_cbranch_vccnz .LBB33_950
; %bb.943:
	global_load_u8 v4, v[0:1], off
	s_mov_b32 s28, 0
	s_mov_b32 s29, exec_lo
	s_wait_loadcnt 0x0
	v_cmpx_lt_i16_e32 0x7f, v4
	s_xor_b32 s29, exec_lo, s29
	s_cbranch_execz .LBB33_964
; %bb.944:
	s_mov_b32 s28, -1
	s_mov_b32 s30, exec_lo
	v_cmpx_eq_u16_e32 0x80, v4
; %bb.945:
	s_xor_b32 s28, exec_lo, -1
; %bb.946:
	s_or_b32 exec_lo, exec_lo, s30
	s_delay_alu instid0(SALU_CYCLE_1)
	s_and_b32 s28, s28, exec_lo
	s_or_saveexec_b32 s29, s29
	v_mov_b32_e32 v3, 0x7f800001
	s_xor_b32 exec_lo, exec_lo, s29
	s_cbranch_execnz .LBB33_965
.LBB33_947:
	s_or_b32 exec_lo, exec_lo, s29
	s_and_saveexec_b32 s29, s28
	s_cbranch_execz .LBB33_949
.LBB33_948:
	v_and_b32_e32 v3, 0xffff, v4
	s_delay_alu instid0(VALU_DEP_1) | instskip(SKIP_1) | instid1(VALU_DEP_2)
	v_dual_lshlrev_b32 v4, 24, v4 :: v_dual_bitop2_b32 v5, 7, v3 bitop3:0x40
	v_bfe_u32 v9, v3, 3, 4
	v_and_b32_e32 v4, 0x80000000, v4
	s_delay_alu instid0(VALU_DEP_3) | instskip(NEXT) | instid1(VALU_DEP_3)
	v_clz_i32_u32_e32 v7, v5
	v_cmp_eq_u32_e32 vcc_lo, 0, v9
	s_delay_alu instid0(VALU_DEP_2) | instskip(NEXT) | instid1(VALU_DEP_1)
	v_min_u32_e32 v7, 32, v7
	v_subrev_nc_u32_e32 v8, 28, v7
	v_sub_nc_u32_e32 v7, 29, v7
	s_delay_alu instid0(VALU_DEP_2) | instskip(NEXT) | instid1(VALU_DEP_2)
	v_lshlrev_b32_e32 v3, v8, v3
	v_cndmask_b32_e32 v7, v9, v7, vcc_lo
	s_delay_alu instid0(VALU_DEP_2) | instskip(NEXT) | instid1(VALU_DEP_1)
	v_and_b32_e32 v3, 7, v3
	v_cndmask_b32_e32 v3, v5, v3, vcc_lo
	s_delay_alu instid0(VALU_DEP_3) | instskip(NEXT) | instid1(VALU_DEP_2)
	v_lshl_add_u32 v5, v7, 23, 0x3b800000
	v_lshlrev_b32_e32 v3, 20, v3
	s_delay_alu instid0(VALU_DEP_1)
	v_or3_b32 v3, v4, v5, v3
.LBB33_949:
	s_or_b32 exec_lo, exec_lo, s29
.LBB33_950:
	s_mov_b32 s28, -1
.LBB33_951:
	s_mov_b32 s29, 0
.LBB33_952:
	s_delay_alu instid0(SALU_CYCLE_1)
	s_and_b32 vcc_lo, exec_lo, s29
	s_cbranch_vccz .LBB33_987
; %bb.953:
	s_cmp_gt_i32 s27, 22
	s_cbranch_scc0 .LBB33_963
; %bb.954:
	s_cmp_lt_i32 s27, 24
	s_cbranch_scc1 .LBB33_966
; %bb.955:
	s_cmp_gt_i32 s27, 24
	s_cbranch_scc0 .LBB33_967
; %bb.956:
	global_load_u8 v4, v[0:1], off
	s_mov_b32 s28, 0
	s_mov_b32 s29, exec_lo
	s_wait_loadcnt 0x0
	v_cmpx_lt_i16_e32 0x7f, v4
	s_xor_b32 s29, exec_lo, s29
	s_cbranch_execz .LBB33_979
; %bb.957:
	s_mov_b32 s28, -1
	s_mov_b32 s30, exec_lo
	v_cmpx_eq_u16_e32 0x80, v4
; %bb.958:
	s_xor_b32 s28, exec_lo, -1
; %bb.959:
	s_or_b32 exec_lo, exec_lo, s30
	s_delay_alu instid0(SALU_CYCLE_1)
	s_and_b32 s28, s28, exec_lo
	s_or_saveexec_b32 s29, s29
	v_mov_b32_e32 v3, 0x7f800001
	s_xor_b32 exec_lo, exec_lo, s29
	s_cbranch_execnz .LBB33_980
.LBB33_960:
	s_or_b32 exec_lo, exec_lo, s29
	s_and_saveexec_b32 s29, s28
	s_cbranch_execz .LBB33_962
.LBB33_961:
	v_and_b32_e32 v3, 0xffff, v4
	s_delay_alu instid0(VALU_DEP_1) | instskip(SKIP_1) | instid1(VALU_DEP_2)
	v_dual_lshlrev_b32 v4, 24, v4 :: v_dual_bitop2_b32 v5, 3, v3 bitop3:0x40
	v_bfe_u32 v9, v3, 2, 5
	v_and_b32_e32 v4, 0x80000000, v4
	s_delay_alu instid0(VALU_DEP_3) | instskip(NEXT) | instid1(VALU_DEP_3)
	v_clz_i32_u32_e32 v7, v5
	v_cmp_eq_u32_e32 vcc_lo, 0, v9
	s_delay_alu instid0(VALU_DEP_2) | instskip(NEXT) | instid1(VALU_DEP_1)
	v_min_u32_e32 v7, 32, v7
	v_subrev_nc_u32_e32 v8, 29, v7
	v_sub_nc_u32_e32 v7, 30, v7
	s_delay_alu instid0(VALU_DEP_2) | instskip(NEXT) | instid1(VALU_DEP_2)
	v_lshlrev_b32_e32 v3, v8, v3
	v_cndmask_b32_e32 v7, v9, v7, vcc_lo
	s_delay_alu instid0(VALU_DEP_2) | instskip(NEXT) | instid1(VALU_DEP_1)
	v_and_b32_e32 v3, 3, v3
	v_cndmask_b32_e32 v3, v5, v3, vcc_lo
	s_delay_alu instid0(VALU_DEP_3) | instskip(NEXT) | instid1(VALU_DEP_2)
	v_lshl_add_u32 v5, v7, 23, 0x37800000
	v_lshlrev_b32_e32 v3, 21, v3
	s_delay_alu instid0(VALU_DEP_1)
	v_or3_b32 v3, v4, v5, v3
.LBB33_962:
	s_or_b32 exec_lo, exec_lo, s29
	s_mov_b32 s28, 0
	s_branch .LBB33_968
.LBB33_963:
	s_mov_b32 s29, -1
                                        ; implicit-def: $vgpr3
	s_branch .LBB33_974
.LBB33_964:
	s_or_saveexec_b32 s29, s29
	v_mov_b32_e32 v3, 0x7f800001
	s_xor_b32 exec_lo, exec_lo, s29
	s_cbranch_execz .LBB33_947
.LBB33_965:
	v_cmp_ne_u16_e32 vcc_lo, 0, v4
	v_mov_b32_e32 v3, 0
	s_and_not1_b32 s28, s28, exec_lo
	s_and_b32 s30, vcc_lo, exec_lo
	s_delay_alu instid0(SALU_CYCLE_1)
	s_or_b32 s28, s28, s30
	s_or_b32 exec_lo, exec_lo, s29
	s_and_saveexec_b32 s29, s28
	s_cbranch_execnz .LBB33_948
	s_branch .LBB33_949
.LBB33_966:
	s_mov_b32 s28, -1
                                        ; implicit-def: $vgpr3
	s_branch .LBB33_971
.LBB33_967:
	s_mov_b32 s28, -1
                                        ; implicit-def: $vgpr3
.LBB33_968:
	s_delay_alu instid0(SALU_CYCLE_1)
	s_and_b32 vcc_lo, exec_lo, s28
	s_cbranch_vccz .LBB33_970
; %bb.969:
	s_wait_loadcnt 0x0
	global_load_u8 v3, v[0:1], off
	s_wait_loadcnt 0x0
	v_lshlrev_b32_e32 v3, 24, v3
	s_delay_alu instid0(VALU_DEP_1) | instskip(NEXT) | instid1(VALU_DEP_1)
	v_and_b32_e32 v4, 0x7f000000, v3
	v_clz_i32_u32_e32 v5, v4
	v_add_nc_u32_e32 v8, 0x1000000, v4
	v_cmp_ne_u32_e32 vcc_lo, 0, v4
	s_delay_alu instid0(VALU_DEP_3) | instskip(NEXT) | instid1(VALU_DEP_1)
	v_min_u32_e32 v5, 32, v5
	v_sub_nc_u32_e64 v5, v5, 4 clamp
	s_delay_alu instid0(VALU_DEP_1) | instskip(NEXT) | instid1(VALU_DEP_1)
	v_dual_lshlrev_b32 v7, v5, v4 :: v_dual_lshlrev_b32 v5, 23, v5
	v_lshrrev_b32_e32 v7, 4, v7
	s_delay_alu instid0(VALU_DEP_1) | instskip(NEXT) | instid1(VALU_DEP_1)
	v_dual_sub_nc_u32 v5, v7, v5 :: v_dual_ashrrev_i32 v7, 8, v8
	v_add_nc_u32_e32 v5, 0x3c000000, v5
	s_delay_alu instid0(VALU_DEP_1) | instskip(NEXT) | instid1(VALU_DEP_1)
	v_and_or_b32 v5, 0x7f800000, v7, v5
	v_cndmask_b32_e32 v4, 0, v5, vcc_lo
	s_delay_alu instid0(VALU_DEP_1)
	v_and_or_b32 v3, 0x80000000, v3, v4
.LBB33_970:
	s_mov_b32 s28, 0
.LBB33_971:
	s_delay_alu instid0(SALU_CYCLE_1)
	s_and_not1_b32 vcc_lo, exec_lo, s28
	s_cbranch_vccnz .LBB33_973
; %bb.972:
	s_wait_loadcnt 0x0
	global_load_u8 v3, v[0:1], off
	s_wait_loadcnt 0x0
	v_lshlrev_b32_e32 v4, 25, v3
	v_lshlrev_b16 v3, 8, v3
	s_delay_alu instid0(VALU_DEP_1) | instskip(NEXT) | instid1(VALU_DEP_3)
	v_and_or_b32 v7, 0x7f00, v3, 0.5
	v_lshrrev_b32_e32 v5, 4, v4
	v_bfe_i32 v3, v3, 0, 16
	s_delay_alu instid0(VALU_DEP_3) | instskip(NEXT) | instid1(VALU_DEP_3)
	v_add_f32_e32 v7, -0.5, v7
	v_or_b32_e32 v5, 0x70000000, v5
	s_delay_alu instid0(VALU_DEP_1) | instskip(SKIP_1) | instid1(VALU_DEP_2)
	v_mul_f32_e32 v5, 0x7800000, v5
	v_cmp_gt_u32_e32 vcc_lo, 0x8000000, v4
	v_cndmask_b32_e32 v4, v5, v7, vcc_lo
	s_delay_alu instid0(VALU_DEP_1)
	v_and_or_b32 v3, 0x80000000, v3, v4
.LBB33_973:
	s_mov_b32 s29, 0
	s_mov_b32 s28, -1
.LBB33_974:
	s_and_not1_b32 vcc_lo, exec_lo, s29
	s_cbranch_vccnz .LBB33_987
; %bb.975:
	s_cmp_gt_i32 s27, 14
	s_cbranch_scc0 .LBB33_978
; %bb.976:
	s_cmp_eq_u32 s27, 15
	s_cbranch_scc0 .LBB33_981
; %bb.977:
	s_wait_loadcnt 0x0
	global_load_u16 v3, v[0:1], off
	s_mov_b32 s28, -1
	s_mov_b32 s26, 0
	s_wait_loadcnt 0x0
	v_lshlrev_b32_e32 v3, 16, v3
	s_branch .LBB33_982
.LBB33_978:
	s_mov_b32 s29, -1
                                        ; implicit-def: $vgpr3
	s_branch .LBB33_983
.LBB33_979:
	s_or_saveexec_b32 s29, s29
	v_mov_b32_e32 v3, 0x7f800001
	s_xor_b32 exec_lo, exec_lo, s29
	s_cbranch_execz .LBB33_960
.LBB33_980:
	v_cmp_ne_u16_e32 vcc_lo, 0, v4
	v_mov_b32_e32 v3, 0
	s_and_not1_b32 s28, s28, exec_lo
	s_and_b32 s30, vcc_lo, exec_lo
	s_delay_alu instid0(SALU_CYCLE_1)
	s_or_b32 s28, s28, s30
	s_or_b32 exec_lo, exec_lo, s29
	s_and_saveexec_b32 s29, s28
	s_cbranch_execnz .LBB33_961
	s_branch .LBB33_962
.LBB33_981:
	s_mov_b32 s26, -1
                                        ; implicit-def: $vgpr3
.LBB33_982:
	s_mov_b32 s29, 0
.LBB33_983:
	s_delay_alu instid0(SALU_CYCLE_1)
	s_and_b32 vcc_lo, exec_lo, s29
	s_cbranch_vccz .LBB33_987
; %bb.984:
	s_cmp_eq_u32 s27, 11
	s_cbranch_scc0 .LBB33_986
; %bb.985:
	s_wait_loadcnt 0x0
	global_load_u8 v3, v[0:1], off
	s_mov_b32 s26, 0
	s_mov_b32 s28, -1
	s_wait_loadcnt 0x0
	v_cmp_ne_u16_e32 vcc_lo, 0, v3
	v_cndmask_b32_e64 v3, 0, 1.0, vcc_lo
	s_branch .LBB33_987
.LBB33_986:
	s_mov_b32 s26, -1
                                        ; implicit-def: $vgpr3
.LBB33_987:
	s_mov_b32 s27, 0
.LBB33_988:
	s_delay_alu instid0(SALU_CYCLE_1)
	s_and_b32 vcc_lo, exec_lo, s27
	s_cbranch_vccz .LBB33_1037
; %bb.989:
	s_and_b32 s0, 0xffff, s0
	s_delay_alu instid0(SALU_CYCLE_1)
	s_cmp_lt_i32 s0, 5
	s_cbranch_scc1 .LBB33_994
; %bb.990:
	s_cmp_lt_i32 s0, 8
	s_cbranch_scc1 .LBB33_995
; %bb.991:
	;; [unrolled: 3-line block ×3, first 2 shown]
	s_cmp_gt_i32 s0, 9
	s_cbranch_scc0 .LBB33_997
; %bb.993:
	global_load_b64 v[4:5], v[0:1], off
	s_mov_b32 s27, 0
	s_wait_loadcnt 0x0
	v_cvt_f32_f64_e32 v3, v[4:5]
	s_branch .LBB33_998
.LBB33_994:
	s_mov_b32 s27, -1
                                        ; implicit-def: $vgpr3
	s_branch .LBB33_1016
.LBB33_995:
	s_mov_b32 s27, -1
                                        ; implicit-def: $vgpr3
	s_branch .LBB33_1004
.LBB33_996:
	s_mov_b32 s27, -1
                                        ; implicit-def: $vgpr3
	s_branch .LBB33_1001
.LBB33_997:
	s_mov_b32 s27, -1
                                        ; implicit-def: $vgpr3
.LBB33_998:
	s_delay_alu instid0(SALU_CYCLE_1)
	s_and_not1_b32 vcc_lo, exec_lo, s27
	s_cbranch_vccnz .LBB33_1000
; %bb.999:
	s_wait_loadcnt 0x0
	global_load_b32 v3, v[0:1], off
.LBB33_1000:
	s_mov_b32 s27, 0
.LBB33_1001:
	s_delay_alu instid0(SALU_CYCLE_1)
	s_and_not1_b32 vcc_lo, exec_lo, s27
	s_cbranch_vccnz .LBB33_1003
; %bb.1002:
	s_wait_loadcnt 0x0
	global_load_b32 v3, v[0:1], off
	s_wait_loadcnt 0x0
	v_cvt_f32_f16_e32 v3, v3
.LBB33_1003:
	s_mov_b32 s27, 0
.LBB33_1004:
	s_delay_alu instid0(SALU_CYCLE_1)
	s_and_not1_b32 vcc_lo, exec_lo, s27
	s_cbranch_vccnz .LBB33_1015
; %bb.1005:
	s_cmp_lt_i32 s0, 6
	s_cbranch_scc1 .LBB33_1008
; %bb.1006:
	s_cmp_gt_i32 s0, 6
	s_cbranch_scc0 .LBB33_1009
; %bb.1007:
	global_load_b64 v[4:5], v[0:1], off
	s_mov_b32 s27, 0
	s_wait_loadcnt 0x0
	v_cvt_f32_f64_e32 v3, v[4:5]
	s_branch .LBB33_1010
.LBB33_1008:
	s_mov_b32 s27, -1
                                        ; implicit-def: $vgpr3
	s_branch .LBB33_1013
.LBB33_1009:
	s_mov_b32 s27, -1
                                        ; implicit-def: $vgpr3
.LBB33_1010:
	s_delay_alu instid0(SALU_CYCLE_1)
	s_and_not1_b32 vcc_lo, exec_lo, s27
	s_cbranch_vccnz .LBB33_1012
; %bb.1011:
	s_wait_loadcnt 0x0
	global_load_b32 v3, v[0:1], off
.LBB33_1012:
	s_mov_b32 s27, 0
.LBB33_1013:
	s_delay_alu instid0(SALU_CYCLE_1)
	s_and_not1_b32 vcc_lo, exec_lo, s27
	s_cbranch_vccnz .LBB33_1015
; %bb.1014:
	s_wait_loadcnt 0x0
	global_load_u16 v3, v[0:1], off
	s_wait_loadcnt 0x0
	v_cvt_f32_f16_e32 v3, v3
.LBB33_1015:
	s_mov_b32 s27, 0
.LBB33_1016:
	s_delay_alu instid0(SALU_CYCLE_1)
	s_and_not1_b32 vcc_lo, exec_lo, s27
	s_cbranch_vccnz .LBB33_1036
; %bb.1017:
	s_cmp_lt_i32 s0, 2
	s_cbranch_scc1 .LBB33_1021
; %bb.1018:
	s_cmp_lt_i32 s0, 3
	s_cbranch_scc1 .LBB33_1022
; %bb.1019:
	s_cmp_gt_i32 s0, 3
	s_cbranch_scc0 .LBB33_1023
; %bb.1020:
	global_load_b64 v[4:5], v[0:1], off
	s_mov_b32 s27, 0
	s_wait_loadcnt 0x0
	v_xor_b32_e32 v3, v4, v5
	v_cls_i32_e32 v7, v5
	s_delay_alu instid0(VALU_DEP_2) | instskip(NEXT) | instid1(VALU_DEP_1)
	v_ashrrev_i32_e32 v3, 31, v3
	v_add_nc_u32_e32 v3, 32, v3
	s_delay_alu instid0(VALU_DEP_1) | instskip(NEXT) | instid1(VALU_DEP_1)
	v_add_min_u32_e64 v3, v7, -1, v3
	v_lshlrev_b64_e32 v[4:5], v3, v[4:5]
	v_sub_nc_u32_e32 v3, 32, v3
	s_delay_alu instid0(VALU_DEP_2) | instskip(NEXT) | instid1(VALU_DEP_1)
	v_min_u32_e32 v4, 1, v4
	v_or_b32_e32 v4, v5, v4
	s_delay_alu instid0(VALU_DEP_1) | instskip(NEXT) | instid1(VALU_DEP_1)
	v_cvt_f32_i32_e32 v4, v4
	v_ldexp_f32 v3, v4, v3
	s_branch .LBB33_1024
.LBB33_1021:
	s_mov_b32 s27, -1
                                        ; implicit-def: $vgpr3
	s_branch .LBB33_1030
.LBB33_1022:
	s_mov_b32 s27, -1
                                        ; implicit-def: $vgpr3
	s_branch .LBB33_1027
.LBB33_1023:
	s_mov_b32 s27, -1
                                        ; implicit-def: $vgpr3
.LBB33_1024:
	s_delay_alu instid0(SALU_CYCLE_1)
	s_and_not1_b32 vcc_lo, exec_lo, s27
	s_cbranch_vccnz .LBB33_1026
; %bb.1025:
	s_wait_loadcnt 0x0
	global_load_b32 v3, v[0:1], off
	s_wait_loadcnt 0x0
	v_cvt_f32_i32_e32 v3, v3
.LBB33_1026:
	s_mov_b32 s27, 0
.LBB33_1027:
	s_delay_alu instid0(SALU_CYCLE_1)
	s_and_not1_b32 vcc_lo, exec_lo, s27
	s_cbranch_vccnz .LBB33_1029
; %bb.1028:
	s_wait_loadcnt 0x0
	global_load_i16 v3, v[0:1], off
	s_wait_loadcnt 0x0
	v_cvt_f32_i32_e32 v3, v3
.LBB33_1029:
	s_mov_b32 s27, 0
.LBB33_1030:
	s_delay_alu instid0(SALU_CYCLE_1)
	s_and_not1_b32 vcc_lo, exec_lo, s27
	s_cbranch_vccnz .LBB33_1036
; %bb.1031:
	s_cmp_gt_i32 s0, 0
	s_mov_b32 s0, 0
	s_cbranch_scc0 .LBB33_1033
; %bb.1032:
	s_wait_loadcnt 0x0
	global_load_i8 v3, v[0:1], off
	s_wait_loadcnt 0x0
	v_cvt_f32_i32_e32 v3, v3
	s_branch .LBB33_1034
.LBB33_1033:
	s_mov_b32 s0, -1
                                        ; implicit-def: $vgpr3
.LBB33_1034:
	s_delay_alu instid0(SALU_CYCLE_1)
	s_and_not1_b32 vcc_lo, exec_lo, s0
	s_cbranch_vccnz .LBB33_1036
; %bb.1035:
	global_load_u8 v0, v[0:1], off
	s_wait_loadcnt 0x0
	v_cvt_f32_ubyte0_e32 v3, v0
.LBB33_1036:
	s_mov_b32 s28, -1
.LBB33_1037:
	s_delay_alu instid0(SALU_CYCLE_1)
	s_and_not1_b32 vcc_lo, exec_lo, s28
	s_cbranch_vccnz .LBB33_1045
; %bb.1038:
	s_wait_xcnt 0x0
	v_mul_lo_u32 v0, v6, s8
	s_wait_loadcnt 0x0
	v_cmp_lt_f32_e32 vcc_lo, 0, v2
	s_and_b32 s27, s11, 0xff
	s_mov_b32 s29, 0
	s_mov_b32 s28, -1
	s_cmp_lt_i32 s27, 11
	s_mov_b32 s0, s21
	s_delay_alu instid0(VALU_DEP_2) | instskip(NEXT) | instid1(VALU_DEP_1)
	v_dual_mul_f32 v3, v2, v3 :: v_dual_ashrrev_i32 v1, 31, v0
	v_cndmask_b32_e32 v2, v3, v2, vcc_lo
	s_delay_alu instid0(VALU_DEP_2)
	v_add_nc_u64_e32 v[0:1], s[4:5], v[0:1]
	s_cbranch_scc1 .LBB33_1046
; %bb.1039:
	s_and_b32 s28, 0xffff, s27
	s_delay_alu instid0(SALU_CYCLE_1)
	s_cmp_gt_i32 s28, 25
	s_cbranch_scc0 .LBB33_1099
; %bb.1040:
	s_cmp_gt_i32 s28, 28
	s_cbranch_scc0 .LBB33_1101
; %bb.1041:
	s_cmp_gt_i32 s28, 43
	s_cbranch_scc0 .LBB33_1103
; %bb.1042:
	s_cmp_gt_i32 s28, 45
	s_cbranch_scc0 .LBB33_1105
; %bb.1043:
	s_mov_b32 s30, 0
	s_mov_b32 s0, -1
	s_cmp_eq_u32 s28, 46
	s_cbranch_scc0 .LBB33_1106
; %bb.1044:
	v_bfe_u32 v3, v2, 16, 1
	v_cmp_o_f32_e32 vcc_lo, v2, v2
	s_mov_b32 s29, -1
	s_mov_b32 s0, 0
	s_delay_alu instid0(VALU_DEP_2) | instskip(NEXT) | instid1(VALU_DEP_1)
	v_add3_u32 v3, v2, v3, 0x7fff
	v_lshrrev_b32_e32 v3, 16, v3
	s_delay_alu instid0(VALU_DEP_1)
	v_cndmask_b32_e32 v3, 0x7fc0, v3, vcc_lo
	global_store_b32 v[0:1], v3, off
	s_branch .LBB33_1106
.LBB33_1045:
	s_mov_b32 s28, 0
	s_mov_b32 s0, s21
	s_branch .LBB33_1086
.LBB33_1046:
	s_and_b32 vcc_lo, exec_lo, s28
	s_cbranch_vccz .LBB33_1175
; %bb.1047:
	s_and_b32 s27, 0xffff, s27
	s_mov_b32 s28, -1
	s_cmp_lt_i32 s27, 5
	s_cbranch_scc1 .LBB33_1068
; %bb.1048:
	s_cmp_lt_i32 s27, 8
	s_cbranch_scc1 .LBB33_1058
; %bb.1049:
	;; [unrolled: 3-line block ×3, first 2 shown]
	s_cmp_gt_i32 s27, 9
	s_cbranch_scc0 .LBB33_1052
; %bb.1051:
	v_cvt_f64_f32_e32 v[8:9], v2
	v_mov_b32_e32 v10, 0
	s_mov_b32 s28, 0
	s_delay_alu instid0(VALU_DEP_1)
	v_mov_b32_e32 v11, v10
	global_store_b128 v[0:1], v[8:11], off
.LBB33_1052:
	s_and_not1_b32 vcc_lo, exec_lo, s28
	s_cbranch_vccnz .LBB33_1054
; %bb.1053:
	s_wait_xcnt 0x0
	v_mov_b32_e32 v3, 0
	global_store_b64 v[0:1], v[2:3], off
.LBB33_1054:
	s_mov_b32 s28, 0
.LBB33_1055:
	s_delay_alu instid0(SALU_CYCLE_1)
	s_and_not1_b32 vcc_lo, exec_lo, s28
	s_cbranch_vccnz .LBB33_1057
; %bb.1056:
	s_wait_xcnt 0x0
	v_cvt_f16_f32_e32 v3, v2
	s_delay_alu instid0(VALU_DEP_1)
	v_and_b32_e32 v3, 0xffff, v3
	global_store_b32 v[0:1], v3, off
.LBB33_1057:
	s_mov_b32 s28, 0
.LBB33_1058:
	s_delay_alu instid0(SALU_CYCLE_1)
	s_and_not1_b32 vcc_lo, exec_lo, s28
	s_cbranch_vccnz .LBB33_1067
; %bb.1059:
	s_cmp_lt_i32 s27, 6
	s_mov_b32 s28, -1
	s_cbranch_scc1 .LBB33_1065
; %bb.1060:
	s_cmp_gt_i32 s27, 6
	s_cbranch_scc0 .LBB33_1062
; %bb.1061:
	s_wait_xcnt 0x0
	v_cvt_f64_f32_e32 v[4:5], v2
	s_mov_b32 s28, 0
	global_store_b64 v[0:1], v[4:5], off
.LBB33_1062:
	s_and_not1_b32 vcc_lo, exec_lo, s28
	s_cbranch_vccnz .LBB33_1064
; %bb.1063:
	global_store_b32 v[0:1], v2, off
.LBB33_1064:
	s_mov_b32 s28, 0
.LBB33_1065:
	s_delay_alu instid0(SALU_CYCLE_1)
	s_and_not1_b32 vcc_lo, exec_lo, s28
	s_cbranch_vccnz .LBB33_1067
; %bb.1066:
	s_wait_xcnt 0x0
	v_cvt_f16_f32_e32 v3, v2
	global_store_b16 v[0:1], v3, off
.LBB33_1067:
	s_mov_b32 s28, 0
.LBB33_1068:
	s_delay_alu instid0(SALU_CYCLE_1)
	s_and_not1_b32 vcc_lo, exec_lo, s28
	s_cbranch_vccnz .LBB33_1084
; %bb.1069:
	s_cmp_lt_i32 s27, 2
	s_mov_b32 s28, -1
	s_cbranch_scc1 .LBB33_1079
; %bb.1070:
	s_cmp_lt_i32 s27, 3
	s_cbranch_scc1 .LBB33_1076
; %bb.1071:
	s_cmp_gt_i32 s27, 3
	s_cbranch_scc0 .LBB33_1073
; %bb.1072:
	s_wait_xcnt 0x0
	v_trunc_f32_e32 v3, v2
	s_mov_b32 s28, 0
	s_delay_alu instid0(VALU_DEP_1) | instskip(NEXT) | instid1(VALU_DEP_1)
	v_mul_f32_e64 v4, 0x2f800000, |v3|
	v_floor_f32_e32 v5, v4
	v_ashrrev_i32_e32 v4, 31, v3
	s_delay_alu instid0(VALU_DEP_2) | instskip(SKIP_1) | instid1(VALU_DEP_3)
	v_fma_f32 v7, 0xcf800000, v5, |v3|
	v_cvt_u32_f32_e32 v3, v5
	v_mov_b32_e32 v5, v4
	s_delay_alu instid0(VALU_DEP_3) | instskip(NEXT) | instid1(VALU_DEP_3)
	v_cvt_u32_f32_e32 v7, v7
	v_xor_b32_e32 v9, v3, v4
	s_delay_alu instid0(VALU_DEP_2) | instskip(NEXT) | instid1(VALU_DEP_1)
	v_xor_b32_e32 v8, v7, v4
	v_sub_nc_u64_e32 v[4:5], v[8:9], v[4:5]
	global_store_b64 v[0:1], v[4:5], off
.LBB33_1073:
	s_and_not1_b32 vcc_lo, exec_lo, s28
	s_cbranch_vccnz .LBB33_1075
; %bb.1074:
	s_wait_xcnt 0x0
	v_cvt_i32_f32_e32 v3, v2
	global_store_b32 v[0:1], v3, off
.LBB33_1075:
	s_mov_b32 s28, 0
.LBB33_1076:
	s_delay_alu instid0(SALU_CYCLE_1)
	s_and_not1_b32 vcc_lo, exec_lo, s28
	s_cbranch_vccnz .LBB33_1078
; %bb.1077:
	s_wait_xcnt 0x0
	v_cvt_i32_f32_e32 v3, v2
	global_store_b16 v[0:1], v3, off
.LBB33_1078:
	s_mov_b32 s28, 0
.LBB33_1079:
	s_delay_alu instid0(SALU_CYCLE_1)
	s_and_not1_b32 vcc_lo, exec_lo, s28
	s_cbranch_vccnz .LBB33_1084
; %bb.1080:
	s_cmp_gt_i32 s27, 0
	s_mov_b32 s27, -1
	s_cbranch_scc0 .LBB33_1082
; %bb.1081:
	s_wait_xcnt 0x0
	v_cvt_i32_f32_e32 v3, v2
	s_mov_b32 s27, 0
	global_store_b8 v[0:1], v3, off
.LBB33_1082:
	s_and_not1_b32 vcc_lo, exec_lo, s27
	s_cbranch_vccnz .LBB33_1084
; %bb.1083:
	s_wait_xcnt 0x0
	v_trunc_f32_e32 v2, v2
	s_delay_alu instid0(VALU_DEP_1) | instskip(NEXT) | instid1(VALU_DEP_1)
	v_mul_f32_e64 v3, 0x2f800000, |v2|
	v_floor_f32_e32 v3, v3
	s_delay_alu instid0(VALU_DEP_1) | instskip(SKIP_1) | instid1(VALU_DEP_2)
	v_fma_f32 v3, 0xcf800000, v3, |v2|
	v_ashrrev_i32_e32 v2, 31, v2
	v_cvt_u32_f32_e32 v3, v3
	s_delay_alu instid0(VALU_DEP_1) | instskip(NEXT) | instid1(VALU_DEP_1)
	v_xor_b32_e32 v3, v3, v2
	v_sub_nc_u32_e32 v2, v3, v2
	global_store_b8 v[0:1], v2, off
.LBB33_1084:
	s_branch .LBB33_1176
.LBB33_1085:
	s_mov_b32 s28, 0
.LBB33_1086:
                                        ; implicit-def: $vgpr6
.LBB33_1087:
	s_and_not1_b32 s27, s21, exec_lo
	s_and_b32 s0, s0, exec_lo
	s_and_b32 s26, s26, exec_lo
	s_or_b32 s27, s27, s0
	s_and_not1_b32 s0, s22, exec_lo
	s_and_not1_b32 s29, s20, exec_lo
	s_and_b32 s25, s25, exec_lo
	s_or_b32 s26, s0, s26
	s_or_b32 s25, s29, s25
	s_or_not1_b32 s31, s28, exec_lo
.LBB33_1088:
	s_wait_xcnt 0x0
	s_or_b32 exec_lo, exec_lo, s24
	s_mov_b32 s28, 0
	s_mov_b32 s29, 0
	;; [unrolled: 1-line block ×3, first 2 shown]
                                        ; implicit-def: $sgpr0
                                        ; implicit-def: $vgpr0_vgpr1
                                        ; implicit-def: $vgpr3
	s_and_saveexec_b32 s24, s31
	s_cbranch_execz .LBB33_1246
; %bb.1089:
	v_cmp_gt_i32_e32 vcc_lo, s16, v6
	s_mov_b32 s33, s25
	s_mov_b32 s31, 0
	;; [unrolled: 1-line block ×3, first 2 shown]
                                        ; implicit-def: $sgpr0
                                        ; implicit-def: $vgpr0_vgpr1
                                        ; implicit-def: $vgpr3
	s_and_saveexec_b32 s16, vcc_lo
	s_cbranch_execz .LBB33_1245
; %bb.1090:
	v_mul_lo_u32 v0, v6, s9
	s_and_b32 s0, s13, 0xff
	s_delay_alu instid0(SALU_CYCLE_1) | instskip(NEXT) | instid1(VALU_DEP_1)
	s_cmp_lt_i32 s0, 11
	v_ashrrev_i32_e32 v1, 31, v0
	s_delay_alu instid0(VALU_DEP_1)
	v_add_nc_u64_e32 v[0:1], s[6:7], v[0:1]
	s_cbranch_scc1 .LBB33_1097
; %bb.1091:
	s_and_b32 s28, 0xffff, s0
	s_delay_alu instid0(SALU_CYCLE_1)
	s_cmp_gt_i32 s28, 25
	s_cbranch_scc0 .LBB33_1098
; %bb.1092:
	s_cmp_gt_i32 s28, 28
	s_cbranch_scc0 .LBB33_1100
; %bb.1093:
	;; [unrolled: 3-line block ×4, first 2 shown]
	s_cmp_eq_u32 s28, 46
	s_mov_b32 s33, 0
	s_cbranch_scc0 .LBB33_1177
; %bb.1096:
	s_wait_loadcnt 0x0
	global_load_b32 v2, v[0:1], off
	s_mov_b32 s31, -1
	s_wait_loadcnt 0x0
	v_lshlrev_b32_e32 v3, 16, v2
	s_branch .LBB33_1179
.LBB33_1097:
	s_mov_b32 s28, -1
	s_mov_b32 s29, s25
                                        ; implicit-def: $vgpr3
	s_branch .LBB33_1244
.LBB33_1098:
	s_mov_b32 s33, -1
	s_mov_b32 s29, s25
                                        ; implicit-def: $vgpr3
	s_branch .LBB33_1210
.LBB33_1099:
	s_mov_b32 s30, -1
	s_mov_b32 s0, s21
	s_branch .LBB33_1133
.LBB33_1100:
	s_mov_b32 s33, -1
	s_mov_b32 s29, s25
                                        ; implicit-def: $vgpr3
	s_branch .LBB33_1191
.LBB33_1101:
	s_mov_b32 s30, -1
	s_mov_b32 s0, s21
	s_branch .LBB33_1116
.LBB33_1102:
	s_mov_b32 s33, -1
	s_mov_b32 s29, s25
                                        ; implicit-def: $vgpr3
	s_branch .LBB33_1186
.LBB33_1103:
	s_mov_b32 s30, -1
	s_mov_b32 s0, s21
	s_branch .LBB33_1112
.LBB33_1104:
	s_mov_b32 s33, -1
	s_mov_b32 s29, s25
	s_branch .LBB33_1178
.LBB33_1105:
	s_mov_b32 s30, -1
	s_mov_b32 s0, s21
.LBB33_1106:
	s_and_b32 vcc_lo, exec_lo, s30
	s_cbranch_vccz .LBB33_1111
; %bb.1107:
	s_cmp_eq_u32 s28, 44
	s_mov_b32 s0, -1
	s_cbranch_scc0 .LBB33_1111
; %bb.1108:
	v_bfe_u32 v4, v2, 23, 8
	s_wait_xcnt 0x0
	v_mov_b32_e32 v3, 0xff
	s_mov_b32 s29, exec_lo
	s_delay_alu instid0(VALU_DEP_2)
	v_cmpx_ne_u32_e32 0xff, v4
	s_cbranch_execz .LBB33_1110
; %bb.1109:
	v_and_b32_e32 v3, 0x400000, v2
	v_and_or_b32 v4, 0x3fffff, v2, v4
	s_delay_alu instid0(VALU_DEP_2) | instskip(NEXT) | instid1(VALU_DEP_2)
	v_cmp_ne_u32_e32 vcc_lo, 0, v3
	v_cmp_ne_u32_e64 s0, 0, v4
	v_lshrrev_b32_e32 v3, 23, v2
	s_and_b32 s0, vcc_lo, s0
	s_delay_alu instid0(SALU_CYCLE_1) | instskip(NEXT) | instid1(VALU_DEP_1)
	v_cndmask_b32_e64 v4, 0, 1, s0
	v_add_nc_u32_e32 v3, v3, v4
.LBB33_1110:
	s_or_b32 exec_lo, exec_lo, s29
	s_mov_b32 s29, -1
	s_mov_b32 s0, 0
	global_store_b8 v[0:1], v3, off
.LBB33_1111:
	s_mov_b32 s30, 0
.LBB33_1112:
	s_delay_alu instid0(SALU_CYCLE_1)
	s_and_b32 vcc_lo, exec_lo, s30
	s_cbranch_vccz .LBB33_1115
; %bb.1113:
	s_cmp_eq_u32 s28, 29
	s_mov_b32 s0, -1
	s_cbranch_scc0 .LBB33_1115
; %bb.1114:
	s_wait_xcnt 0x0
	v_trunc_f32_e32 v3, v2
	s_mov_b32 s29, -1
	s_mov_b32 s0, 0
	s_mov_b32 s30, 0
	s_delay_alu instid0(VALU_DEP_1) | instskip(NEXT) | instid1(VALU_DEP_1)
	v_mul_f32_e32 v4, 0x2f800000, v3
	v_floor_f32_e32 v4, v4
	s_delay_alu instid0(VALU_DEP_1) | instskip(SKIP_1) | instid1(VALU_DEP_2)
	v_fmamk_f32 v3, v4, 0xcf800000, v3
	v_cvt_u32_f32_e32 v5, v4
	v_cvt_u32_f32_e32 v4, v3
	global_store_b64 v[0:1], v[4:5], off
	s_branch .LBB33_1116
.LBB33_1115:
	s_mov_b32 s30, 0
.LBB33_1116:
	s_delay_alu instid0(SALU_CYCLE_1)
	s_and_b32 vcc_lo, exec_lo, s30
	s_cbranch_vccz .LBB33_1132
; %bb.1117:
	s_cmp_lt_i32 s28, 27
	s_mov_b32 s29, -1
	s_cbranch_scc1 .LBB33_1123
; %bb.1118:
	s_wait_xcnt 0x0
	v_cvt_u32_f32_e32 v3, v2
	s_cmp_gt_i32 s28, 27
	s_cbranch_scc0 .LBB33_1120
; %bb.1119:
	s_mov_b32 s29, 0
	global_store_b32 v[0:1], v3, off
.LBB33_1120:
	s_and_not1_b32 vcc_lo, exec_lo, s29
	s_cbranch_vccnz .LBB33_1122
; %bb.1121:
	global_store_b16 v[0:1], v3, off
.LBB33_1122:
	s_mov_b32 s29, 0
.LBB33_1123:
	s_delay_alu instid0(SALU_CYCLE_1)
	s_and_not1_b32 vcc_lo, exec_lo, s29
	s_cbranch_vccnz .LBB33_1131
; %bb.1124:
	s_wait_xcnt 0x0
	v_and_b32_e32 v3, 0x7fffffff, v2
	v_mov_b32_e32 v4, 0x80
	s_mov_b32 s29, exec_lo
	s_delay_alu instid0(VALU_DEP_2)
	v_cmpx_gt_u32_e32 0x43800000, v3
	s_cbranch_execz .LBB33_1130
; %bb.1125:
	v_cmp_lt_u32_e32 vcc_lo, 0x3bffffff, v3
	s_mov_b32 s30, 0
                                        ; implicit-def: $vgpr3
	s_and_saveexec_b32 s31, vcc_lo
	s_delay_alu instid0(SALU_CYCLE_1)
	s_xor_b32 s31, exec_lo, s31
	s_cbranch_execz .LBB33_1182
; %bb.1126:
	v_bfe_u32 v3, v2, 20, 1
	s_mov_b32 s30, exec_lo
	s_delay_alu instid0(VALU_DEP_1) | instskip(NEXT) | instid1(VALU_DEP_1)
	v_add3_u32 v3, v2, v3, 0x487ffff
	v_lshrrev_b32_e32 v3, 20, v3
	s_and_not1_saveexec_b32 s31, s31
	s_cbranch_execnz .LBB33_1183
.LBB33_1127:
	s_or_b32 exec_lo, exec_lo, s31
	v_mov_b32_e32 v4, 0
	s_and_saveexec_b32 s31, s30
.LBB33_1128:
	v_lshrrev_b32_e32 v4, 24, v2
	s_delay_alu instid0(VALU_DEP_1)
	v_and_or_b32 v4, 0x80, v4, v3
.LBB33_1129:
	s_or_b32 exec_lo, exec_lo, s31
.LBB33_1130:
	s_delay_alu instid0(SALU_CYCLE_1)
	s_or_b32 exec_lo, exec_lo, s29
	global_store_b8 v[0:1], v4, off
.LBB33_1131:
	s_mov_b32 s29, -1
.LBB33_1132:
	s_mov_b32 s30, 0
.LBB33_1133:
	s_delay_alu instid0(SALU_CYCLE_1)
	s_and_b32 vcc_lo, exec_lo, s30
	s_cbranch_vccz .LBB33_1174
; %bb.1134:
	s_cmp_gt_i32 s28, 22
	s_mov_b32 s30, -1
	s_cbranch_scc0 .LBB33_1166
; %bb.1135:
	s_cmp_lt_i32 s28, 24
	s_mov_b32 s29, -1
	s_cbranch_scc1 .LBB33_1155
; %bb.1136:
	s_cmp_gt_i32 s28, 24
	s_cbranch_scc0 .LBB33_1144
; %bb.1137:
	s_wait_xcnt 0x0
	v_and_b32_e32 v3, 0x7fffffff, v2
	v_mov_b32_e32 v4, 0x80
	s_mov_b32 s29, exec_lo
	s_delay_alu instid0(VALU_DEP_2)
	v_cmpx_gt_u32_e32 0x47800000, v3
	s_cbranch_execz .LBB33_1143
; %bb.1138:
	v_cmp_lt_u32_e32 vcc_lo, 0x37ffffff, v3
	s_mov_b32 s30, 0
                                        ; implicit-def: $vgpr3
	s_and_saveexec_b32 s31, vcc_lo
	s_delay_alu instid0(SALU_CYCLE_1)
	s_xor_b32 s31, exec_lo, s31
	s_cbranch_execz .LBB33_2204
; %bb.1139:
	v_bfe_u32 v3, v2, 21, 1
	s_mov_b32 s30, exec_lo
	s_delay_alu instid0(VALU_DEP_1) | instskip(NEXT) | instid1(VALU_DEP_1)
	v_add3_u32 v3, v2, v3, 0x88fffff
	v_lshrrev_b32_e32 v3, 21, v3
	s_and_not1_saveexec_b32 s31, s31
	s_cbranch_execnz .LBB33_2205
.LBB33_1140:
	s_or_b32 exec_lo, exec_lo, s31
	v_mov_b32_e32 v4, 0
	s_and_saveexec_b32 s31, s30
.LBB33_1141:
	v_lshrrev_b32_e32 v4, 24, v2
	s_delay_alu instid0(VALU_DEP_1)
	v_and_or_b32 v4, 0x80, v4, v3
.LBB33_1142:
	s_or_b32 exec_lo, exec_lo, s31
.LBB33_1143:
	s_delay_alu instid0(SALU_CYCLE_1)
	s_or_b32 exec_lo, exec_lo, s29
	s_mov_b32 s29, 0
	global_store_b8 v[0:1], v4, off
.LBB33_1144:
	s_and_b32 vcc_lo, exec_lo, s29
	s_cbranch_vccz .LBB33_1154
; %bb.1145:
	s_wait_xcnt 0x0
	v_and_b32_e32 v4, 0x7fffffff, v2
	s_mov_b32 s29, exec_lo
                                        ; implicit-def: $vgpr3
	s_delay_alu instid0(VALU_DEP_1)
	v_cmpx_gt_u32_e32 0x43f00000, v4
	s_xor_b32 s29, exec_lo, s29
	s_cbranch_execz .LBB33_1151
; %bb.1146:
	s_mov_b32 s30, exec_lo
                                        ; implicit-def: $vgpr3
	v_cmpx_lt_u32_e32 0x3c7fffff, v4
	s_xor_b32 s30, exec_lo, s30
; %bb.1147:
	v_bfe_u32 v3, v2, 20, 1
	s_delay_alu instid0(VALU_DEP_1) | instskip(NEXT) | instid1(VALU_DEP_1)
	v_add3_u32 v3, v2, v3, 0x407ffff
	v_and_b32_e32 v4, 0xff00000, v3
	v_lshrrev_b32_e32 v3, 20, v3
	s_delay_alu instid0(VALU_DEP_2) | instskip(NEXT) | instid1(VALU_DEP_2)
	v_cmp_ne_u32_e32 vcc_lo, 0x7f00000, v4
	v_cndmask_b32_e32 v3, 0x7e, v3, vcc_lo
; %bb.1148:
	s_and_not1_saveexec_b32 s30, s30
; %bb.1149:
	v_add_f32_e64 v3, 0x46800000, |v2|
; %bb.1150:
	s_or_b32 exec_lo, exec_lo, s30
                                        ; implicit-def: $vgpr4
.LBB33_1151:
	s_and_not1_saveexec_b32 s29, s29
; %bb.1152:
	v_mov_b32_e32 v3, 0x7f
	v_cmp_lt_u32_e32 vcc_lo, 0x7f800000, v4
	s_delay_alu instid0(VALU_DEP_2)
	v_cndmask_b32_e32 v3, 0x7e, v3, vcc_lo
; %bb.1153:
	s_or_b32 exec_lo, exec_lo, s29
	v_lshrrev_b32_e32 v4, 24, v2
	s_delay_alu instid0(VALU_DEP_1)
	v_and_or_b32 v3, 0x80, v4, v3
	global_store_b8 v[0:1], v3, off
.LBB33_1154:
	s_mov_b32 s29, 0
.LBB33_1155:
	s_delay_alu instid0(SALU_CYCLE_1)
	s_and_not1_b32 vcc_lo, exec_lo, s29
	s_cbranch_vccnz .LBB33_1165
; %bb.1156:
	s_wait_xcnt 0x0
	v_and_b32_e32 v4, 0x7fffffff, v2
	s_mov_b32 s29, exec_lo
                                        ; implicit-def: $vgpr3
	s_delay_alu instid0(VALU_DEP_1)
	v_cmpx_gt_u32_e32 0x47800000, v4
	s_xor_b32 s29, exec_lo, s29
	s_cbranch_execz .LBB33_1162
; %bb.1157:
	s_mov_b32 s30, exec_lo
                                        ; implicit-def: $vgpr3
	v_cmpx_lt_u32_e32 0x387fffff, v4
	s_xor_b32 s30, exec_lo, s30
; %bb.1158:
	v_bfe_u32 v3, v2, 21, 1
	s_delay_alu instid0(VALU_DEP_1) | instskip(NEXT) | instid1(VALU_DEP_1)
	v_add3_u32 v3, v2, v3, 0x80fffff
	v_lshrrev_b32_e32 v3, 21, v3
; %bb.1159:
	s_and_not1_saveexec_b32 s30, s30
; %bb.1160:
	v_add_f32_e64 v3, 0x43000000, |v2|
; %bb.1161:
	s_or_b32 exec_lo, exec_lo, s30
                                        ; implicit-def: $vgpr4
.LBB33_1162:
	s_and_not1_saveexec_b32 s29, s29
; %bb.1163:
	v_mov_b32_e32 v3, 0x7f
	v_cmp_lt_u32_e32 vcc_lo, 0x7f800000, v4
	s_delay_alu instid0(VALU_DEP_2)
	v_cndmask_b32_e32 v3, 0x7c, v3, vcc_lo
; %bb.1164:
	s_or_b32 exec_lo, exec_lo, s29
	v_lshrrev_b32_e32 v4, 24, v2
	s_delay_alu instid0(VALU_DEP_1)
	v_and_or_b32 v3, 0x80, v4, v3
	global_store_b8 v[0:1], v3, off
.LBB33_1165:
	s_mov_b32 s30, 0
	s_mov_b32 s29, -1
.LBB33_1166:
	s_and_not1_b32 vcc_lo, exec_lo, s30
	s_cbranch_vccnz .LBB33_1174
; %bb.1167:
	s_cmp_gt_i32 s28, 14
	s_mov_b32 s30, -1
	s_cbranch_scc0 .LBB33_1171
; %bb.1168:
	s_cmp_eq_u32 s28, 15
	s_mov_b32 s0, -1
	s_cbranch_scc0 .LBB33_1170
; %bb.1169:
	s_wait_xcnt 0x0
	v_bfe_u32 v3, v2, 16, 1
	v_cmp_o_f32_e32 vcc_lo, v2, v2
	s_mov_b32 s29, -1
	s_mov_b32 s0, 0
	s_delay_alu instid0(VALU_DEP_2) | instskip(NEXT) | instid1(VALU_DEP_1)
	v_add3_u32 v3, v2, v3, 0x7fff
	v_lshrrev_b32_e32 v3, 16, v3
	s_delay_alu instid0(VALU_DEP_1)
	v_cndmask_b32_e32 v3, 0x7fc0, v3, vcc_lo
	global_store_b16 v[0:1], v3, off
.LBB33_1170:
	s_mov_b32 s30, 0
.LBB33_1171:
	s_delay_alu instid0(SALU_CYCLE_1)
	s_and_b32 vcc_lo, exec_lo, s30
	s_cbranch_vccz .LBB33_1174
; %bb.1172:
	s_cmp_eq_u32 s28, 11
	s_mov_b32 s0, -1
	s_cbranch_scc0 .LBB33_1174
; %bb.1173:
	v_cmp_neq_f32_e32 vcc_lo, 0, v2
	s_mov_b32 s0, 0
	s_mov_b32 s29, -1
	s_wait_xcnt 0x0
	v_cndmask_b32_e64 v3, 0, 1, vcc_lo
	global_store_b8 v[0:1], v3, off
.LBB33_1174:
.LBB33_1175:
	s_and_not1_b32 vcc_lo, exec_lo, s29
	s_cbranch_vccnz .LBB33_1085
.LBB33_1176:
	v_add_nc_u32_e32 v6, 0x80, v6
	s_mov_b32 s28, -1
	s_branch .LBB33_1087
.LBB33_1177:
	s_mov_b32 s29, -1
.LBB33_1178:
                                        ; implicit-def: $vgpr3
.LBB33_1179:
	s_and_b32 vcc_lo, exec_lo, s33
	s_cbranch_vccz .LBB33_1185
; %bb.1180:
	s_cmp_eq_u32 s28, 44
	s_cbranch_scc0 .LBB33_1184
; %bb.1181:
	s_wait_loadcnt 0x0
	global_load_u8 v2, v[0:1], off
	s_mov_b32 s29, 0
	s_mov_b32 s31, -1
	s_wait_loadcnt 0x0
	v_lshlrev_b32_e32 v3, 23, v2
	v_cmp_ne_u32_e32 vcc_lo, 0xff, v2
	s_delay_alu instid0(VALU_DEP_2) | instskip(SKIP_1) | instid1(VALU_DEP_2)
	v_cndmask_b32_e32 v3, 0x7f800001, v3, vcc_lo
	v_cmp_ne_u32_e32 vcc_lo, 0, v2
	v_cndmask_b32_e32 v3, 0x400000, v3, vcc_lo
	s_branch .LBB33_1185
.LBB33_1182:
	s_and_not1_saveexec_b32 s31, s31
	s_cbranch_execz .LBB33_1127
.LBB33_1183:
	v_add_f32_e64 v3, 0x46000000, |v2|
	s_and_not1_b32 s30, s30, exec_lo
	s_delay_alu instid0(VALU_DEP_1) | instskip(NEXT) | instid1(VALU_DEP_1)
	v_and_b32_e32 v3, 0xff, v3
	v_cmp_ne_u32_e32 vcc_lo, 0, v3
	s_and_b32 s33, vcc_lo, exec_lo
	s_delay_alu instid0(SALU_CYCLE_1)
	s_or_b32 s30, s30, s33
	s_or_b32 exec_lo, exec_lo, s31
	v_mov_b32_e32 v4, 0
	s_and_saveexec_b32 s31, s30
	s_cbranch_execnz .LBB33_1128
	s_branch .LBB33_1129
.LBB33_1184:
	s_mov_b32 s29, -1
                                        ; implicit-def: $vgpr3
.LBB33_1185:
	s_mov_b32 s33, 0
.LBB33_1186:
	s_delay_alu instid0(SALU_CYCLE_1)
	s_and_b32 vcc_lo, exec_lo, s33
	s_cbranch_vccz .LBB33_1190
; %bb.1187:
	s_cmp_eq_u32 s28, 29
	s_cbranch_scc0 .LBB33_1189
; %bb.1188:
	s_wait_loadcnt 0x0
	global_load_b64 v[2:3], v[0:1], off
	s_mov_b32 s29, 0
	s_mov_b32 s31, -1
	s_mov_b32 s33, 0
	s_wait_loadcnt 0x0
	v_clz_i32_u32_e32 v4, v3
	s_delay_alu instid0(VALU_DEP_1) | instskip(NEXT) | instid1(VALU_DEP_1)
	v_min_u32_e32 v4, 32, v4
	v_lshlrev_b64_e32 v[2:3], v4, v[2:3]
	s_delay_alu instid0(VALU_DEP_1) | instskip(NEXT) | instid1(VALU_DEP_1)
	v_min_u32_e32 v2, 1, v2
	v_dual_sub_nc_u32 v3, 32, v4 :: v_dual_bitop2_b32 v2, v3, v2 bitop3:0x54
	s_delay_alu instid0(VALU_DEP_1) | instskip(NEXT) | instid1(VALU_DEP_1)
	v_cvt_f32_u32_e32 v2, v2
	v_ldexp_f32 v3, v2, v3
	s_branch .LBB33_1191
.LBB33_1189:
	s_mov_b32 s29, -1
                                        ; implicit-def: $vgpr3
.LBB33_1190:
	s_mov_b32 s33, 0
.LBB33_1191:
	s_delay_alu instid0(SALU_CYCLE_1)
	s_and_b32 vcc_lo, exec_lo, s33
	s_cbranch_vccz .LBB33_1209
; %bb.1192:
	s_cmp_lt_i32 s28, 27
	s_cbranch_scc1 .LBB33_1195
; %bb.1193:
	s_cmp_gt_i32 s28, 27
	s_cbranch_scc0 .LBB33_1196
; %bb.1194:
	s_wait_loadcnt 0x0
	global_load_b32 v2, v[0:1], off
	s_mov_b32 s31, 0
	s_wait_loadcnt 0x0
	v_cvt_f32_u32_e32 v3, v2
	s_branch .LBB33_1197
.LBB33_1195:
	s_mov_b32 s31, -1
                                        ; implicit-def: $vgpr3
	s_branch .LBB33_1200
.LBB33_1196:
	s_mov_b32 s31, -1
                                        ; implicit-def: $vgpr3
.LBB33_1197:
	s_delay_alu instid0(SALU_CYCLE_1)
	s_and_not1_b32 vcc_lo, exec_lo, s31
	s_cbranch_vccnz .LBB33_1199
; %bb.1198:
	s_wait_loadcnt 0x0
	global_load_u16 v2, v[0:1], off
	s_wait_loadcnt 0x0
	v_cvt_f32_u32_e32 v3, v2
.LBB33_1199:
	s_mov_b32 s31, 0
.LBB33_1200:
	s_delay_alu instid0(SALU_CYCLE_1)
	s_and_not1_b32 vcc_lo, exec_lo, s31
	s_cbranch_vccnz .LBB33_1208
; %bb.1201:
	s_wait_loadcnt 0x0
	global_load_u8 v2, v[0:1], off
	s_mov_b32 s31, 0
	s_mov_b32 s33, exec_lo
	s_wait_loadcnt 0x0
	v_cmpx_lt_i16_e32 0x7f, v2
	s_xor_b32 s33, exec_lo, s33
	s_cbranch_execz .LBB33_1222
; %bb.1202:
	s_mov_b32 s31, -1
	s_mov_b32 s34, exec_lo
	v_cmpx_eq_u16_e32 0x80, v2
; %bb.1203:
	s_xor_b32 s31, exec_lo, -1
; %bb.1204:
	s_or_b32 exec_lo, exec_lo, s34
	s_delay_alu instid0(SALU_CYCLE_1)
	s_and_b32 s31, s31, exec_lo
	s_or_saveexec_b32 s33, s33
	v_mov_b32_e32 v3, 0x7f800001
	s_xor_b32 exec_lo, exec_lo, s33
	s_cbranch_execnz .LBB33_1223
.LBB33_1205:
	s_or_b32 exec_lo, exec_lo, s33
	s_and_saveexec_b32 s33, s31
	s_cbranch_execz .LBB33_1207
.LBB33_1206:
	v_and_b32_e32 v3, 0xffff, v2
	s_delay_alu instid0(VALU_DEP_1) | instskip(SKIP_1) | instid1(VALU_DEP_2)
	v_and_b32_e32 v4, 7, v3
	v_bfe_u32 v8, v3, 3, 4
	v_clz_i32_u32_e32 v5, v4
	s_delay_alu instid0(VALU_DEP_2) | instskip(NEXT) | instid1(VALU_DEP_2)
	v_cmp_eq_u32_e32 vcc_lo, 0, v8
	v_min_u32_e32 v5, 32, v5
	s_delay_alu instid0(VALU_DEP_1) | instskip(NEXT) | instid1(VALU_DEP_1)
	v_subrev_nc_u32_e32 v7, 28, v5
	v_dual_lshlrev_b32 v3, v7, v3 :: v_dual_sub_nc_u32 v5, 29, v5
	s_delay_alu instid0(VALU_DEP_1) | instskip(NEXT) | instid1(VALU_DEP_2)
	v_dual_lshlrev_b32 v2, 24, v2 :: v_dual_bitop2_b32 v3, 7, v3 bitop3:0x40
	v_cndmask_b32_e32 v5, v8, v5, vcc_lo
	s_delay_alu instid0(VALU_DEP_2) | instskip(NEXT) | instid1(VALU_DEP_3)
	v_cndmask_b32_e32 v3, v4, v3, vcc_lo
	v_and_b32_e32 v2, 0x80000000, v2
	s_delay_alu instid0(VALU_DEP_3) | instskip(NEXT) | instid1(VALU_DEP_3)
	v_lshl_add_u32 v4, v5, 23, 0x3b800000
	v_lshlrev_b32_e32 v3, 20, v3
	s_delay_alu instid0(VALU_DEP_1)
	v_or3_b32 v3, v2, v4, v3
.LBB33_1207:
	s_or_b32 exec_lo, exec_lo, s33
.LBB33_1208:
	s_mov_b32 s31, -1
.LBB33_1209:
	s_mov_b32 s33, 0
.LBB33_1210:
	s_delay_alu instid0(SALU_CYCLE_1)
	s_and_b32 vcc_lo, exec_lo, s33
	s_cbranch_vccz .LBB33_1243
; %bb.1211:
	s_cmp_gt_i32 s28, 22
	s_cbranch_scc0 .LBB33_1221
; %bb.1212:
	s_cmp_lt_i32 s28, 24
	s_cbranch_scc1 .LBB33_1224
; %bb.1213:
	s_cmp_gt_i32 s28, 24
	s_cbranch_scc0 .LBB33_1225
; %bb.1214:
	s_wait_loadcnt 0x0
	global_load_u8 v2, v[0:1], off
	s_mov_b32 s31, exec_lo
	s_wait_loadcnt 0x0
	v_cmpx_lt_i16_e32 0x7f, v2
	s_xor_b32 s31, exec_lo, s31
	s_cbranch_execz .LBB33_1237
; %bb.1215:
	s_mov_b32 s30, -1
	s_mov_b32 s33, exec_lo
	v_cmpx_eq_u16_e32 0x80, v2
; %bb.1216:
	s_xor_b32 s30, exec_lo, -1
; %bb.1217:
	s_or_b32 exec_lo, exec_lo, s33
	s_delay_alu instid0(SALU_CYCLE_1)
	s_and_b32 s30, s30, exec_lo
	s_or_saveexec_b32 s31, s31
	v_mov_b32_e32 v3, 0x7f800001
	s_xor_b32 exec_lo, exec_lo, s31
	s_cbranch_execnz .LBB33_1238
.LBB33_1218:
	s_or_b32 exec_lo, exec_lo, s31
	s_and_saveexec_b32 s31, s30
	s_cbranch_execz .LBB33_1220
.LBB33_1219:
	v_and_b32_e32 v3, 0xffff, v2
	s_delay_alu instid0(VALU_DEP_1) | instskip(SKIP_1) | instid1(VALU_DEP_2)
	v_and_b32_e32 v4, 3, v3
	v_bfe_u32 v8, v3, 2, 5
	v_clz_i32_u32_e32 v5, v4
	s_delay_alu instid0(VALU_DEP_2) | instskip(NEXT) | instid1(VALU_DEP_2)
	v_cmp_eq_u32_e32 vcc_lo, 0, v8
	v_min_u32_e32 v5, 32, v5
	s_delay_alu instid0(VALU_DEP_1) | instskip(NEXT) | instid1(VALU_DEP_1)
	v_subrev_nc_u32_e32 v7, 29, v5
	v_dual_lshlrev_b32 v3, v7, v3 :: v_dual_sub_nc_u32 v5, 30, v5
	s_delay_alu instid0(VALU_DEP_1) | instskip(NEXT) | instid1(VALU_DEP_2)
	v_dual_lshlrev_b32 v2, 24, v2 :: v_dual_bitop2_b32 v3, 3, v3 bitop3:0x40
	v_cndmask_b32_e32 v5, v8, v5, vcc_lo
	s_delay_alu instid0(VALU_DEP_2) | instskip(NEXT) | instid1(VALU_DEP_3)
	v_cndmask_b32_e32 v3, v4, v3, vcc_lo
	v_and_b32_e32 v2, 0x80000000, v2
	s_delay_alu instid0(VALU_DEP_3) | instskip(NEXT) | instid1(VALU_DEP_3)
	v_lshl_add_u32 v4, v5, 23, 0x37800000
	v_lshlrev_b32_e32 v3, 21, v3
	s_delay_alu instid0(VALU_DEP_1)
	v_or3_b32 v3, v2, v4, v3
.LBB33_1220:
	s_or_b32 exec_lo, exec_lo, s31
	s_mov_b32 s30, 0
	s_branch .LBB33_1226
.LBB33_1221:
	s_mov_b32 s30, -1
                                        ; implicit-def: $vgpr3
	s_branch .LBB33_1232
.LBB33_1222:
	s_or_saveexec_b32 s33, s33
	v_mov_b32_e32 v3, 0x7f800001
	s_xor_b32 exec_lo, exec_lo, s33
	s_cbranch_execz .LBB33_1205
.LBB33_1223:
	v_cmp_ne_u16_e32 vcc_lo, 0, v2
	v_mov_b32_e32 v3, 0
	s_and_not1_b32 s31, s31, exec_lo
	s_and_b32 s34, vcc_lo, exec_lo
	s_delay_alu instid0(SALU_CYCLE_1)
	s_or_b32 s31, s31, s34
	s_or_b32 exec_lo, exec_lo, s33
	s_and_saveexec_b32 s33, s31
	s_cbranch_execnz .LBB33_1206
	s_branch .LBB33_1207
.LBB33_1224:
	s_mov_b32 s30, -1
                                        ; implicit-def: $vgpr3
	s_branch .LBB33_1229
.LBB33_1225:
	s_mov_b32 s30, -1
                                        ; implicit-def: $vgpr3
.LBB33_1226:
	s_delay_alu instid0(SALU_CYCLE_1)
	s_and_b32 vcc_lo, exec_lo, s30
	s_cbranch_vccz .LBB33_1228
; %bb.1227:
	s_wait_loadcnt 0x0
	global_load_u8 v2, v[0:1], off
	s_wait_loadcnt 0x0
	v_lshlrev_b32_e32 v2, 24, v2
	s_delay_alu instid0(VALU_DEP_1) | instskip(NEXT) | instid1(VALU_DEP_1)
	v_and_b32_e32 v3, 0x7f000000, v2
	v_clz_i32_u32_e32 v4, v3
	v_add_nc_u32_e32 v7, 0x1000000, v3
	v_cmp_ne_u32_e32 vcc_lo, 0, v3
	s_delay_alu instid0(VALU_DEP_3) | instskip(NEXT) | instid1(VALU_DEP_1)
	v_min_u32_e32 v4, 32, v4
	v_sub_nc_u32_e64 v4, v4, 4 clamp
	s_delay_alu instid0(VALU_DEP_1) | instskip(NEXT) | instid1(VALU_DEP_1)
	v_dual_lshlrev_b32 v5, v4, v3 :: v_dual_lshlrev_b32 v4, 23, v4
	v_lshrrev_b32_e32 v5, 4, v5
	s_delay_alu instid0(VALU_DEP_1) | instskip(NEXT) | instid1(VALU_DEP_1)
	v_dual_sub_nc_u32 v4, v5, v4 :: v_dual_ashrrev_i32 v5, 8, v7
	v_add_nc_u32_e32 v4, 0x3c000000, v4
	s_delay_alu instid0(VALU_DEP_1) | instskip(NEXT) | instid1(VALU_DEP_1)
	v_and_or_b32 v4, 0x7f800000, v5, v4
	v_cndmask_b32_e32 v3, 0, v4, vcc_lo
	s_delay_alu instid0(VALU_DEP_1)
	v_and_or_b32 v3, 0x80000000, v2, v3
.LBB33_1228:
	s_mov_b32 s30, 0
.LBB33_1229:
	s_delay_alu instid0(SALU_CYCLE_1)
	s_and_not1_b32 vcc_lo, exec_lo, s30
	s_cbranch_vccnz .LBB33_1231
; %bb.1230:
	s_wait_loadcnt 0x0
	global_load_u8 v2, v[0:1], off
	s_wait_loadcnt 0x0
	v_lshlrev_b32_e32 v3, 25, v2
	v_lshlrev_b16 v2, 8, v2
	s_delay_alu instid0(VALU_DEP_1) | instskip(SKIP_1) | instid1(VALU_DEP_2)
	v_and_or_b32 v5, 0x7f00, v2, 0.5
	v_bfe_i32 v2, v2, 0, 16
	v_dual_add_f32 v5, -0.5, v5 :: v_dual_lshrrev_b32 v4, 4, v3
	v_cmp_gt_u32_e32 vcc_lo, 0x8000000, v3
	s_delay_alu instid0(VALU_DEP_2) | instskip(NEXT) | instid1(VALU_DEP_1)
	v_or_b32_e32 v4, 0x70000000, v4
	v_mul_f32_e32 v4, 0x7800000, v4
	s_delay_alu instid0(VALU_DEP_1) | instskip(NEXT) | instid1(VALU_DEP_1)
	v_cndmask_b32_e32 v3, v4, v5, vcc_lo
	v_and_or_b32 v3, 0x80000000, v2, v3
.LBB33_1231:
	s_mov_b32 s30, 0
	s_mov_b32 s31, -1
.LBB33_1232:
	s_and_not1_b32 vcc_lo, exec_lo, s30
	s_mov_b32 s30, 0
	s_cbranch_vccnz .LBB33_1243
; %bb.1233:
	s_cmp_gt_i32 s28, 14
	s_cbranch_scc0 .LBB33_1236
; %bb.1234:
	s_cmp_eq_u32 s28, 15
	s_cbranch_scc0 .LBB33_1239
; %bb.1235:
	s_wait_loadcnt 0x0
	global_load_u16 v2, v[0:1], off
	s_mov_b32 s29, 0
	s_mov_b32 s31, -1
	s_wait_loadcnt 0x0
	v_lshlrev_b32_e32 v3, 16, v2
	s_branch .LBB33_1241
.LBB33_1236:
	s_mov_b32 s30, -1
	s_branch .LBB33_1240
.LBB33_1237:
	s_or_saveexec_b32 s31, s31
	v_mov_b32_e32 v3, 0x7f800001
	s_xor_b32 exec_lo, exec_lo, s31
	s_cbranch_execz .LBB33_1218
.LBB33_1238:
	v_cmp_ne_u16_e32 vcc_lo, 0, v2
	v_mov_b32_e32 v3, 0
	s_and_not1_b32 s30, s30, exec_lo
	s_and_b32 s33, vcc_lo, exec_lo
	s_delay_alu instid0(SALU_CYCLE_1)
	s_or_b32 s30, s30, s33
	s_or_b32 exec_lo, exec_lo, s31
	s_and_saveexec_b32 s31, s30
	s_cbranch_execnz .LBB33_1219
	s_branch .LBB33_1220
.LBB33_1239:
	s_mov_b32 s29, -1
.LBB33_1240:
                                        ; implicit-def: $vgpr3
.LBB33_1241:
	s_and_b32 vcc_lo, exec_lo, s30
	s_mov_b32 s30, 0
	s_cbranch_vccz .LBB33_1243
; %bb.1242:
	s_cmp_lg_u32 s28, 11
	s_mov_b32 s30, -1
	s_cselect_b32 s28, -1, 0
	s_and_not1_b32 s29, s29, exec_lo
	s_and_b32 s28, s28, exec_lo
	s_delay_alu instid0(SALU_CYCLE_1)
	s_or_b32 s29, s29, s28
.LBB33_1243:
	s_mov_b32 s28, 0
.LBB33_1244:
	s_and_not1_b32 s33, s25, exec_lo
	s_and_b32 s29, s29, exec_lo
	s_and_b32 s34, s31, exec_lo
	;; [unrolled: 1-line block ×4, first 2 shown]
	s_or_b32 s33, s33, s29
.LBB33_1245:
	s_wait_xcnt 0x0
	s_or_b32 exec_lo, exec_lo, s16
	s_delay_alu instid0(SALU_CYCLE_1)
	s_and_not1_b32 s16, s25, exec_lo
	s_and_b32 s25, s33, exec_lo
	s_and_b32 s30, s34, exec_lo
	;; [unrolled: 1-line block ×4, first 2 shown]
	s_or_b32 s25, s16, s25
.LBB33_1246:
	s_or_b32 exec_lo, exec_lo, s24
	s_delay_alu instid0(SALU_CYCLE_1)
	s_and_not1_b32 s16, s21, exec_lo
	s_and_b32 s21, s27, exec_lo
	s_and_not1_b32 s22, s22, exec_lo
	s_and_b32 s24, s26, exec_lo
	s_or_b32 s21, s16, s21
	s_and_not1_b32 s16, s20, exec_lo
	s_and_b32 s20, s25, exec_lo
	s_or_b32 s22, s22, s24
	s_and_b32 s27, s30, exec_lo
	s_and_b32 s26, s29, exec_lo
	;; [unrolled: 1-line block ×3, first 2 shown]
	s_or_b32 s20, s16, s20
.LBB33_1247:
	s_or_b32 exec_lo, exec_lo, s23
	s_delay_alu instid0(SALU_CYCLE_1)
	s_and_not1_b32 s15, s15, exec_lo
	s_and_b32 s16, s21, exec_lo
	s_and_not1_b32 s17, s17, exec_lo
	s_and_b32 s21, s22, exec_lo
	s_or_b32 s15, s15, s16
	s_and_not1_b32 s16, s18, exec_lo
	s_and_b32 s18, s20, exec_lo
	s_or_b32 s17, s17, s21
	s_and_b32 s21, s27, exec_lo
	s_and_b32 s22, s26, exec_lo
	;; [unrolled: 1-line block ×3, first 2 shown]
	s_or_b32 s18, s16, s18
	s_or_b32 exec_lo, exec_lo, s19
	s_mov_b32 s16, 0
	s_and_saveexec_b32 s19, s18
	s_cbranch_execz .LBB33_391
.LBB33_1248:
	s_mov_b32 s16, exec_lo
	s_and_not1_b32 s20, s20, exec_lo
	s_trap 2
	s_or_b32 exec_lo, exec_lo, s19
	s_and_saveexec_b32 s18, s20
	s_delay_alu instid0(SALU_CYCLE_1)
	s_xor_b32 s18, exec_lo, s18
	s_cbranch_execnz .LBB33_392
.LBB33_1249:
	s_or_b32 exec_lo, exec_lo, s18
	s_and_saveexec_b32 s18, s22
	s_cbranch_execz .LBB33_1295
.LBB33_1250:
	s_sext_i32_i16 s19, s0
	s_delay_alu instid0(SALU_CYCLE_1)
	s_cmp_lt_i32 s19, 5
	s_cbranch_scc1 .LBB33_1255
; %bb.1251:
	s_cmp_lt_i32 s19, 8
	s_cbranch_scc1 .LBB33_1256
; %bb.1252:
	;; [unrolled: 3-line block ×3, first 2 shown]
	s_cmp_gt_i32 s19, 9
	s_cbranch_scc0 .LBB33_1258
; %bb.1254:
	s_wait_loadcnt 0x0
	global_load_b64 v[2:3], v[0:1], off
	s_mov_b32 s19, 0
	s_wait_loadcnt 0x0
	v_cvt_f32_f64_e32 v3, v[2:3]
	s_branch .LBB33_1259
.LBB33_1255:
                                        ; implicit-def: $vgpr3
	s_branch .LBB33_1276
.LBB33_1256:
                                        ; implicit-def: $vgpr3
	s_branch .LBB33_1265
.LBB33_1257:
	s_mov_b32 s19, -1
                                        ; implicit-def: $vgpr3
	s_branch .LBB33_1262
.LBB33_1258:
	s_mov_b32 s19, -1
                                        ; implicit-def: $vgpr3
.LBB33_1259:
	s_delay_alu instid0(SALU_CYCLE_1)
	s_and_not1_b32 vcc_lo, exec_lo, s19
	s_cbranch_vccnz .LBB33_1261
; %bb.1260:
	s_wait_loadcnt 0x0
	global_load_b32 v3, v[0:1], off
.LBB33_1261:
	s_mov_b32 s19, 0
.LBB33_1262:
	s_delay_alu instid0(SALU_CYCLE_1)
	s_and_not1_b32 vcc_lo, exec_lo, s19
	s_cbranch_vccnz .LBB33_1264
; %bb.1263:
	s_wait_loadcnt 0x0
	global_load_b32 v2, v[0:1], off
	s_wait_loadcnt 0x0
	v_cvt_f32_f16_e32 v3, v2
.LBB33_1264:
	s_cbranch_execnz .LBB33_1275
.LBB33_1265:
	s_sext_i32_i16 s19, s0
	s_delay_alu instid0(SALU_CYCLE_1)
	s_cmp_lt_i32 s19, 6
	s_cbranch_scc1 .LBB33_1268
; %bb.1266:
	s_cmp_gt_i32 s19, 6
	s_cbranch_scc0 .LBB33_1269
; %bb.1267:
	s_wait_loadcnt 0x0
	global_load_b64 v[2:3], v[0:1], off
	s_mov_b32 s19, 0
	s_wait_loadcnt 0x0
	v_cvt_f32_f64_e32 v3, v[2:3]
	s_branch .LBB33_1270
.LBB33_1268:
	s_mov_b32 s19, -1
                                        ; implicit-def: $vgpr3
	s_branch .LBB33_1273
.LBB33_1269:
	s_mov_b32 s19, -1
                                        ; implicit-def: $vgpr3
.LBB33_1270:
	s_delay_alu instid0(SALU_CYCLE_1)
	s_and_not1_b32 vcc_lo, exec_lo, s19
	s_cbranch_vccnz .LBB33_1272
; %bb.1271:
	s_wait_loadcnt 0x0
	global_load_b32 v3, v[0:1], off
.LBB33_1272:
	s_mov_b32 s19, 0
.LBB33_1273:
	s_delay_alu instid0(SALU_CYCLE_1)
	s_and_not1_b32 vcc_lo, exec_lo, s19
	s_cbranch_vccnz .LBB33_1275
; %bb.1274:
	s_wait_loadcnt 0x0
	global_load_u16 v2, v[0:1], off
	s_wait_loadcnt 0x0
	v_cvt_f32_f16_e32 v3, v2
.LBB33_1275:
	s_cbranch_execnz .LBB33_1294
.LBB33_1276:
	s_sext_i32_i16 s19, s0
	s_delay_alu instid0(SALU_CYCLE_1)
	s_cmp_lt_i32 s19, 2
	s_cbranch_scc1 .LBB33_1280
; %bb.1277:
	s_cmp_lt_i32 s19, 3
	s_cbranch_scc1 .LBB33_1281
; %bb.1278:
	s_cmp_gt_i32 s19, 3
	s_cbranch_scc0 .LBB33_1282
; %bb.1279:
	s_wait_loadcnt 0x0
	global_load_b64 v[2:3], v[0:1], off
	s_mov_b32 s19, 0
	s_wait_loadcnt 0x0
	v_xor_b32_e32 v4, v2, v3
	v_cls_i32_e32 v5, v3
	s_delay_alu instid0(VALU_DEP_2) | instskip(NEXT) | instid1(VALU_DEP_1)
	v_ashrrev_i32_e32 v4, 31, v4
	v_add_nc_u32_e32 v4, 32, v4
	s_delay_alu instid0(VALU_DEP_1) | instskip(NEXT) | instid1(VALU_DEP_1)
	v_add_min_u32_e64 v4, v5, -1, v4
	v_lshlrev_b64_e32 v[2:3], v4, v[2:3]
	s_delay_alu instid0(VALU_DEP_1) | instskip(NEXT) | instid1(VALU_DEP_1)
	v_min_u32_e32 v2, 1, v2
	v_dual_sub_nc_u32 v3, 32, v4 :: v_dual_bitop2_b32 v2, v3, v2 bitop3:0x54
	s_delay_alu instid0(VALU_DEP_1) | instskip(NEXT) | instid1(VALU_DEP_1)
	v_cvt_f32_i32_e32 v2, v2
	v_ldexp_f32 v3, v2, v3
	s_branch .LBB33_1283
.LBB33_1280:
                                        ; implicit-def: $vgpr3
	s_branch .LBB33_1289
.LBB33_1281:
	s_mov_b32 s19, -1
                                        ; implicit-def: $vgpr3
	s_branch .LBB33_1286
.LBB33_1282:
	s_mov_b32 s19, -1
                                        ; implicit-def: $vgpr3
.LBB33_1283:
	s_delay_alu instid0(SALU_CYCLE_1)
	s_and_not1_b32 vcc_lo, exec_lo, s19
	s_cbranch_vccnz .LBB33_1285
; %bb.1284:
	s_wait_loadcnt 0x0
	global_load_b32 v2, v[0:1], off
	s_wait_loadcnt 0x0
	v_cvt_f32_i32_e32 v3, v2
.LBB33_1285:
	s_mov_b32 s19, 0
.LBB33_1286:
	s_delay_alu instid0(SALU_CYCLE_1)
	s_and_not1_b32 vcc_lo, exec_lo, s19
	s_cbranch_vccnz .LBB33_1288
; %bb.1287:
	s_wait_loadcnt 0x0
	global_load_i16 v2, v[0:1], off
	s_wait_loadcnt 0x0
	v_cvt_f32_i32_e32 v3, v2
.LBB33_1288:
	s_cbranch_execnz .LBB33_1294
.LBB33_1289:
	s_sext_i32_i16 s0, s0
	s_delay_alu instid0(SALU_CYCLE_1)
	s_cmp_gt_i32 s0, 0
	s_mov_b32 s0, 0
	s_cbranch_scc0 .LBB33_1291
; %bb.1290:
	s_wait_loadcnt 0x0
	global_load_i8 v2, v[0:1], off
	s_wait_loadcnt 0x0
	v_cvt_f32_i32_e32 v3, v2
	s_branch .LBB33_1292
.LBB33_1291:
	s_mov_b32 s0, -1
                                        ; implicit-def: $vgpr3
.LBB33_1292:
	s_delay_alu instid0(SALU_CYCLE_1)
	s_and_not1_b32 vcc_lo, exec_lo, s0
	s_cbranch_vccnz .LBB33_1294
; %bb.1293:
	global_load_u8 v0, v[0:1], off
	s_wait_loadcnt 0x0
	v_cvt_f32_ubyte0_e32 v3, v0
.LBB33_1294:
	s_or_b32 s21, s21, exec_lo
.LBB33_1295:
	s_wait_xcnt 0x0
	s_or_b32 exec_lo, exec_lo, s18
	s_mov_b32 s20, 0
	s_mov_b32 s22, 0
	;; [unrolled: 1-line block ×3, first 2 shown]
                                        ; implicit-def: $sgpr0
                                        ; implicit-def: $vgpr0_vgpr1
                                        ; implicit-def: $vgpr4
	s_and_saveexec_b32 s18, s21
	s_cbranch_execz .LBB33_1303
; %bb.1296:
	v_mul_lo_u32 v0, v6, s10
	s_and_b32 s0, s1, 0xff
	s_delay_alu instid0(SALU_CYCLE_1) | instskip(NEXT) | instid1(VALU_DEP_1)
	s_cmp_lt_i32 s0, 11
	v_ashrrev_i32_e32 v1, 31, v0
	s_delay_alu instid0(VALU_DEP_1)
	v_add_nc_u64_e32 v[0:1], s[2:3], v[0:1]
	s_cbranch_scc1 .LBB33_1306
; %bb.1297:
	s_and_b32 s19, 0xffff, s0
	s_mov_b32 s21, 0
	s_cmp_gt_i32 s19, 25
	s_cbranch_scc0 .LBB33_1307
; %bb.1298:
	s_cmp_gt_i32 s19, 28
	s_cbranch_scc0 .LBB33_1308
; %bb.1299:
	;; [unrolled: 3-line block ×4, first 2 shown]
	s_cmp_eq_u32 s19, 46
	s_mov_b32 s23, 0
	s_cbranch_scc0 .LBB33_1311
; %bb.1302:
	s_wait_loadcnt 0x0
	global_load_b32 v2, v[0:1], off
	s_mov_b32 s22, -1
	s_wait_loadcnt 0x0
	v_lshlrev_b32_e32 v4, 16, v2
	s_branch .LBB33_1313
.LBB33_1303:
	s_or_b32 exec_lo, exec_lo, s18
	s_and_saveexec_b32 s18, s17
	s_cbranch_execnz .LBB33_1376
.LBB33_1304:
	s_or_b32 exec_lo, exec_lo, s18
	s_and_saveexec_b32 s17, s20
	s_delay_alu instid0(SALU_CYCLE_1)
	s_xor_b32 s17, exec_lo, s17
	s_cbranch_execz .LBB33_1377
.LBB33_1305:
	s_wait_loadcnt 0x0
	global_load_u8 v2, v[0:1], off
	s_or_b32 s19, s19, exec_lo
	s_wait_loadcnt 0x0
	v_cmp_ne_u16_e32 vcc_lo, 0, v2
	v_cndmask_b32_e64 v4, 0, 1.0, vcc_lo
	s_wait_xcnt 0x0
	s_or_b32 exec_lo, exec_lo, s17
	s_and_saveexec_b32 s17, s22
	s_cbranch_execz .LBB33_1423
	s_branch .LBB33_1378
.LBB33_1306:
	s_mov_b32 s23, -1
	s_mov_b32 s21, 0
	s_mov_b32 s20, s17
                                        ; implicit-def: $vgpr4
	s_branch .LBB33_1375
.LBB33_1307:
	s_mov_b32 s20, s17
                                        ; implicit-def: $vgpr4
	s_cbranch_execnz .LBB33_1342
	s_branch .LBB33_1374
.LBB33_1308:
	s_mov_b32 s23, -1
	s_mov_b32 s20, s17
                                        ; implicit-def: $vgpr4
	s_branch .LBB33_1323
.LBB33_1309:
	s_mov_b32 s23, -1
	s_mov_b32 s20, s17
                                        ; implicit-def: $vgpr4
	s_branch .LBB33_1318
.LBB33_1310:
	s_mov_b32 s23, -1
	s_mov_b32 s20, s17
	s_branch .LBB33_1312
.LBB33_1311:
	s_mov_b32 s20, -1
.LBB33_1312:
                                        ; implicit-def: $vgpr4
.LBB33_1313:
	s_and_b32 vcc_lo, exec_lo, s23
	s_cbranch_vccz .LBB33_1317
; %bb.1314:
	s_cmp_eq_u32 s19, 44
	s_cbranch_scc0 .LBB33_1316
; %bb.1315:
	s_wait_loadcnt 0x0
	global_load_u8 v2, v[0:1], off
	s_mov_b32 s20, 0
	s_mov_b32 s22, -1
	s_wait_loadcnt 0x0
	v_lshlrev_b32_e32 v4, 23, v2
	v_cmp_ne_u32_e32 vcc_lo, 0xff, v2
	s_delay_alu instid0(VALU_DEP_2) | instskip(SKIP_1) | instid1(VALU_DEP_2)
	v_cndmask_b32_e32 v4, 0x7f800001, v4, vcc_lo
	v_cmp_ne_u32_e32 vcc_lo, 0, v2
	v_cndmask_b32_e32 v4, 0x400000, v4, vcc_lo
	s_branch .LBB33_1317
.LBB33_1316:
	s_mov_b32 s20, -1
                                        ; implicit-def: $vgpr4
.LBB33_1317:
	s_mov_b32 s23, 0
.LBB33_1318:
	s_delay_alu instid0(SALU_CYCLE_1)
	s_and_b32 vcc_lo, exec_lo, s23
	s_cbranch_vccz .LBB33_1322
; %bb.1319:
	s_cmp_eq_u32 s19, 29
	s_cbranch_scc0 .LBB33_1321
; %bb.1320:
	global_load_b64 v[4:5], v[0:1], off
	s_mov_b32 s20, 0
	s_mov_b32 s22, -1
	s_mov_b32 s23, 0
	s_wait_loadcnt 0x0
	v_clz_i32_u32_e32 v2, v5
	s_delay_alu instid0(VALU_DEP_1) | instskip(NEXT) | instid1(VALU_DEP_1)
	v_min_u32_e32 v2, 32, v2
	v_lshlrev_b64_e32 v[4:5], v2, v[4:5]
	v_sub_nc_u32_e32 v2, 32, v2
	s_delay_alu instid0(VALU_DEP_2) | instskip(NEXT) | instid1(VALU_DEP_1)
	v_min_u32_e32 v4, 1, v4
	v_or_b32_e32 v4, v5, v4
	s_delay_alu instid0(VALU_DEP_1) | instskip(NEXT) | instid1(VALU_DEP_1)
	v_cvt_f32_u32_e32 v4, v4
	v_ldexp_f32 v4, v4, v2
	s_branch .LBB33_1323
.LBB33_1321:
	s_mov_b32 s20, -1
                                        ; implicit-def: $vgpr4
.LBB33_1322:
	s_mov_b32 s23, 0
.LBB33_1323:
	s_delay_alu instid0(SALU_CYCLE_1)
	s_and_b32 vcc_lo, exec_lo, s23
	s_cbranch_vccz .LBB33_1341
; %bb.1324:
	s_cmp_lt_i32 s19, 27
	s_cbranch_scc1 .LBB33_1327
; %bb.1325:
	s_cmp_gt_i32 s19, 27
	s_cbranch_scc0 .LBB33_1328
; %bb.1326:
	s_wait_loadcnt 0x0
	global_load_b32 v2, v[0:1], off
	s_mov_b32 s22, 0
	s_wait_loadcnt 0x0
	v_cvt_f32_u32_e32 v4, v2
	s_branch .LBB33_1329
.LBB33_1327:
	s_mov_b32 s22, -1
                                        ; implicit-def: $vgpr4
	s_branch .LBB33_1332
.LBB33_1328:
	s_mov_b32 s22, -1
                                        ; implicit-def: $vgpr4
.LBB33_1329:
	s_delay_alu instid0(SALU_CYCLE_1)
	s_and_not1_b32 vcc_lo, exec_lo, s22
	s_cbranch_vccnz .LBB33_1331
; %bb.1330:
	s_wait_loadcnt 0x0
	global_load_u16 v2, v[0:1], off
	s_wait_loadcnt 0x0
	v_cvt_f32_u32_e32 v4, v2
.LBB33_1331:
	s_mov_b32 s22, 0
.LBB33_1332:
	s_delay_alu instid0(SALU_CYCLE_1)
	s_and_not1_b32 vcc_lo, exec_lo, s22
	s_cbranch_vccnz .LBB33_1340
; %bb.1333:
	s_wait_loadcnt 0x0
	global_load_u8 v2, v[0:1], off
	s_mov_b32 s22, 0
	s_mov_b32 s23, exec_lo
	s_wait_loadcnt 0x0
	v_cmpx_lt_i16_e32 0x7f, v2
	s_xor_b32 s23, exec_lo, s23
	s_cbranch_execz .LBB33_1353
; %bb.1334:
	s_mov_b32 s22, -1
	s_mov_b32 s24, exec_lo
	v_cmpx_eq_u16_e32 0x80, v2
; %bb.1335:
	s_xor_b32 s22, exec_lo, -1
; %bb.1336:
	s_or_b32 exec_lo, exec_lo, s24
	s_delay_alu instid0(SALU_CYCLE_1)
	s_and_b32 s22, s22, exec_lo
	s_or_saveexec_b32 s23, s23
	v_mov_b32_e32 v4, 0x7f800001
	s_xor_b32 exec_lo, exec_lo, s23
	s_cbranch_execnz .LBB33_1354
.LBB33_1337:
	s_or_b32 exec_lo, exec_lo, s23
	s_and_saveexec_b32 s23, s22
	s_cbranch_execz .LBB33_1339
.LBB33_1338:
	v_and_b32_e32 v4, 0xffff, v2
	s_delay_alu instid0(VALU_DEP_1) | instskip(SKIP_1) | instid1(VALU_DEP_2)
	v_and_b32_e32 v5, 7, v4
	v_bfe_u32 v9, v4, 3, 4
	v_clz_i32_u32_e32 v7, v5
	s_delay_alu instid0(VALU_DEP_2) | instskip(NEXT) | instid1(VALU_DEP_2)
	v_cmp_eq_u32_e32 vcc_lo, 0, v9
	v_min_u32_e32 v7, 32, v7
	s_delay_alu instid0(VALU_DEP_1) | instskip(NEXT) | instid1(VALU_DEP_1)
	v_subrev_nc_u32_e32 v8, 28, v7
	v_dual_lshlrev_b32 v4, v8, v4 :: v_dual_sub_nc_u32 v7, 29, v7
	s_delay_alu instid0(VALU_DEP_1) | instskip(NEXT) | instid1(VALU_DEP_2)
	v_dual_lshlrev_b32 v2, 24, v2 :: v_dual_bitop2_b32 v4, 7, v4 bitop3:0x40
	v_cndmask_b32_e32 v7, v9, v7, vcc_lo
	s_delay_alu instid0(VALU_DEP_2) | instskip(NEXT) | instid1(VALU_DEP_3)
	v_cndmask_b32_e32 v4, v5, v4, vcc_lo
	v_and_b32_e32 v2, 0x80000000, v2
	s_delay_alu instid0(VALU_DEP_3) | instskip(NEXT) | instid1(VALU_DEP_3)
	v_lshl_add_u32 v5, v7, 23, 0x3b800000
	v_lshlrev_b32_e32 v4, 20, v4
	s_delay_alu instid0(VALU_DEP_1)
	v_or3_b32 v4, v2, v5, v4
.LBB33_1339:
	s_or_b32 exec_lo, exec_lo, s23
.LBB33_1340:
	s_mov_b32 s22, -1
.LBB33_1341:
	s_branch .LBB33_1374
.LBB33_1342:
	s_cmp_gt_i32 s19, 22
	s_cbranch_scc0 .LBB33_1352
; %bb.1343:
	s_cmp_lt_i32 s19, 24
	s_cbranch_scc1 .LBB33_1355
; %bb.1344:
	s_cmp_gt_i32 s19, 24
	s_cbranch_scc0 .LBB33_1356
; %bb.1345:
	s_wait_loadcnt 0x0
	global_load_u8 v2, v[0:1], off
	s_mov_b32 s22, exec_lo
	s_wait_loadcnt 0x0
	v_cmpx_lt_i16_e32 0x7f, v2
	s_xor_b32 s22, exec_lo, s22
	s_cbranch_execz .LBB33_1368
; %bb.1346:
	s_mov_b32 s21, -1
	s_mov_b32 s23, exec_lo
	v_cmpx_eq_u16_e32 0x80, v2
; %bb.1347:
	s_xor_b32 s21, exec_lo, -1
; %bb.1348:
	s_or_b32 exec_lo, exec_lo, s23
	s_delay_alu instid0(SALU_CYCLE_1)
	s_and_b32 s21, s21, exec_lo
	s_or_saveexec_b32 s22, s22
	v_mov_b32_e32 v4, 0x7f800001
	s_xor_b32 exec_lo, exec_lo, s22
	s_cbranch_execnz .LBB33_1369
.LBB33_1349:
	s_or_b32 exec_lo, exec_lo, s22
	s_and_saveexec_b32 s22, s21
	s_cbranch_execz .LBB33_1351
.LBB33_1350:
	v_and_b32_e32 v4, 0xffff, v2
	s_delay_alu instid0(VALU_DEP_1) | instskip(SKIP_1) | instid1(VALU_DEP_2)
	v_and_b32_e32 v5, 3, v4
	v_bfe_u32 v9, v4, 2, 5
	v_clz_i32_u32_e32 v7, v5
	s_delay_alu instid0(VALU_DEP_2) | instskip(NEXT) | instid1(VALU_DEP_2)
	v_cmp_eq_u32_e32 vcc_lo, 0, v9
	v_min_u32_e32 v7, 32, v7
	s_delay_alu instid0(VALU_DEP_1) | instskip(NEXT) | instid1(VALU_DEP_1)
	v_subrev_nc_u32_e32 v8, 29, v7
	v_dual_lshlrev_b32 v4, v8, v4 :: v_dual_sub_nc_u32 v7, 30, v7
	s_delay_alu instid0(VALU_DEP_1) | instskip(NEXT) | instid1(VALU_DEP_2)
	v_dual_lshlrev_b32 v2, 24, v2 :: v_dual_bitop2_b32 v4, 3, v4 bitop3:0x40
	v_cndmask_b32_e32 v7, v9, v7, vcc_lo
	s_delay_alu instid0(VALU_DEP_2) | instskip(NEXT) | instid1(VALU_DEP_3)
	v_cndmask_b32_e32 v4, v5, v4, vcc_lo
	v_and_b32_e32 v2, 0x80000000, v2
	s_delay_alu instid0(VALU_DEP_3) | instskip(NEXT) | instid1(VALU_DEP_3)
	v_lshl_add_u32 v5, v7, 23, 0x37800000
	v_lshlrev_b32_e32 v4, 21, v4
	s_delay_alu instid0(VALU_DEP_1)
	v_or3_b32 v4, v2, v5, v4
.LBB33_1351:
	s_or_b32 exec_lo, exec_lo, s22
	s_mov_b32 s21, 0
	s_branch .LBB33_1357
.LBB33_1352:
	s_mov_b32 s21, -1
                                        ; implicit-def: $vgpr4
	s_branch .LBB33_1363
.LBB33_1353:
	s_or_saveexec_b32 s23, s23
	v_mov_b32_e32 v4, 0x7f800001
	s_xor_b32 exec_lo, exec_lo, s23
	s_cbranch_execz .LBB33_1337
.LBB33_1354:
	v_cmp_ne_u16_e32 vcc_lo, 0, v2
	v_mov_b32_e32 v4, 0
	s_and_not1_b32 s22, s22, exec_lo
	s_and_b32 s24, vcc_lo, exec_lo
	s_delay_alu instid0(SALU_CYCLE_1)
	s_or_b32 s22, s22, s24
	s_or_b32 exec_lo, exec_lo, s23
	s_and_saveexec_b32 s23, s22
	s_cbranch_execnz .LBB33_1338
	s_branch .LBB33_1339
.LBB33_1355:
	s_mov_b32 s21, -1
                                        ; implicit-def: $vgpr4
	s_branch .LBB33_1360
.LBB33_1356:
	s_mov_b32 s21, -1
                                        ; implicit-def: $vgpr4
.LBB33_1357:
	s_delay_alu instid0(SALU_CYCLE_1)
	s_and_b32 vcc_lo, exec_lo, s21
	s_cbranch_vccz .LBB33_1359
; %bb.1358:
	s_wait_loadcnt 0x0
	global_load_u8 v2, v[0:1], off
	s_wait_loadcnt 0x0
	v_lshlrev_b32_e32 v2, 24, v2
	s_delay_alu instid0(VALU_DEP_1) | instskip(NEXT) | instid1(VALU_DEP_1)
	v_and_b32_e32 v4, 0x7f000000, v2
	v_clz_i32_u32_e32 v5, v4
	v_add_nc_u32_e32 v8, 0x1000000, v4
	v_cmp_ne_u32_e32 vcc_lo, 0, v4
	s_delay_alu instid0(VALU_DEP_3) | instskip(NEXT) | instid1(VALU_DEP_1)
	v_min_u32_e32 v5, 32, v5
	v_sub_nc_u32_e64 v5, v5, 4 clamp
	s_delay_alu instid0(VALU_DEP_1) | instskip(NEXT) | instid1(VALU_DEP_1)
	v_dual_lshlrev_b32 v7, v5, v4 :: v_dual_lshlrev_b32 v5, 23, v5
	v_lshrrev_b32_e32 v7, 4, v7
	s_delay_alu instid0(VALU_DEP_1) | instskip(NEXT) | instid1(VALU_DEP_1)
	v_dual_sub_nc_u32 v5, v7, v5 :: v_dual_ashrrev_i32 v7, 8, v8
	v_add_nc_u32_e32 v5, 0x3c000000, v5
	s_delay_alu instid0(VALU_DEP_1) | instskip(NEXT) | instid1(VALU_DEP_1)
	v_and_or_b32 v5, 0x7f800000, v7, v5
	v_cndmask_b32_e32 v4, 0, v5, vcc_lo
	s_delay_alu instid0(VALU_DEP_1)
	v_and_or_b32 v4, 0x80000000, v2, v4
.LBB33_1359:
	s_mov_b32 s21, 0
.LBB33_1360:
	s_delay_alu instid0(SALU_CYCLE_1)
	s_and_not1_b32 vcc_lo, exec_lo, s21
	s_cbranch_vccnz .LBB33_1362
; %bb.1361:
	s_wait_loadcnt 0x0
	global_load_u8 v2, v[0:1], off
	s_wait_loadcnt 0x0
	v_lshlrev_b32_e32 v4, 25, v2
	v_lshlrev_b16 v2, 8, v2
	s_delay_alu instid0(VALU_DEP_1) | instskip(SKIP_1) | instid1(VALU_DEP_2)
	v_and_or_b32 v7, 0x7f00, v2, 0.5
	v_bfe_i32 v2, v2, 0, 16
	v_dual_add_f32 v7, -0.5, v7 :: v_dual_lshrrev_b32 v5, 4, v4
	v_cmp_gt_u32_e32 vcc_lo, 0x8000000, v4
	s_delay_alu instid0(VALU_DEP_2) | instskip(NEXT) | instid1(VALU_DEP_1)
	v_or_b32_e32 v5, 0x70000000, v5
	v_mul_f32_e32 v5, 0x7800000, v5
	s_delay_alu instid0(VALU_DEP_1) | instskip(NEXT) | instid1(VALU_DEP_1)
	v_cndmask_b32_e32 v4, v5, v7, vcc_lo
	v_and_or_b32 v4, 0x80000000, v2, v4
.LBB33_1362:
	s_mov_b32 s21, 0
	s_mov_b32 s22, -1
.LBB33_1363:
	s_and_not1_b32 vcc_lo, exec_lo, s21
	s_mov_b32 s21, 0
	s_cbranch_vccnz .LBB33_1374
; %bb.1364:
	s_cmp_gt_i32 s19, 14
	s_cbranch_scc0 .LBB33_1367
; %bb.1365:
	s_cmp_eq_u32 s19, 15
	s_cbranch_scc0 .LBB33_1370
; %bb.1366:
	s_wait_loadcnt 0x0
	global_load_u16 v2, v[0:1], off
	s_mov_b32 s20, 0
	s_mov_b32 s22, -1
	s_wait_loadcnt 0x0
	v_lshlrev_b32_e32 v4, 16, v2
	s_branch .LBB33_1372
.LBB33_1367:
	s_mov_b32 s21, -1
	s_branch .LBB33_1371
.LBB33_1368:
	s_or_saveexec_b32 s22, s22
	v_mov_b32_e32 v4, 0x7f800001
	s_xor_b32 exec_lo, exec_lo, s22
	s_cbranch_execz .LBB33_1349
.LBB33_1369:
	v_cmp_ne_u16_e32 vcc_lo, 0, v2
	v_mov_b32_e32 v4, 0
	s_and_not1_b32 s21, s21, exec_lo
	s_and_b32 s23, vcc_lo, exec_lo
	s_delay_alu instid0(SALU_CYCLE_1)
	s_or_b32 s21, s21, s23
	s_or_b32 exec_lo, exec_lo, s22
	s_and_saveexec_b32 s22, s21
	s_cbranch_execnz .LBB33_1350
	s_branch .LBB33_1351
.LBB33_1370:
	s_mov_b32 s20, -1
.LBB33_1371:
                                        ; implicit-def: $vgpr4
.LBB33_1372:
	s_and_b32 vcc_lo, exec_lo, s21
	s_mov_b32 s21, 0
	s_cbranch_vccz .LBB33_1374
; %bb.1373:
	s_cmp_lg_u32 s19, 11
	s_mov_b32 s21, -1
	s_cselect_b32 s19, -1, 0
	s_and_not1_b32 s20, s20, exec_lo
	s_and_b32 s19, s19, exec_lo
	s_delay_alu instid0(SALU_CYCLE_1)
	s_or_b32 s20, s20, s19
.LBB33_1374:
	s_mov_b32 s23, 0
.LBB33_1375:
	s_and_b32 s19, s22, exec_lo
	s_and_b32 s22, s23, exec_lo
	s_and_not1_b32 s17, s17, exec_lo
	s_and_b32 s23, s20, exec_lo
	s_and_b32 s20, s21, exec_lo
	s_or_b32 s17, s17, s23
	s_wait_xcnt 0x0
	s_or_b32 exec_lo, exec_lo, s18
	s_and_saveexec_b32 s18, s17
	s_cbranch_execz .LBB33_1304
.LBB33_1376:
	s_or_b32 s16, s16, exec_lo
	s_and_not1_b32 s20, s20, exec_lo
	s_trap 2
	s_or_b32 exec_lo, exec_lo, s18
	s_and_saveexec_b32 s17, s20
	s_delay_alu instid0(SALU_CYCLE_1)
	s_xor_b32 s17, exec_lo, s17
	s_cbranch_execnz .LBB33_1305
.LBB33_1377:
	s_or_b32 exec_lo, exec_lo, s17
	s_and_saveexec_b32 s17, s22
	s_cbranch_execz .LBB33_1423
.LBB33_1378:
	s_sext_i32_i16 s18, s0
	s_delay_alu instid0(SALU_CYCLE_1)
	s_cmp_lt_i32 s18, 5
	s_cbranch_scc1 .LBB33_1383
; %bb.1379:
	s_cmp_lt_i32 s18, 8
	s_cbranch_scc1 .LBB33_1384
; %bb.1380:
	;; [unrolled: 3-line block ×3, first 2 shown]
	s_cmp_gt_i32 s18, 9
	s_cbranch_scc0 .LBB33_1386
; %bb.1382:
	global_load_b64 v[4:5], v[0:1], off
	s_mov_b32 s18, 0
	s_wait_loadcnt 0x0
	v_cvt_f32_f64_e32 v4, v[4:5]
	s_branch .LBB33_1387
.LBB33_1383:
                                        ; implicit-def: $vgpr4
	s_branch .LBB33_1404
.LBB33_1384:
                                        ; implicit-def: $vgpr4
	s_branch .LBB33_1393
.LBB33_1385:
	s_mov_b32 s18, -1
                                        ; implicit-def: $vgpr4
	s_branch .LBB33_1390
.LBB33_1386:
	s_mov_b32 s18, -1
                                        ; implicit-def: $vgpr4
.LBB33_1387:
	s_delay_alu instid0(SALU_CYCLE_1)
	s_and_not1_b32 vcc_lo, exec_lo, s18
	s_cbranch_vccnz .LBB33_1389
; %bb.1388:
	global_load_b32 v4, v[0:1], off
.LBB33_1389:
	s_mov_b32 s18, 0
.LBB33_1390:
	s_delay_alu instid0(SALU_CYCLE_1)
	s_and_not1_b32 vcc_lo, exec_lo, s18
	s_cbranch_vccnz .LBB33_1392
; %bb.1391:
	s_wait_loadcnt 0x0
	global_load_b32 v2, v[0:1], off
	s_wait_loadcnt 0x0
	v_cvt_f32_f16_e32 v4, v2
.LBB33_1392:
	s_cbranch_execnz .LBB33_1403
.LBB33_1393:
	s_sext_i32_i16 s18, s0
	s_delay_alu instid0(SALU_CYCLE_1)
	s_cmp_lt_i32 s18, 6
	s_cbranch_scc1 .LBB33_1396
; %bb.1394:
	s_cmp_gt_i32 s18, 6
	s_cbranch_scc0 .LBB33_1397
; %bb.1395:
	s_wait_loadcnt 0x0
	global_load_b64 v[4:5], v[0:1], off
	s_mov_b32 s18, 0
	s_wait_loadcnt 0x0
	v_cvt_f32_f64_e32 v4, v[4:5]
	s_branch .LBB33_1398
.LBB33_1396:
	s_mov_b32 s18, -1
                                        ; implicit-def: $vgpr4
	s_branch .LBB33_1401
.LBB33_1397:
	s_mov_b32 s18, -1
                                        ; implicit-def: $vgpr4
.LBB33_1398:
	s_delay_alu instid0(SALU_CYCLE_1)
	s_and_not1_b32 vcc_lo, exec_lo, s18
	s_cbranch_vccnz .LBB33_1400
; %bb.1399:
	s_wait_loadcnt 0x0
	global_load_b32 v4, v[0:1], off
.LBB33_1400:
	s_mov_b32 s18, 0
.LBB33_1401:
	s_delay_alu instid0(SALU_CYCLE_1)
	s_and_not1_b32 vcc_lo, exec_lo, s18
	s_cbranch_vccnz .LBB33_1403
; %bb.1402:
	s_wait_loadcnt 0x0
	global_load_u16 v2, v[0:1], off
	s_wait_loadcnt 0x0
	v_cvt_f32_f16_e32 v4, v2
.LBB33_1403:
	s_cbranch_execnz .LBB33_1422
.LBB33_1404:
	s_sext_i32_i16 s18, s0
	s_delay_alu instid0(SALU_CYCLE_1)
	s_cmp_lt_i32 s18, 2
	s_cbranch_scc1 .LBB33_1408
; %bb.1405:
	s_cmp_lt_i32 s18, 3
	s_cbranch_scc1 .LBB33_1409
; %bb.1406:
	s_cmp_gt_i32 s18, 3
	s_cbranch_scc0 .LBB33_1410
; %bb.1407:
	s_wait_loadcnt 0x0
	global_load_b64 v[4:5], v[0:1], off
	s_mov_b32 s18, 0
	s_wait_loadcnt 0x0
	v_xor_b32_e32 v2, v4, v5
	v_cls_i32_e32 v7, v5
	s_delay_alu instid0(VALU_DEP_2) | instskip(NEXT) | instid1(VALU_DEP_1)
	v_ashrrev_i32_e32 v2, 31, v2
	v_add_nc_u32_e32 v2, 32, v2
	s_delay_alu instid0(VALU_DEP_1) | instskip(NEXT) | instid1(VALU_DEP_1)
	v_add_min_u32_e64 v2, v7, -1, v2
	v_lshlrev_b64_e32 v[4:5], v2, v[4:5]
	v_sub_nc_u32_e32 v2, 32, v2
	s_delay_alu instid0(VALU_DEP_2) | instskip(NEXT) | instid1(VALU_DEP_1)
	v_min_u32_e32 v4, 1, v4
	v_or_b32_e32 v4, v5, v4
	s_delay_alu instid0(VALU_DEP_1) | instskip(NEXT) | instid1(VALU_DEP_1)
	v_cvt_f32_i32_e32 v4, v4
	v_ldexp_f32 v4, v4, v2
	s_branch .LBB33_1411
.LBB33_1408:
                                        ; implicit-def: $vgpr4
	s_branch .LBB33_1417
.LBB33_1409:
	s_mov_b32 s18, -1
                                        ; implicit-def: $vgpr4
	s_branch .LBB33_1414
.LBB33_1410:
	s_mov_b32 s18, -1
                                        ; implicit-def: $vgpr4
.LBB33_1411:
	s_delay_alu instid0(SALU_CYCLE_1)
	s_and_not1_b32 vcc_lo, exec_lo, s18
	s_cbranch_vccnz .LBB33_1413
; %bb.1412:
	s_wait_loadcnt 0x0
	global_load_b32 v2, v[0:1], off
	s_wait_loadcnt 0x0
	v_cvt_f32_i32_e32 v4, v2
.LBB33_1413:
	s_mov_b32 s18, 0
.LBB33_1414:
	s_delay_alu instid0(SALU_CYCLE_1)
	s_and_not1_b32 vcc_lo, exec_lo, s18
	s_cbranch_vccnz .LBB33_1416
; %bb.1415:
	s_wait_loadcnt 0x0
	global_load_i16 v2, v[0:1], off
	s_wait_loadcnt 0x0
	v_cvt_f32_i32_e32 v4, v2
.LBB33_1416:
	s_cbranch_execnz .LBB33_1422
.LBB33_1417:
	s_sext_i32_i16 s0, s0
	s_delay_alu instid0(SALU_CYCLE_1)
	s_cmp_gt_i32 s0, 0
	s_mov_b32 s0, 0
	s_cbranch_scc0 .LBB33_1419
; %bb.1418:
	s_wait_loadcnt 0x0
	global_load_i8 v2, v[0:1], off
	s_wait_loadcnt 0x0
	v_cvt_f32_i32_e32 v4, v2
	s_branch .LBB33_1420
.LBB33_1419:
	s_mov_b32 s0, -1
                                        ; implicit-def: $vgpr4
.LBB33_1420:
	s_delay_alu instid0(SALU_CYCLE_1)
	s_and_not1_b32 vcc_lo, exec_lo, s0
	s_cbranch_vccnz .LBB33_1422
; %bb.1421:
	global_load_u8 v0, v[0:1], off
	s_wait_loadcnt 0x0
	v_cvt_f32_ubyte0_e32 v4, v0
.LBB33_1422:
	s_or_b32 s19, s19, exec_lo
.LBB33_1423:
	s_wait_xcnt 0x0
	s_or_b32 exec_lo, exec_lo, s17
	s_mov_b32 s0, 0
	s_mov_b32 s20, 0
                                        ; implicit-def: $sgpr17
                                        ; implicit-def: $vgpr0_vgpr1
                                        ; implicit-def: $vgpr2
	s_and_saveexec_b32 s18, s19
	s_cbranch_execz .LBB33_1498
; %bb.1424:
	v_mul_lo_u32 v0, v6, s8
	s_wait_loadcnt 0x0
	s_delay_alu instid0(VALU_DEP_2)
	v_mul_f32_e32 v2, v3, v4
	v_cmp_lt_f32_e32 vcc_lo, 0, v3
	s_and_b32 s17, s11, 0xff
	s_mov_b32 s21, 0
	s_mov_b32 s20, -1
	s_cmp_lt_i32 s17, 11
	s_mov_b32 s0, s15
	s_delay_alu instid0(VALU_DEP_3) | instskip(NEXT) | instid1(VALU_DEP_1)
	v_dual_cndmask_b32 v2, v2, v3 :: v_dual_ashrrev_i32 v1, 31, v0
	v_add_nc_u64_e32 v[0:1], s[4:5], v[0:1]
	s_cbranch_scc1 .LBB33_1502
; %bb.1425:
	s_and_b32 s19, 0xffff, s17
	s_mov_b32 s0, s15
	s_cmp_gt_i32 s19, 25
	s_cbranch_scc0 .LBB33_1458
; %bb.1426:
	s_cmp_gt_i32 s19, 28
	s_mov_b32 s0, s15
	s_cbranch_scc0 .LBB33_1442
; %bb.1427:
	s_cmp_gt_i32 s19, 43
	s_mov_b32 s0, s15
	;; [unrolled: 4-line block ×3, first 2 shown]
	s_cbranch_scc0 .LBB33_1432
; %bb.1429:
	s_cmp_eq_u32 s19, 46
	s_mov_b32 s0, -1
	s_cbranch_scc0 .LBB33_1431
; %bb.1430:
	v_bfe_u32 v3, v2, 16, 1
	v_cmp_o_f32_e32 vcc_lo, v2, v2
	s_mov_b32 s0, 0
	s_delay_alu instid0(VALU_DEP_2) | instskip(NEXT) | instid1(VALU_DEP_1)
	v_add3_u32 v3, v2, v3, 0x7fff
	v_lshrrev_b32_e32 v3, 16, v3
	s_delay_alu instid0(VALU_DEP_1)
	v_cndmask_b32_e32 v3, 0x7fc0, v3, vcc_lo
	global_store_b32 v[0:1], v3, off
.LBB33_1431:
	s_mov_b32 s20, 0
.LBB33_1432:
	s_delay_alu instid0(SALU_CYCLE_1)
	s_and_b32 vcc_lo, exec_lo, s20
	s_cbranch_vccz .LBB33_1437
; %bb.1433:
	s_cmp_eq_u32 s19, 44
	s_mov_b32 s0, -1
	s_cbranch_scc0 .LBB33_1437
; %bb.1434:
	v_bfe_u32 v4, v2, 23, 8
	s_wait_xcnt 0x0
	v_mov_b32_e32 v3, 0xff
	s_mov_b32 s20, exec_lo
	s_delay_alu instid0(VALU_DEP_2)
	v_cmpx_ne_u32_e32 0xff, v4
	s_cbranch_execz .LBB33_1436
; %bb.1435:
	v_and_b32_e32 v3, 0x400000, v2
	v_and_or_b32 v4, 0x3fffff, v2, v4
	s_delay_alu instid0(VALU_DEP_2) | instskip(NEXT) | instid1(VALU_DEP_2)
	v_cmp_ne_u32_e32 vcc_lo, 0, v3
	v_cmp_ne_u32_e64 s0, 0, v4
	v_lshrrev_b32_e32 v3, 23, v2
	s_and_b32 s0, vcc_lo, s0
	s_delay_alu instid0(SALU_CYCLE_1) | instskip(NEXT) | instid1(VALU_DEP_1)
	v_cndmask_b32_e64 v4, 0, 1, s0
	v_add_nc_u32_e32 v3, v3, v4
.LBB33_1436:
	s_or_b32 exec_lo, exec_lo, s20
	s_mov_b32 s0, 0
	global_store_b8 v[0:1], v3, off
.LBB33_1437:
	s_mov_b32 s20, 0
.LBB33_1438:
	s_delay_alu instid0(SALU_CYCLE_1)
	s_and_b32 vcc_lo, exec_lo, s20
	s_cbranch_vccz .LBB33_1441
; %bb.1439:
	s_cmp_eq_u32 s19, 29
	s_mov_b32 s0, -1
	s_cbranch_scc0 .LBB33_1441
; %bb.1440:
	s_wait_xcnt 0x0
	v_trunc_f32_e32 v3, v2
	s_mov_b32 s0, 0
	s_delay_alu instid0(VALU_DEP_1) | instskip(NEXT) | instid1(VALU_DEP_1)
	v_mul_f32_e32 v4, 0x2f800000, v3
	v_floor_f32_e32 v4, v4
	s_delay_alu instid0(VALU_DEP_1) | instskip(SKIP_1) | instid1(VALU_DEP_2)
	v_fmamk_f32 v3, v4, 0xcf800000, v3
	v_cvt_u32_f32_e32 v5, v4
	v_cvt_u32_f32_e32 v4, v3
	global_store_b64 v[0:1], v[4:5], off
.LBB33_1441:
	s_mov_b32 s20, 0
.LBB33_1442:
	s_delay_alu instid0(SALU_CYCLE_1)
	s_and_b32 vcc_lo, exec_lo, s20
	s_cbranch_vccz .LBB33_1457
; %bb.1443:
	s_cmp_lt_i32 s19, 27
	s_mov_b32 s20, -1
	s_cbranch_scc1 .LBB33_1449
; %bb.1444:
	s_wait_xcnt 0x0
	v_cvt_u32_f32_e32 v3, v2
	s_cmp_gt_i32 s19, 27
	s_cbranch_scc0 .LBB33_1446
; %bb.1445:
	s_mov_b32 s20, 0
	global_store_b32 v[0:1], v3, off
.LBB33_1446:
	s_and_not1_b32 vcc_lo, exec_lo, s20
	s_cbranch_vccnz .LBB33_1448
; %bb.1447:
	global_store_b16 v[0:1], v3, off
.LBB33_1448:
	s_mov_b32 s20, 0
.LBB33_1449:
	s_delay_alu instid0(SALU_CYCLE_1)
	s_and_not1_b32 vcc_lo, exec_lo, s20
	s_cbranch_vccnz .LBB33_1457
; %bb.1450:
	s_wait_xcnt 0x0
	v_and_b32_e32 v3, 0x7fffffff, v2
	v_mov_b32_e32 v4, 0x80
	s_mov_b32 s20, exec_lo
	s_delay_alu instid0(VALU_DEP_2)
	v_cmpx_gt_u32_e32 0x43800000, v3
	s_cbranch_execz .LBB33_1456
; %bb.1451:
	v_cmp_lt_u32_e32 vcc_lo, 0x3bffffff, v3
                                        ; implicit-def: $vgpr3
	s_and_saveexec_b32 s22, vcc_lo
	s_delay_alu instid0(SALU_CYCLE_1)
	s_xor_b32 s22, exec_lo, s22
	s_cbranch_execz .LBB33_1557
; %bb.1452:
	v_bfe_u32 v3, v2, 20, 1
	s_mov_b32 s21, exec_lo
	s_delay_alu instid0(VALU_DEP_1) | instskip(NEXT) | instid1(VALU_DEP_1)
	v_add3_u32 v3, v2, v3, 0x487ffff
	v_lshrrev_b32_e32 v3, 20, v3
	s_and_not1_saveexec_b32 s22, s22
	s_cbranch_execnz .LBB33_1558
.LBB33_1453:
	s_or_b32 exec_lo, exec_lo, s22
	v_mov_b32_e32 v4, 0
	s_and_saveexec_b32 s22, s21
.LBB33_1454:
	v_lshrrev_b32_e32 v4, 24, v2
	s_delay_alu instid0(VALU_DEP_1)
	v_and_or_b32 v4, 0x80, v4, v3
.LBB33_1455:
	s_or_b32 exec_lo, exec_lo, s22
.LBB33_1456:
	s_delay_alu instid0(SALU_CYCLE_1)
	s_or_b32 exec_lo, exec_lo, s20
	global_store_b8 v[0:1], v4, off
.LBB33_1457:
	s_mov_b32 s20, 0
.LBB33_1458:
	s_delay_alu instid0(SALU_CYCLE_1)
	s_and_b32 vcc_lo, exec_lo, s20
	s_mov_b32 s20, 0
	s_cbranch_vccz .LBB33_1501
; %bb.1459:
	s_cmp_gt_i32 s19, 22
	s_mov_b32 s21, -1
	s_cbranch_scc0 .LBB33_1491
; %bb.1460:
	s_cmp_lt_i32 s19, 24
	s_cbranch_scc1 .LBB33_1480
; %bb.1461:
	s_cmp_gt_i32 s19, 24
	s_cbranch_scc0 .LBB33_1469
; %bb.1462:
	s_wait_xcnt 0x0
	v_and_b32_e32 v3, 0x7fffffff, v2
	v_mov_b32_e32 v4, 0x80
	s_mov_b32 s21, exec_lo
	s_delay_alu instid0(VALU_DEP_2)
	v_cmpx_gt_u32_e32 0x47800000, v3
	s_cbranch_execz .LBB33_1468
; %bb.1463:
	v_cmp_lt_u32_e32 vcc_lo, 0x37ffffff, v3
	s_mov_b32 s22, 0
                                        ; implicit-def: $vgpr3
	s_and_saveexec_b32 s23, vcc_lo
	s_delay_alu instid0(SALU_CYCLE_1)
	s_xor_b32 s23, exec_lo, s23
	s_cbranch_execz .LBB33_1683
; %bb.1464:
	v_bfe_u32 v3, v2, 21, 1
	s_mov_b32 s22, exec_lo
	s_delay_alu instid0(VALU_DEP_1) | instskip(NEXT) | instid1(VALU_DEP_1)
	v_add3_u32 v3, v2, v3, 0x88fffff
	v_lshrrev_b32_e32 v3, 21, v3
	s_and_not1_saveexec_b32 s23, s23
	s_cbranch_execnz .LBB33_1684
.LBB33_1465:
	s_or_b32 exec_lo, exec_lo, s23
	v_mov_b32_e32 v4, 0
	s_and_saveexec_b32 s23, s22
.LBB33_1466:
	v_lshrrev_b32_e32 v4, 24, v2
	s_delay_alu instid0(VALU_DEP_1)
	v_and_or_b32 v4, 0x80, v4, v3
.LBB33_1467:
	s_or_b32 exec_lo, exec_lo, s23
.LBB33_1468:
	s_delay_alu instid0(SALU_CYCLE_1)
	s_or_b32 exec_lo, exec_lo, s21
	s_mov_b32 s21, 0
	global_store_b8 v[0:1], v4, off
.LBB33_1469:
	s_and_b32 vcc_lo, exec_lo, s21
	s_cbranch_vccz .LBB33_1479
; %bb.1470:
	s_wait_xcnt 0x0
	v_and_b32_e32 v4, 0x7fffffff, v2
	s_mov_b32 s21, exec_lo
                                        ; implicit-def: $vgpr3
	s_delay_alu instid0(VALU_DEP_1)
	v_cmpx_gt_u32_e32 0x43f00000, v4
	s_xor_b32 s21, exec_lo, s21
	s_cbranch_execz .LBB33_1476
; %bb.1471:
	s_mov_b32 s22, exec_lo
                                        ; implicit-def: $vgpr3
	v_cmpx_lt_u32_e32 0x3c7fffff, v4
	s_xor_b32 s22, exec_lo, s22
; %bb.1472:
	v_bfe_u32 v3, v2, 20, 1
	s_delay_alu instid0(VALU_DEP_1) | instskip(NEXT) | instid1(VALU_DEP_1)
	v_add3_u32 v3, v2, v3, 0x407ffff
	v_and_b32_e32 v4, 0xff00000, v3
	v_lshrrev_b32_e32 v3, 20, v3
	s_delay_alu instid0(VALU_DEP_2) | instskip(NEXT) | instid1(VALU_DEP_2)
	v_cmp_ne_u32_e32 vcc_lo, 0x7f00000, v4
	v_cndmask_b32_e32 v3, 0x7e, v3, vcc_lo
; %bb.1473:
	s_and_not1_saveexec_b32 s22, s22
; %bb.1474:
	v_add_f32_e64 v3, 0x46800000, |v2|
; %bb.1475:
	s_or_b32 exec_lo, exec_lo, s22
                                        ; implicit-def: $vgpr4
.LBB33_1476:
	s_and_not1_saveexec_b32 s21, s21
; %bb.1477:
	v_mov_b32_e32 v3, 0x7f
	v_cmp_lt_u32_e32 vcc_lo, 0x7f800000, v4
	s_delay_alu instid0(VALU_DEP_2)
	v_cndmask_b32_e32 v3, 0x7e, v3, vcc_lo
; %bb.1478:
	s_or_b32 exec_lo, exec_lo, s21
	v_lshrrev_b32_e32 v4, 24, v2
	s_delay_alu instid0(VALU_DEP_1)
	v_and_or_b32 v3, 0x80, v4, v3
	global_store_b8 v[0:1], v3, off
.LBB33_1479:
	s_mov_b32 s21, 0
.LBB33_1480:
	s_delay_alu instid0(SALU_CYCLE_1)
	s_and_not1_b32 vcc_lo, exec_lo, s21
	s_cbranch_vccnz .LBB33_1490
; %bb.1481:
	s_wait_xcnt 0x0
	v_and_b32_e32 v4, 0x7fffffff, v2
	s_mov_b32 s21, exec_lo
                                        ; implicit-def: $vgpr3
	s_delay_alu instid0(VALU_DEP_1)
	v_cmpx_gt_u32_e32 0x47800000, v4
	s_xor_b32 s21, exec_lo, s21
	s_cbranch_execz .LBB33_1487
; %bb.1482:
	s_mov_b32 s22, exec_lo
                                        ; implicit-def: $vgpr3
	v_cmpx_lt_u32_e32 0x387fffff, v4
	s_xor_b32 s22, exec_lo, s22
; %bb.1483:
	v_bfe_u32 v3, v2, 21, 1
	s_delay_alu instid0(VALU_DEP_1) | instskip(NEXT) | instid1(VALU_DEP_1)
	v_add3_u32 v3, v2, v3, 0x80fffff
	v_lshrrev_b32_e32 v3, 21, v3
; %bb.1484:
	s_and_not1_saveexec_b32 s22, s22
; %bb.1485:
	v_add_f32_e64 v3, 0x43000000, |v2|
; %bb.1486:
	s_or_b32 exec_lo, exec_lo, s22
                                        ; implicit-def: $vgpr4
.LBB33_1487:
	s_and_not1_saveexec_b32 s21, s21
; %bb.1488:
	v_mov_b32_e32 v3, 0x7f
	v_cmp_lt_u32_e32 vcc_lo, 0x7f800000, v4
	s_delay_alu instid0(VALU_DEP_2)
	v_cndmask_b32_e32 v3, 0x7c, v3, vcc_lo
; %bb.1489:
	s_or_b32 exec_lo, exec_lo, s21
	v_lshrrev_b32_e32 v4, 24, v2
	s_delay_alu instid0(VALU_DEP_1)
	v_and_or_b32 v3, 0x80, v4, v3
	global_store_b8 v[0:1], v3, off
.LBB33_1490:
	s_mov_b32 s21, 0
.LBB33_1491:
	s_delay_alu instid0(SALU_CYCLE_1)
	s_and_not1_b32 vcc_lo, exec_lo, s21
	s_mov_b32 s21, 0
	s_cbranch_vccnz .LBB33_1502
; %bb.1492:
	s_cmp_gt_i32 s19, 14
	s_mov_b32 s21, -1
	s_cbranch_scc0 .LBB33_1496
; %bb.1493:
	s_cmp_eq_u32 s19, 15
	s_mov_b32 s0, -1
	s_cbranch_scc0 .LBB33_1495
; %bb.1494:
	s_wait_xcnt 0x0
	v_bfe_u32 v3, v2, 16, 1
	v_cmp_o_f32_e32 vcc_lo, v2, v2
	s_mov_b32 s0, 0
	s_delay_alu instid0(VALU_DEP_2) | instskip(NEXT) | instid1(VALU_DEP_1)
	v_add3_u32 v3, v2, v3, 0x7fff
	v_lshrrev_b32_e32 v3, 16, v3
	s_delay_alu instid0(VALU_DEP_1)
	v_cndmask_b32_e32 v3, 0x7fc0, v3, vcc_lo
	global_store_b16 v[0:1], v3, off
.LBB33_1495:
	s_mov_b32 s21, 0
.LBB33_1496:
	s_delay_alu instid0(SALU_CYCLE_1)
	s_and_b32 vcc_lo, exec_lo, s21
	s_mov_b32 s21, 0
	s_cbranch_vccz .LBB33_1502
; %bb.1497:
	s_cmp_lg_u32 s19, 11
	s_mov_b32 s21, -1
	s_cselect_b32 s19, -1, 0
	s_and_not1_b32 s0, s0, exec_lo
	s_and_b32 s19, s19, exec_lo
	s_delay_alu instid0(SALU_CYCLE_1)
	s_or_b32 s0, s0, s19
	s_branch .LBB33_1502
.LBB33_1498:
	s_or_b32 exec_lo, exec_lo, s18
	s_and_saveexec_b32 s18, s15
	s_cbranch_execnz .LBB33_1503
.LBB33_1499:
	s_or_b32 exec_lo, exec_lo, s18
	s_and_saveexec_b32 s15, s0
	s_delay_alu instid0(SALU_CYCLE_1)
	s_xor_b32 s0, exec_lo, s15
	s_cbranch_execz .LBB33_1504
.LBB33_1500:
	s_wait_loadcnt 0x0
	v_cmp_neq_f32_e32 vcc_lo, 0, v2
	v_cndmask_b32_e64 v3, 0, 1, vcc_lo
	global_store_b8 v[0:1], v3, off
	s_wait_xcnt 0x0
	s_or_b32 exec_lo, exec_lo, s0
	s_and_saveexec_b32 s0, s20
	s_delay_alu instid0(SALU_CYCLE_1)
	s_xor_b32 s0, exec_lo, s0
	s_cbranch_execz .LBB33_1542
	s_branch .LBB33_1505
.LBB33_1501:
	s_mov_b32 s21, 0
.LBB33_1502:
	s_and_not1_b32 s15, s15, exec_lo
	s_and_b32 s19, s0, exec_lo
	s_and_b32 s20, s20, exec_lo
	;; [unrolled: 1-line block ×3, first 2 shown]
	s_or_b32 s15, s15, s19
	s_wait_xcnt 0x0
	s_or_b32 exec_lo, exec_lo, s18
	s_and_saveexec_b32 s18, s15
	s_cbranch_execz .LBB33_1499
.LBB33_1503:
	s_or_b32 s16, s16, exec_lo
	s_and_not1_b32 s0, s0, exec_lo
	s_trap 2
	s_or_b32 exec_lo, exec_lo, s18
	s_and_saveexec_b32 s15, s0
	s_delay_alu instid0(SALU_CYCLE_1)
	s_xor_b32 s0, exec_lo, s15
	s_cbranch_execnz .LBB33_1500
.LBB33_1504:
	s_or_b32 exec_lo, exec_lo, s0
	s_and_saveexec_b32 s0, s20
	s_delay_alu instid0(SALU_CYCLE_1)
	s_xor_b32 s0, exec_lo, s0
	s_cbranch_execz .LBB33_1542
.LBB33_1505:
	s_sext_i32_i16 s18, s17
	s_mov_b32 s15, -1
	s_cmp_lt_i32 s18, 5
	s_cbranch_scc1 .LBB33_1526
; %bb.1506:
	s_cmp_lt_i32 s18, 8
	s_cbranch_scc1 .LBB33_1516
; %bb.1507:
	;; [unrolled: 3-line block ×3, first 2 shown]
	s_cmp_gt_i32 s18, 9
	s_cbranch_scc0 .LBB33_1510
; %bb.1509:
	s_wait_loadcnt 0x0
	v_cvt_f64_f32_e32 v[4:5], v2
	v_mov_b32_e32 v6, 0
	s_mov_b32 s15, 0
	s_delay_alu instid0(VALU_DEP_1)
	v_mov_b32_e32 v7, v6
	global_store_b128 v[0:1], v[4:7], off
.LBB33_1510:
	s_and_not1_b32 vcc_lo, exec_lo, s15
	s_cbranch_vccnz .LBB33_1512
; %bb.1511:
	s_wait_loadcnt 0x0
	v_mov_b32_e32 v3, 0
	global_store_b64 v[0:1], v[2:3], off
.LBB33_1512:
	s_mov_b32 s15, 0
.LBB33_1513:
	s_delay_alu instid0(SALU_CYCLE_1)
	s_and_not1_b32 vcc_lo, exec_lo, s15
	s_cbranch_vccnz .LBB33_1515
; %bb.1514:
	s_wait_loadcnt 0x0
	v_cvt_f16_f32_e32 v3, v2
	s_delay_alu instid0(VALU_DEP_1)
	v_and_b32_e32 v3, 0xffff, v3
	global_store_b32 v[0:1], v3, off
.LBB33_1515:
	s_mov_b32 s15, 0
.LBB33_1516:
	s_delay_alu instid0(SALU_CYCLE_1)
	s_and_not1_b32 vcc_lo, exec_lo, s15
	s_cbranch_vccnz .LBB33_1525
; %bb.1517:
	s_sext_i32_i16 s18, s17
	s_mov_b32 s15, -1
	s_cmp_lt_i32 s18, 6
	s_cbranch_scc1 .LBB33_1523
; %bb.1518:
	s_cmp_gt_i32 s18, 6
	s_cbranch_scc0 .LBB33_1520
; %bb.1519:
	s_wait_loadcnt 0x0
	v_cvt_f64_f32_e32 v[4:5], v2
	s_mov_b32 s15, 0
	global_store_b64 v[0:1], v[4:5], off
.LBB33_1520:
	s_and_not1_b32 vcc_lo, exec_lo, s15
	s_cbranch_vccnz .LBB33_1522
; %bb.1521:
	s_wait_loadcnt 0x0
	global_store_b32 v[0:1], v2, off
.LBB33_1522:
	s_mov_b32 s15, 0
.LBB33_1523:
	s_delay_alu instid0(SALU_CYCLE_1)
	s_and_not1_b32 vcc_lo, exec_lo, s15
	s_cbranch_vccnz .LBB33_1525
; %bb.1524:
	s_wait_loadcnt 0x0
	v_cvt_f16_f32_e32 v3, v2
	global_store_b16 v[0:1], v3, off
.LBB33_1525:
	s_mov_b32 s15, 0
.LBB33_1526:
	s_delay_alu instid0(SALU_CYCLE_1)
	s_and_not1_b32 vcc_lo, exec_lo, s15
	s_cbranch_vccnz .LBB33_1542
; %bb.1527:
	s_sext_i32_i16 s18, s17
	s_mov_b32 s15, -1
	s_cmp_lt_i32 s18, 2
	s_cbranch_scc1 .LBB33_1537
; %bb.1528:
	s_cmp_lt_i32 s18, 3
	s_cbranch_scc1 .LBB33_1534
; %bb.1529:
	s_cmp_gt_i32 s18, 3
	s_cbranch_scc0 .LBB33_1531
; %bb.1530:
	s_wait_loadcnt 0x0
	v_trunc_f32_e32 v3, v2
	s_mov_b32 s15, 0
	s_delay_alu instid0(VALU_DEP_1) | instskip(NEXT) | instid1(VALU_DEP_1)
	v_mul_f32_e64 v4, 0x2f800000, |v3|
	v_floor_f32_e32 v5, v4
	v_ashrrev_i32_e32 v4, 31, v3
	s_delay_alu instid0(VALU_DEP_2) | instskip(SKIP_1) | instid1(VALU_DEP_3)
	v_fma_f32 v6, 0xcf800000, v5, |v3|
	v_cvt_u32_f32_e32 v3, v5
	v_mov_b32_e32 v5, v4
	s_delay_alu instid0(VALU_DEP_3) | instskip(NEXT) | instid1(VALU_DEP_3)
	v_cvt_u32_f32_e32 v6, v6
	v_xor_b32_e32 v7, v3, v4
	s_delay_alu instid0(VALU_DEP_2) | instskip(NEXT) | instid1(VALU_DEP_1)
	v_xor_b32_e32 v6, v6, v4
	v_sub_nc_u64_e32 v[4:5], v[6:7], v[4:5]
	global_store_b64 v[0:1], v[4:5], off
.LBB33_1531:
	s_and_not1_b32 vcc_lo, exec_lo, s15
	s_cbranch_vccnz .LBB33_1533
; %bb.1532:
	s_wait_loadcnt 0x0
	v_cvt_i32_f32_e32 v3, v2
	global_store_b32 v[0:1], v3, off
.LBB33_1533:
	s_mov_b32 s15, 0
.LBB33_1534:
	s_delay_alu instid0(SALU_CYCLE_1)
	s_and_not1_b32 vcc_lo, exec_lo, s15
	s_cbranch_vccnz .LBB33_1536
; %bb.1535:
	s_wait_loadcnt 0x0
	v_cvt_i32_f32_e32 v3, v2
	global_store_b16 v[0:1], v3, off
.LBB33_1536:
	s_mov_b32 s15, 0
.LBB33_1537:
	s_delay_alu instid0(SALU_CYCLE_1)
	s_and_not1_b32 vcc_lo, exec_lo, s15
	s_cbranch_vccnz .LBB33_1542
; %bb.1538:
	s_sext_i32_i16 s15, s17
	s_delay_alu instid0(SALU_CYCLE_1)
	s_cmp_gt_i32 s15, 0
	s_mov_b32 s15, -1
	s_cbranch_scc0 .LBB33_1540
; %bb.1539:
	s_wait_loadcnt 0x0
	v_cvt_i32_f32_e32 v3, v2
	s_mov_b32 s15, 0
	global_store_b8 v[0:1], v3, off
.LBB33_1540:
	s_and_not1_b32 vcc_lo, exec_lo, s15
	s_cbranch_vccnz .LBB33_1542
; %bb.1541:
	s_wait_loadcnt 0x0
	v_trunc_f32_e32 v2, v2
	s_delay_alu instid0(VALU_DEP_1) | instskip(NEXT) | instid1(VALU_DEP_1)
	v_mul_f32_e64 v3, 0x2f800000, |v2|
	v_floor_f32_e32 v3, v3
	s_delay_alu instid0(VALU_DEP_1) | instskip(SKIP_1) | instid1(VALU_DEP_2)
	v_fma_f32 v3, 0xcf800000, v3, |v2|
	v_ashrrev_i32_e32 v2, 31, v2
	v_cvt_u32_f32_e32 v3, v3
	s_delay_alu instid0(VALU_DEP_1) | instskip(NEXT) | instid1(VALU_DEP_1)
	v_xor_b32_e32 v3, v3, v2
	v_sub_nc_u32_e32 v2, v3, v2
	global_store_b8 v[0:1], v2, off
.LBB33_1542:
	s_wait_xcnt 0x0
	s_or_b32 exec_lo, exec_lo, s0
	s_delay_alu instid0(SALU_CYCLE_1)
	s_and_b32 s15, s16, exec_lo
                                        ; implicit-def: $vgpr6
.LBB33_1543:
	s_or_saveexec_b32 s14, s14
	s_mov_b32 s0, 0
                                        ; implicit-def: $sgpr16
                                        ; implicit-def: $vgpr0_vgpr1
                                        ; implicit-def: $vgpr2
	s_xor_b32 exec_lo, exec_lo, s14
	s_cbranch_execz .LBB33_3018
; %bb.1544:
	v_mul_lo_u32 v0, s9, v6
	s_and_b32 s0, s13, 0xff
	s_delay_alu instid0(SALU_CYCLE_1) | instskip(NEXT) | instid1(VALU_DEP_1)
	s_cmp_lt_i32 s0, 11
	v_ashrrev_i32_e32 v1, 31, v0
	s_wait_loadcnt 0x0
	s_delay_alu instid0(VALU_DEP_1)
	v_add_nc_u64_e32 v[2:3], s[6:7], v[0:1]
	s_cbranch_scc1 .LBB33_1551
; %bb.1545:
	s_and_b32 s12, 0xffff, s0
	s_mov_b32 s16, 0
	s_cmp_gt_i32 s12, 25
	s_cbranch_scc0 .LBB33_1553
; %bb.1546:
	s_cmp_gt_i32 s12, 28
	s_cbranch_scc0 .LBB33_1554
; %bb.1547:
	;; [unrolled: 3-line block ×4, first 2 shown]
	s_cmp_eq_u32 s12, 46
	s_mov_b32 s18, 0
	s_cbranch_scc0 .LBB33_1559
; %bb.1550:
	global_load_b32 v1, v[2:3], off
	s_mov_b32 s13, 0
	s_mov_b32 s17, -1
	s_wait_loadcnt 0x0
	v_lshlrev_b32_e32 v7, 16, v1
	s_branch .LBB33_1561
.LBB33_1551:
	s_mov_b32 s17, 0
	s_mov_b32 s12, s15
                                        ; implicit-def: $vgpr7
	s_cbranch_execnz .LBB33_1624
.LBB33_1552:
	s_and_not1_b32 vcc_lo, exec_lo, s17
	s_cbranch_vccz .LBB33_1669
	s_branch .LBB33_3016
.LBB33_1553:
	s_mov_b32 s17, 0
	s_mov_b32 s13, 0
                                        ; implicit-def: $vgpr7
	s_cbranch_execnz .LBB33_1589
	s_branch .LBB33_1620
.LBB33_1554:
	s_mov_b32 s18, -1
	s_mov_b32 s17, 0
	s_mov_b32 s13, 0
                                        ; implicit-def: $vgpr7
	s_branch .LBB33_1570
.LBB33_1555:
	s_mov_b32 s17, 0
	s_mov_b32 s13, 0
                                        ; implicit-def: $vgpr7
	s_cbranch_execnz .LBB33_1566
	s_branch .LBB33_1569
.LBB33_1556:
	s_mov_b32 s18, -1
	s_mov_b32 s17, 0
	s_mov_b32 s13, 0
	s_branch .LBB33_1560
.LBB33_1557:
	s_and_not1_saveexec_b32 s22, s22
	s_cbranch_execz .LBB33_1453
.LBB33_1558:
	v_add_f32_e64 v3, 0x46000000, |v2|
	s_and_not1_b32 s21, s21, exec_lo
	s_delay_alu instid0(VALU_DEP_1) | instskip(NEXT) | instid1(VALU_DEP_1)
	v_and_b32_e32 v3, 0xff, v3
	v_cmp_ne_u32_e32 vcc_lo, 0, v3
	s_and_b32 s23, vcc_lo, exec_lo
	s_delay_alu instid0(SALU_CYCLE_1)
	s_or_b32 s21, s21, s23
	s_or_b32 exec_lo, exec_lo, s22
	v_mov_b32_e32 v4, 0
	s_and_saveexec_b32 s22, s21
	s_cbranch_execnz .LBB33_1454
	s_branch .LBB33_1455
.LBB33_1559:
	s_mov_b32 s13, -1
	s_mov_b32 s17, 0
.LBB33_1560:
                                        ; implicit-def: $vgpr7
.LBB33_1561:
	s_and_b32 vcc_lo, exec_lo, s18
	s_cbranch_vccz .LBB33_1564
; %bb.1562:
	s_cmp_eq_u32 s12, 44
	s_cbranch_scc0 .LBB33_1565
; %bb.1563:
	global_load_u8 v1, v[2:3], off
	s_mov_b32 s13, 0
	s_mov_b32 s17, -1
	s_wait_loadcnt 0x0
	v_lshlrev_b32_e32 v4, 23, v1
	v_cmp_ne_u32_e32 vcc_lo, 0xff, v1
	s_delay_alu instid0(VALU_DEP_2) | instskip(SKIP_1) | instid1(VALU_DEP_2)
	v_cndmask_b32_e32 v4, 0x7f800001, v4, vcc_lo
	v_cmp_ne_u32_e32 vcc_lo, 0, v1
	v_cndmask_b32_e32 v7, 0x400000, v4, vcc_lo
.LBB33_1564:
	s_branch .LBB33_1569
.LBB33_1565:
	s_mov_b32 s13, -1
                                        ; implicit-def: $vgpr7
	s_branch .LBB33_1569
.LBB33_1566:
	s_cmp_eq_u32 s12, 29
	s_cbranch_scc0 .LBB33_1568
; %bb.1567:
	global_load_b64 v[4:5], v[2:3], off
	s_mov_b32 s13, 0
	s_mov_b32 s17, -1
	s_mov_b32 s18, 0
	s_wait_loadcnt 0x0
	v_clz_i32_u32_e32 v1, v5
	s_delay_alu instid0(VALU_DEP_1) | instskip(NEXT) | instid1(VALU_DEP_1)
	v_min_u32_e32 v1, 32, v1
	v_lshlrev_b64_e32 v[4:5], v1, v[4:5]
	v_sub_nc_u32_e32 v1, 32, v1
	s_delay_alu instid0(VALU_DEP_2) | instskip(NEXT) | instid1(VALU_DEP_1)
	v_min_u32_e32 v4, 1, v4
	v_or_b32_e32 v4, v5, v4
	s_delay_alu instid0(VALU_DEP_1) | instskip(NEXT) | instid1(VALU_DEP_1)
	v_cvt_f32_u32_e32 v4, v4
	v_ldexp_f32 v7, v4, v1
	s_branch .LBB33_1570
.LBB33_1568:
	s_mov_b32 s13, -1
                                        ; implicit-def: $vgpr7
.LBB33_1569:
	s_mov_b32 s18, 0
.LBB33_1570:
	s_delay_alu instid0(SALU_CYCLE_1)
	s_and_b32 vcc_lo, exec_lo, s18
	s_cbranch_vccz .LBB33_1588
; %bb.1571:
	s_cmp_lt_i32 s12, 27
	s_cbranch_scc1 .LBB33_1574
; %bb.1572:
	s_cmp_gt_i32 s12, 27
	s_cbranch_scc0 .LBB33_1575
; %bb.1573:
	global_load_b32 v1, v[2:3], off
	s_mov_b32 s17, 0
	s_wait_loadcnt 0x0
	v_cvt_f32_u32_e32 v7, v1
	s_branch .LBB33_1576
.LBB33_1574:
	s_mov_b32 s17, -1
                                        ; implicit-def: $vgpr7
	s_branch .LBB33_1579
.LBB33_1575:
	s_mov_b32 s17, -1
                                        ; implicit-def: $vgpr7
.LBB33_1576:
	s_delay_alu instid0(SALU_CYCLE_1)
	s_and_not1_b32 vcc_lo, exec_lo, s17
	s_cbranch_vccnz .LBB33_1578
; %bb.1577:
	global_load_u16 v1, v[2:3], off
	s_wait_loadcnt 0x0
	v_cvt_f32_u32_e32 v7, v1
.LBB33_1578:
	s_mov_b32 s17, 0
.LBB33_1579:
	s_delay_alu instid0(SALU_CYCLE_1)
	s_and_not1_b32 vcc_lo, exec_lo, s17
	s_cbranch_vccnz .LBB33_1587
; %bb.1580:
	global_load_u8 v1, v[2:3], off
	s_mov_b32 s17, 0
	s_mov_b32 s18, exec_lo
	s_wait_loadcnt 0x0
	v_cmpx_lt_i16_e32 0x7f, v1
	s_xor_b32 s18, exec_lo, s18
	s_cbranch_execz .LBB33_1600
; %bb.1581:
	s_mov_b32 s17, -1
	s_mov_b32 s19, exec_lo
	v_cmpx_eq_u16_e32 0x80, v1
; %bb.1582:
	s_xor_b32 s17, exec_lo, -1
; %bb.1583:
	s_or_b32 exec_lo, exec_lo, s19
	s_delay_alu instid0(SALU_CYCLE_1)
	s_and_b32 s17, s17, exec_lo
	s_or_saveexec_b32 s18, s18
	v_mov_b32_e32 v7, 0x7f800001
	s_xor_b32 exec_lo, exec_lo, s18
	s_cbranch_execnz .LBB33_1601
.LBB33_1584:
	s_or_b32 exec_lo, exec_lo, s18
	s_and_saveexec_b32 s18, s17
	s_cbranch_execz .LBB33_1586
.LBB33_1585:
	v_and_b32_e32 v4, 0xffff, v1
	s_delay_alu instid0(VALU_DEP_1) | instskip(SKIP_1) | instid1(VALU_DEP_2)
	v_and_b32_e32 v5, 7, v4
	v_bfe_u32 v9, v4, 3, 4
	v_clz_i32_u32_e32 v7, v5
	s_delay_alu instid0(VALU_DEP_2) | instskip(NEXT) | instid1(VALU_DEP_2)
	v_cmp_eq_u32_e32 vcc_lo, 0, v9
	v_min_u32_e32 v7, 32, v7
	s_delay_alu instid0(VALU_DEP_1) | instskip(NEXT) | instid1(VALU_DEP_1)
	v_subrev_nc_u32_e32 v8, 28, v7
	v_dual_lshlrev_b32 v4, v8, v4 :: v_dual_sub_nc_u32 v7, 29, v7
	s_delay_alu instid0(VALU_DEP_1) | instskip(NEXT) | instid1(VALU_DEP_2)
	v_dual_lshlrev_b32 v1, 24, v1 :: v_dual_bitop2_b32 v4, 7, v4 bitop3:0x40
	v_cndmask_b32_e32 v7, v9, v7, vcc_lo
	s_delay_alu instid0(VALU_DEP_2) | instskip(NEXT) | instid1(VALU_DEP_3)
	v_cndmask_b32_e32 v4, v5, v4, vcc_lo
	v_and_b32_e32 v1, 0x80000000, v1
	s_delay_alu instid0(VALU_DEP_3) | instskip(NEXT) | instid1(VALU_DEP_3)
	v_lshl_add_u32 v5, v7, 23, 0x3b800000
	v_lshlrev_b32_e32 v4, 20, v4
	s_delay_alu instid0(VALU_DEP_1)
	v_or3_b32 v7, v1, v5, v4
.LBB33_1586:
	s_or_b32 exec_lo, exec_lo, s18
.LBB33_1587:
	s_mov_b32 s17, -1
.LBB33_1588:
	s_branch .LBB33_1620
.LBB33_1589:
	s_cmp_gt_i32 s12, 22
	s_cbranch_scc0 .LBB33_1599
; %bb.1590:
	s_cmp_lt_i32 s12, 24
	s_cbranch_scc1 .LBB33_1602
; %bb.1591:
	s_cmp_gt_i32 s12, 24
	s_cbranch_scc0 .LBB33_1603
; %bb.1592:
	global_load_u8 v1, v[2:3], off
	s_mov_b32 s17, exec_lo
	s_wait_loadcnt 0x0
	v_cmpx_lt_i16_e32 0x7f, v1
	s_xor_b32 s17, exec_lo, s17
	s_cbranch_execz .LBB33_1614
; %bb.1593:
	s_mov_b32 s16, -1
	s_mov_b32 s18, exec_lo
	v_cmpx_eq_u16_e32 0x80, v1
; %bb.1594:
	s_xor_b32 s16, exec_lo, -1
; %bb.1595:
	s_or_b32 exec_lo, exec_lo, s18
	s_delay_alu instid0(SALU_CYCLE_1)
	s_and_b32 s16, s16, exec_lo
	s_or_saveexec_b32 s17, s17
	v_mov_b32_e32 v7, 0x7f800001
	s_xor_b32 exec_lo, exec_lo, s17
	s_cbranch_execnz .LBB33_1615
.LBB33_1596:
	s_or_b32 exec_lo, exec_lo, s17
	s_and_saveexec_b32 s17, s16
	s_cbranch_execz .LBB33_1598
.LBB33_1597:
	v_and_b32_e32 v4, 0xffff, v1
	s_delay_alu instid0(VALU_DEP_1) | instskip(SKIP_1) | instid1(VALU_DEP_2)
	v_and_b32_e32 v5, 3, v4
	v_bfe_u32 v9, v4, 2, 5
	v_clz_i32_u32_e32 v7, v5
	s_delay_alu instid0(VALU_DEP_2) | instskip(NEXT) | instid1(VALU_DEP_2)
	v_cmp_eq_u32_e32 vcc_lo, 0, v9
	v_min_u32_e32 v7, 32, v7
	s_delay_alu instid0(VALU_DEP_1) | instskip(NEXT) | instid1(VALU_DEP_1)
	v_subrev_nc_u32_e32 v8, 29, v7
	v_dual_lshlrev_b32 v4, v8, v4 :: v_dual_sub_nc_u32 v7, 30, v7
	s_delay_alu instid0(VALU_DEP_1) | instskip(NEXT) | instid1(VALU_DEP_2)
	v_dual_lshlrev_b32 v1, 24, v1 :: v_dual_bitop2_b32 v4, 3, v4 bitop3:0x40
	v_cndmask_b32_e32 v7, v9, v7, vcc_lo
	s_delay_alu instid0(VALU_DEP_2) | instskip(NEXT) | instid1(VALU_DEP_3)
	v_cndmask_b32_e32 v4, v5, v4, vcc_lo
	v_and_b32_e32 v1, 0x80000000, v1
	s_delay_alu instid0(VALU_DEP_3) | instskip(NEXT) | instid1(VALU_DEP_3)
	v_lshl_add_u32 v5, v7, 23, 0x37800000
	v_lshlrev_b32_e32 v4, 21, v4
	s_delay_alu instid0(VALU_DEP_1)
	v_or3_b32 v7, v1, v5, v4
.LBB33_1598:
	s_or_b32 exec_lo, exec_lo, s17
	s_mov_b32 s16, 0
	s_branch .LBB33_1604
.LBB33_1599:
                                        ; implicit-def: $vgpr7
	s_mov_b32 s16, 0
	s_branch .LBB33_1610
.LBB33_1600:
	s_or_saveexec_b32 s18, s18
	v_mov_b32_e32 v7, 0x7f800001
	s_xor_b32 exec_lo, exec_lo, s18
	s_cbranch_execz .LBB33_1584
.LBB33_1601:
	v_cmp_ne_u16_e32 vcc_lo, 0, v1
	v_mov_b32_e32 v7, 0
	s_and_not1_b32 s17, s17, exec_lo
	s_and_b32 s19, vcc_lo, exec_lo
	s_delay_alu instid0(SALU_CYCLE_1)
	s_or_b32 s17, s17, s19
	s_or_b32 exec_lo, exec_lo, s18
	s_and_saveexec_b32 s18, s17
	s_cbranch_execnz .LBB33_1585
	s_branch .LBB33_1586
.LBB33_1602:
	s_mov_b32 s16, -1
                                        ; implicit-def: $vgpr7
	s_branch .LBB33_1607
.LBB33_1603:
	s_mov_b32 s16, -1
                                        ; implicit-def: $vgpr7
.LBB33_1604:
	s_delay_alu instid0(SALU_CYCLE_1)
	s_and_b32 vcc_lo, exec_lo, s16
	s_cbranch_vccz .LBB33_1606
; %bb.1605:
	global_load_u8 v1, v[2:3], off
	s_wait_loadcnt 0x0
	v_lshlrev_b32_e32 v1, 24, v1
	s_delay_alu instid0(VALU_DEP_1) | instskip(NEXT) | instid1(VALU_DEP_1)
	v_and_b32_e32 v4, 0x7f000000, v1
	v_clz_i32_u32_e32 v5, v4
	v_add_nc_u32_e32 v8, 0x1000000, v4
	v_cmp_ne_u32_e32 vcc_lo, 0, v4
	s_delay_alu instid0(VALU_DEP_3) | instskip(NEXT) | instid1(VALU_DEP_1)
	v_min_u32_e32 v5, 32, v5
	v_sub_nc_u32_e64 v5, v5, 4 clamp
	s_delay_alu instid0(VALU_DEP_1) | instskip(NEXT) | instid1(VALU_DEP_1)
	v_dual_lshlrev_b32 v7, v5, v4 :: v_dual_lshlrev_b32 v5, 23, v5
	v_lshrrev_b32_e32 v7, 4, v7
	s_delay_alu instid0(VALU_DEP_1) | instskip(NEXT) | instid1(VALU_DEP_1)
	v_dual_sub_nc_u32 v5, v7, v5 :: v_dual_ashrrev_i32 v7, 8, v8
	v_add_nc_u32_e32 v5, 0x3c000000, v5
	s_delay_alu instid0(VALU_DEP_1) | instskip(NEXT) | instid1(VALU_DEP_1)
	v_and_or_b32 v5, 0x7f800000, v7, v5
	v_cndmask_b32_e32 v4, 0, v5, vcc_lo
	s_delay_alu instid0(VALU_DEP_1)
	v_and_or_b32 v7, 0x80000000, v1, v4
.LBB33_1606:
	s_mov_b32 s16, 0
.LBB33_1607:
	s_delay_alu instid0(SALU_CYCLE_1)
	s_and_not1_b32 vcc_lo, exec_lo, s16
	s_cbranch_vccnz .LBB33_1609
; %bb.1608:
	global_load_u8 v1, v[2:3], off
	s_wait_loadcnt 0x0
	v_lshlrev_b32_e32 v4, 25, v1
	v_lshlrev_b16 v1, 8, v1
	s_delay_alu instid0(VALU_DEP_1) | instskip(SKIP_1) | instid1(VALU_DEP_2)
	v_and_or_b32 v7, 0x7f00, v1, 0.5
	v_bfe_i32 v1, v1, 0, 16
	v_dual_add_f32 v7, -0.5, v7 :: v_dual_lshrrev_b32 v5, 4, v4
	v_cmp_gt_u32_e32 vcc_lo, 0x8000000, v4
	s_delay_alu instid0(VALU_DEP_2) | instskip(NEXT) | instid1(VALU_DEP_1)
	v_or_b32_e32 v5, 0x70000000, v5
	v_mul_f32_e32 v5, 0x7800000, v5
	s_delay_alu instid0(VALU_DEP_1) | instskip(NEXT) | instid1(VALU_DEP_1)
	v_cndmask_b32_e32 v4, v5, v7, vcc_lo
	v_and_or_b32 v7, 0x80000000, v1, v4
.LBB33_1609:
	s_mov_b32 s17, -1
	s_mov_b32 s16, 0
	s_cbranch_execnz .LBB33_1620
.LBB33_1610:
	s_cmp_gt_i32 s12, 14
	s_cbranch_scc0 .LBB33_1613
; %bb.1611:
	s_cmp_eq_u32 s12, 15
	s_cbranch_scc0 .LBB33_1616
; %bb.1612:
	global_load_u16 v1, v[2:3], off
	s_mov_b32 s13, 0
	s_mov_b32 s17, -1
	s_wait_loadcnt 0x0
	v_lshlrev_b32_e32 v7, 16, v1
	s_branch .LBB33_1618
.LBB33_1613:
	s_mov_b32 s16, -1
	s_branch .LBB33_1617
.LBB33_1614:
	s_or_saveexec_b32 s17, s17
	v_mov_b32_e32 v7, 0x7f800001
	s_xor_b32 exec_lo, exec_lo, s17
	s_cbranch_execz .LBB33_1596
.LBB33_1615:
	v_cmp_ne_u16_e32 vcc_lo, 0, v1
	v_mov_b32_e32 v7, 0
	s_and_not1_b32 s16, s16, exec_lo
	s_and_b32 s18, vcc_lo, exec_lo
	s_delay_alu instid0(SALU_CYCLE_1)
	s_or_b32 s16, s16, s18
	s_or_b32 exec_lo, exec_lo, s17
	s_and_saveexec_b32 s17, s16
	s_cbranch_execnz .LBB33_1597
	s_branch .LBB33_1598
.LBB33_1616:
	s_mov_b32 s13, -1
.LBB33_1617:
                                        ; implicit-def: $vgpr7
.LBB33_1618:
	s_and_b32 vcc_lo, exec_lo, s16
	s_mov_b32 s16, 0
	s_cbranch_vccz .LBB33_1620
; %bb.1619:
	s_cmp_lg_u32 s12, 11
	s_mov_b32 s16, -1
	s_cselect_b32 s13, -1, 0
.LBB33_1620:
	s_delay_alu instid0(SALU_CYCLE_1)
	s_and_b32 vcc_lo, exec_lo, s13
	s_mov_b32 s12, s15
	s_cbranch_vccnz .LBB33_1681
; %bb.1621:
	s_and_not1_b32 vcc_lo, exec_lo, s16
	s_cbranch_vccnz .LBB33_1623
.LBB33_1622:
	global_load_u8 v1, v[2:3], off
	s_mov_b32 s17, -1
	s_wait_loadcnt 0x0
	v_cmp_ne_u16_e32 vcc_lo, 0, v1
	v_cndmask_b32_e64 v7, 0, 1.0, vcc_lo
.LBB33_1623:
	s_branch .LBB33_1552
.LBB33_1624:
	s_and_b32 s13, 0xffff, s0
	s_delay_alu instid0(SALU_CYCLE_1)
	s_cmp_lt_i32 s13, 5
	s_cbranch_scc1 .LBB33_1629
; %bb.1625:
	s_cmp_lt_i32 s13, 8
	s_cbranch_scc1 .LBB33_1630
; %bb.1626:
	;; [unrolled: 3-line block ×3, first 2 shown]
	s_cmp_gt_i32 s13, 9
	s_cbranch_scc0 .LBB33_1632
; %bb.1628:
	global_load_b64 v[4:5], v[2:3], off
	s_mov_b32 s16, 0
	s_wait_loadcnt 0x0
	v_cvt_f32_f64_e32 v7, v[4:5]
	s_branch .LBB33_1633
.LBB33_1629:
                                        ; implicit-def: $vgpr7
	s_branch .LBB33_1650
.LBB33_1630:
                                        ; implicit-def: $vgpr7
	s_branch .LBB33_1639
.LBB33_1631:
	s_mov_b32 s16, -1
                                        ; implicit-def: $vgpr7
	s_branch .LBB33_1636
.LBB33_1632:
	s_mov_b32 s16, -1
                                        ; implicit-def: $vgpr7
.LBB33_1633:
	s_delay_alu instid0(SALU_CYCLE_1)
	s_and_not1_b32 vcc_lo, exec_lo, s16
	s_cbranch_vccnz .LBB33_1635
; %bb.1634:
	global_load_b32 v7, v[2:3], off
.LBB33_1635:
	s_mov_b32 s16, 0
.LBB33_1636:
	s_delay_alu instid0(SALU_CYCLE_1)
	s_and_not1_b32 vcc_lo, exec_lo, s16
	s_cbranch_vccnz .LBB33_1638
; %bb.1637:
	global_load_b32 v1, v[2:3], off
	s_wait_loadcnt 0x0
	v_cvt_f32_f16_e32 v7, v1
.LBB33_1638:
	s_cbranch_execnz .LBB33_1649
.LBB33_1639:
	s_cmp_lt_i32 s13, 6
	s_cbranch_scc1 .LBB33_1642
; %bb.1640:
	s_cmp_gt_i32 s13, 6
	s_cbranch_scc0 .LBB33_1643
; %bb.1641:
	global_load_b64 v[4:5], v[2:3], off
	s_mov_b32 s16, 0
	s_wait_loadcnt 0x0
	v_cvt_f32_f64_e32 v7, v[4:5]
	s_branch .LBB33_1644
.LBB33_1642:
	s_mov_b32 s16, -1
                                        ; implicit-def: $vgpr7
	s_branch .LBB33_1647
.LBB33_1643:
	s_mov_b32 s16, -1
                                        ; implicit-def: $vgpr7
.LBB33_1644:
	s_delay_alu instid0(SALU_CYCLE_1)
	s_and_not1_b32 vcc_lo, exec_lo, s16
	s_cbranch_vccnz .LBB33_1646
; %bb.1645:
	s_wait_loadcnt 0x0
	global_load_b32 v7, v[2:3], off
.LBB33_1646:
	s_mov_b32 s16, 0
.LBB33_1647:
	s_delay_alu instid0(SALU_CYCLE_1)
	s_and_not1_b32 vcc_lo, exec_lo, s16
	s_cbranch_vccnz .LBB33_1649
; %bb.1648:
	global_load_u16 v1, v[2:3], off
	s_wait_loadcnt 0x0
	v_cvt_f32_f16_e32 v7, v1
.LBB33_1649:
	s_cbranch_execnz .LBB33_1668
.LBB33_1650:
	s_cmp_lt_i32 s13, 2
	s_cbranch_scc1 .LBB33_1654
; %bb.1651:
	s_cmp_lt_i32 s13, 3
	s_cbranch_scc1 .LBB33_1655
; %bb.1652:
	s_cmp_gt_i32 s13, 3
	s_cbranch_scc0 .LBB33_1656
; %bb.1653:
	global_load_b64 v[4:5], v[2:3], off
	s_mov_b32 s16, 0
	s_wait_loadcnt 0x0
	v_xor_b32_e32 v1, v4, v5
	v_cls_i32_e32 v7, v5
	s_delay_alu instid0(VALU_DEP_2) | instskip(NEXT) | instid1(VALU_DEP_1)
	v_ashrrev_i32_e32 v1, 31, v1
	v_add_nc_u32_e32 v1, 32, v1
	s_delay_alu instid0(VALU_DEP_1) | instskip(NEXT) | instid1(VALU_DEP_1)
	v_add_min_u32_e64 v1, v7, -1, v1
	v_lshlrev_b64_e32 v[4:5], v1, v[4:5]
	v_sub_nc_u32_e32 v1, 32, v1
	s_delay_alu instid0(VALU_DEP_2) | instskip(NEXT) | instid1(VALU_DEP_1)
	v_min_u32_e32 v4, 1, v4
	v_or_b32_e32 v4, v5, v4
	s_delay_alu instid0(VALU_DEP_1) | instskip(NEXT) | instid1(VALU_DEP_1)
	v_cvt_f32_i32_e32 v4, v4
	v_ldexp_f32 v7, v4, v1
	s_branch .LBB33_1657
.LBB33_1654:
                                        ; implicit-def: $vgpr7
	s_branch .LBB33_1663
.LBB33_1655:
	s_mov_b32 s16, -1
                                        ; implicit-def: $vgpr7
	s_branch .LBB33_1660
.LBB33_1656:
	s_mov_b32 s16, -1
                                        ; implicit-def: $vgpr7
.LBB33_1657:
	s_delay_alu instid0(SALU_CYCLE_1)
	s_and_not1_b32 vcc_lo, exec_lo, s16
	s_cbranch_vccnz .LBB33_1659
; %bb.1658:
	global_load_b32 v1, v[2:3], off
	s_wait_loadcnt 0x0
	v_cvt_f32_i32_e32 v7, v1
.LBB33_1659:
	s_mov_b32 s16, 0
.LBB33_1660:
	s_delay_alu instid0(SALU_CYCLE_1)
	s_and_not1_b32 vcc_lo, exec_lo, s16
	s_cbranch_vccnz .LBB33_1662
; %bb.1661:
	global_load_i16 v1, v[2:3], off
	s_wait_loadcnt 0x0
	v_cvt_f32_i32_e32 v7, v1
.LBB33_1662:
	s_cbranch_execnz .LBB33_1668
.LBB33_1663:
	s_cmp_gt_i32 s13, 0
	s_mov_b32 s13, 0
	s_cbranch_scc0 .LBB33_1665
; %bb.1664:
	global_load_i8 v1, v[2:3], off
	s_wait_loadcnt 0x0
	v_cvt_f32_i32_e32 v7, v1
	s_branch .LBB33_1666
.LBB33_1665:
	s_mov_b32 s13, -1
                                        ; implicit-def: $vgpr7
.LBB33_1666:
	s_delay_alu instid0(SALU_CYCLE_1)
	s_and_not1_b32 vcc_lo, exec_lo, s13
	s_cbranch_vccnz .LBB33_1668
; %bb.1667:
	global_load_u8 v1, v[2:3], off
	s_wait_loadcnt 0x0
	v_cvt_f32_ubyte0_e32 v7, v1
.LBB33_1668:
.LBB33_1669:
	s_wait_xcnt 0x0
	v_mul_lo_u32 v2, s10, v6
	s_and_b32 s1, s1, 0xff
	s_delay_alu instid0(SALU_CYCLE_1) | instskip(NEXT) | instid1(VALU_DEP_1)
	s_cmp_lt_i32 s1, 11
	v_ashrrev_i32_e32 v3, 31, v2
	s_delay_alu instid0(VALU_DEP_1)
	v_add_nc_u64_e32 v[4:5], s[2:3], v[2:3]
	s_cbranch_scc1 .LBB33_1676
; %bb.1670:
	s_and_b32 s13, 0xffff, s1
	s_mov_b32 s17, 0
	s_cmp_gt_i32 s13, 25
	s_cbranch_scc0 .LBB33_1678
; %bb.1671:
	s_cmp_gt_i32 s13, 28
	s_cbranch_scc0 .LBB33_1679
; %bb.1672:
	;; [unrolled: 3-line block ×4, first 2 shown]
	s_cmp_eq_u32 s13, 46
	s_mov_b32 s19, 0
	s_cbranch_scc0 .LBB33_1685
; %bb.1675:
	global_load_b32 v1, v[4:5], off
	s_mov_b32 s16, 0
	s_mov_b32 s18, -1
	s_wait_loadcnt 0x0
	v_lshlrev_b32_e32 v9, 16, v1
	s_branch .LBB33_1687
.LBB33_1676:
	s_mov_b32 s18, 0
                                        ; implicit-def: $vgpr9
	s_cbranch_execnz .LBB33_1752
.LBB33_1677:
	s_and_not1_b32 vcc_lo, exec_lo, s18
	s_cbranch_vccz .LBB33_1799
	s_branch .LBB33_3016
.LBB33_1678:
	s_mov_b32 s18, 0
	s_mov_b32 s16, 0
                                        ; implicit-def: $vgpr9
	s_cbranch_execnz .LBB33_1716
	s_branch .LBB33_1748
.LBB33_1679:
	s_mov_b32 s19, -1
	s_mov_b32 s18, 0
	s_mov_b32 s16, 0
                                        ; implicit-def: $vgpr9
	s_branch .LBB33_1697
.LBB33_1680:
	s_mov_b32 s19, -1
	s_mov_b32 s18, 0
	s_mov_b32 s16, 0
                                        ; implicit-def: $vgpr9
	s_branch .LBB33_1692
.LBB33_1681:
	s_or_b32 s12, s15, exec_lo
	s_trap 2
	s_cbranch_execz .LBB33_1622
	s_branch .LBB33_1623
.LBB33_1682:
	s_mov_b32 s19, -1
	s_mov_b32 s18, 0
	s_mov_b32 s16, 0
	s_branch .LBB33_1686
.LBB33_1683:
	s_and_not1_saveexec_b32 s23, s23
	s_cbranch_execz .LBB33_1465
.LBB33_1684:
	v_add_f32_e64 v3, 0x42800000, |v2|
	s_and_not1_b32 s22, s22, exec_lo
	s_delay_alu instid0(VALU_DEP_1) | instskip(NEXT) | instid1(VALU_DEP_1)
	v_and_b32_e32 v3, 0xff, v3
	v_cmp_ne_u32_e32 vcc_lo, 0, v3
	s_and_b32 s24, vcc_lo, exec_lo
	s_delay_alu instid0(SALU_CYCLE_1)
	s_or_b32 s22, s22, s24
	s_or_b32 exec_lo, exec_lo, s23
	v_mov_b32_e32 v4, 0
	s_and_saveexec_b32 s23, s22
	s_cbranch_execnz .LBB33_1466
	s_branch .LBB33_1467
.LBB33_1685:
	s_mov_b32 s16, -1
	s_mov_b32 s18, 0
.LBB33_1686:
                                        ; implicit-def: $vgpr9
.LBB33_1687:
	s_and_b32 vcc_lo, exec_lo, s19
	s_cbranch_vccz .LBB33_1691
; %bb.1688:
	s_cmp_eq_u32 s13, 44
	s_cbranch_scc0 .LBB33_1690
; %bb.1689:
	global_load_u8 v1, v[4:5], off
	s_mov_b32 s16, 0
	s_mov_b32 s18, -1
	s_wait_loadcnt 0x0
	v_lshlrev_b32_e32 v3, 23, v1
	v_cmp_ne_u32_e32 vcc_lo, 0xff, v1
	s_delay_alu instid0(VALU_DEP_2) | instskip(SKIP_1) | instid1(VALU_DEP_2)
	v_cndmask_b32_e32 v3, 0x7f800001, v3, vcc_lo
	v_cmp_ne_u32_e32 vcc_lo, 0, v1
	v_cndmask_b32_e32 v9, 0x400000, v3, vcc_lo
	s_branch .LBB33_1691
.LBB33_1690:
	s_mov_b32 s16, -1
                                        ; implicit-def: $vgpr9
.LBB33_1691:
	s_mov_b32 s19, 0
.LBB33_1692:
	s_delay_alu instid0(SALU_CYCLE_1)
	s_and_b32 vcc_lo, exec_lo, s19
	s_cbranch_vccz .LBB33_1696
; %bb.1693:
	s_cmp_eq_u32 s13, 29
	s_cbranch_scc0 .LBB33_1695
; %bb.1694:
	global_load_b64 v[8:9], v[4:5], off
	s_mov_b32 s16, 0
	s_mov_b32 s18, -1
	s_mov_b32 s19, 0
	s_wait_loadcnt 0x0
	v_clz_i32_u32_e32 v1, v9
	s_delay_alu instid0(VALU_DEP_1) | instskip(NEXT) | instid1(VALU_DEP_1)
	v_min_u32_e32 v1, 32, v1
	v_lshlrev_b64_e32 v[8:9], v1, v[8:9]
	v_sub_nc_u32_e32 v1, 32, v1
	s_delay_alu instid0(VALU_DEP_2) | instskip(NEXT) | instid1(VALU_DEP_1)
	v_min_u32_e32 v3, 1, v8
	v_or_b32_e32 v3, v9, v3
	s_delay_alu instid0(VALU_DEP_1) | instskip(NEXT) | instid1(VALU_DEP_1)
	v_cvt_f32_u32_e32 v3, v3
	v_ldexp_f32 v9, v3, v1
	s_branch .LBB33_1697
.LBB33_1695:
	s_mov_b32 s16, -1
                                        ; implicit-def: $vgpr9
.LBB33_1696:
	s_mov_b32 s19, 0
.LBB33_1697:
	s_delay_alu instid0(SALU_CYCLE_1)
	s_and_b32 vcc_lo, exec_lo, s19
	s_cbranch_vccz .LBB33_1715
; %bb.1698:
	s_cmp_lt_i32 s13, 27
	s_cbranch_scc1 .LBB33_1701
; %bb.1699:
	s_cmp_gt_i32 s13, 27
	s_cbranch_scc0 .LBB33_1702
; %bb.1700:
	global_load_b32 v1, v[4:5], off
	s_mov_b32 s18, 0
	s_wait_loadcnt 0x0
	v_cvt_f32_u32_e32 v9, v1
	s_branch .LBB33_1703
.LBB33_1701:
	s_mov_b32 s18, -1
                                        ; implicit-def: $vgpr9
	s_branch .LBB33_1706
.LBB33_1702:
	s_mov_b32 s18, -1
                                        ; implicit-def: $vgpr9
.LBB33_1703:
	s_delay_alu instid0(SALU_CYCLE_1)
	s_and_not1_b32 vcc_lo, exec_lo, s18
	s_cbranch_vccnz .LBB33_1705
; %bb.1704:
	global_load_u16 v1, v[4:5], off
	s_wait_loadcnt 0x0
	v_cvt_f32_u32_e32 v9, v1
.LBB33_1705:
	s_mov_b32 s18, 0
.LBB33_1706:
	s_delay_alu instid0(SALU_CYCLE_1)
	s_and_not1_b32 vcc_lo, exec_lo, s18
	s_cbranch_vccnz .LBB33_1714
; %bb.1707:
	global_load_u8 v1, v[4:5], off
	s_mov_b32 s18, 0
	s_mov_b32 s19, exec_lo
	s_wait_loadcnt 0x0
	v_cmpx_lt_i16_e32 0x7f, v1
	s_xor_b32 s19, exec_lo, s19
	s_cbranch_execz .LBB33_1727
; %bb.1708:
	s_mov_b32 s18, -1
	s_mov_b32 s20, exec_lo
	v_cmpx_eq_u16_e32 0x80, v1
; %bb.1709:
	s_xor_b32 s18, exec_lo, -1
; %bb.1710:
	s_or_b32 exec_lo, exec_lo, s20
	s_delay_alu instid0(SALU_CYCLE_1)
	s_and_b32 s18, s18, exec_lo
	s_or_saveexec_b32 s19, s19
	v_mov_b32_e32 v9, 0x7f800001
	s_xor_b32 exec_lo, exec_lo, s19
	s_cbranch_execnz .LBB33_1728
.LBB33_1711:
	s_or_b32 exec_lo, exec_lo, s19
	s_and_saveexec_b32 s19, s18
	s_cbranch_execz .LBB33_1713
.LBB33_1712:
	v_and_b32_e32 v3, 0xffff, v1
	s_delay_alu instid0(VALU_DEP_1) | instskip(SKIP_1) | instid1(VALU_DEP_2)
	v_and_b32_e32 v8, 7, v3
	v_bfe_u32 v11, v3, 3, 4
	v_clz_i32_u32_e32 v9, v8
	s_delay_alu instid0(VALU_DEP_2) | instskip(NEXT) | instid1(VALU_DEP_2)
	v_cmp_eq_u32_e32 vcc_lo, 0, v11
	v_min_u32_e32 v9, 32, v9
	s_delay_alu instid0(VALU_DEP_1) | instskip(NEXT) | instid1(VALU_DEP_1)
	v_subrev_nc_u32_e32 v10, 28, v9
	v_dual_lshlrev_b32 v3, v10, v3 :: v_dual_sub_nc_u32 v9, 29, v9
	s_delay_alu instid0(VALU_DEP_1) | instskip(NEXT) | instid1(VALU_DEP_1)
	v_dual_lshlrev_b32 v1, 24, v1 :: v_dual_bitop2_b32 v3, 7, v3 bitop3:0x40
	v_dual_cndmask_b32 v3, v8, v3, vcc_lo :: v_dual_cndmask_b32 v9, v11, v9, vcc_lo
	s_delay_alu instid0(VALU_DEP_2) | instskip(NEXT) | instid1(VALU_DEP_2)
	v_and_b32_e32 v1, 0x80000000, v1
	v_lshlrev_b32_e32 v3, 20, v3
	s_delay_alu instid0(VALU_DEP_3) | instskip(NEXT) | instid1(VALU_DEP_1)
	v_lshl_add_u32 v8, v9, 23, 0x3b800000
	v_or3_b32 v9, v1, v8, v3
.LBB33_1713:
	s_or_b32 exec_lo, exec_lo, s19
.LBB33_1714:
	s_mov_b32 s18, -1
.LBB33_1715:
	s_branch .LBB33_1748
.LBB33_1716:
	s_cmp_gt_i32 s13, 22
	s_cbranch_scc0 .LBB33_1726
; %bb.1717:
	s_cmp_lt_i32 s13, 24
	s_cbranch_scc1 .LBB33_1729
; %bb.1718:
	s_cmp_gt_i32 s13, 24
	s_cbranch_scc0 .LBB33_1730
; %bb.1719:
	global_load_u8 v1, v[4:5], off
	s_mov_b32 s18, exec_lo
	s_wait_loadcnt 0x0
	v_cmpx_lt_i16_e32 0x7f, v1
	s_xor_b32 s18, exec_lo, s18
	s_cbranch_execz .LBB33_1742
; %bb.1720:
	s_mov_b32 s17, -1
	s_mov_b32 s19, exec_lo
	v_cmpx_eq_u16_e32 0x80, v1
; %bb.1721:
	s_xor_b32 s17, exec_lo, -1
; %bb.1722:
	s_or_b32 exec_lo, exec_lo, s19
	s_delay_alu instid0(SALU_CYCLE_1)
	s_and_b32 s17, s17, exec_lo
	s_or_saveexec_b32 s18, s18
	v_mov_b32_e32 v9, 0x7f800001
	s_xor_b32 exec_lo, exec_lo, s18
	s_cbranch_execnz .LBB33_1743
.LBB33_1723:
	s_or_b32 exec_lo, exec_lo, s18
	s_and_saveexec_b32 s18, s17
	s_cbranch_execz .LBB33_1725
.LBB33_1724:
	v_and_b32_e32 v3, 0xffff, v1
	s_delay_alu instid0(VALU_DEP_1) | instskip(SKIP_1) | instid1(VALU_DEP_2)
	v_and_b32_e32 v8, 3, v3
	v_bfe_u32 v11, v3, 2, 5
	v_clz_i32_u32_e32 v9, v8
	s_delay_alu instid0(VALU_DEP_2) | instskip(NEXT) | instid1(VALU_DEP_2)
	v_cmp_eq_u32_e32 vcc_lo, 0, v11
	v_min_u32_e32 v9, 32, v9
	s_delay_alu instid0(VALU_DEP_1) | instskip(NEXT) | instid1(VALU_DEP_1)
	v_subrev_nc_u32_e32 v10, 29, v9
	v_dual_lshlrev_b32 v3, v10, v3 :: v_dual_sub_nc_u32 v9, 30, v9
	s_delay_alu instid0(VALU_DEP_1) | instskip(NEXT) | instid1(VALU_DEP_1)
	v_dual_lshlrev_b32 v1, 24, v1 :: v_dual_bitop2_b32 v3, 3, v3 bitop3:0x40
	v_dual_cndmask_b32 v3, v8, v3, vcc_lo :: v_dual_cndmask_b32 v9, v11, v9, vcc_lo
	s_delay_alu instid0(VALU_DEP_2) | instskip(NEXT) | instid1(VALU_DEP_2)
	v_and_b32_e32 v1, 0x80000000, v1
	v_lshlrev_b32_e32 v3, 21, v3
	s_delay_alu instid0(VALU_DEP_3) | instskip(NEXT) | instid1(VALU_DEP_1)
	v_lshl_add_u32 v8, v9, 23, 0x37800000
	v_or3_b32 v9, v1, v8, v3
.LBB33_1725:
	s_or_b32 exec_lo, exec_lo, s18
	s_mov_b32 s17, 0
	s_branch .LBB33_1731
.LBB33_1726:
	s_mov_b32 s17, -1
                                        ; implicit-def: $vgpr9
	s_branch .LBB33_1737
.LBB33_1727:
	s_or_saveexec_b32 s19, s19
	v_mov_b32_e32 v9, 0x7f800001
	s_xor_b32 exec_lo, exec_lo, s19
	s_cbranch_execz .LBB33_1711
.LBB33_1728:
	v_cmp_ne_u16_e32 vcc_lo, 0, v1
	v_mov_b32_e32 v9, 0
	s_and_not1_b32 s18, s18, exec_lo
	s_and_b32 s20, vcc_lo, exec_lo
	s_delay_alu instid0(SALU_CYCLE_1)
	s_or_b32 s18, s18, s20
	s_or_b32 exec_lo, exec_lo, s19
	s_and_saveexec_b32 s19, s18
	s_cbranch_execnz .LBB33_1712
	s_branch .LBB33_1713
.LBB33_1729:
	s_mov_b32 s17, -1
                                        ; implicit-def: $vgpr9
	s_branch .LBB33_1734
.LBB33_1730:
	s_mov_b32 s17, -1
                                        ; implicit-def: $vgpr9
.LBB33_1731:
	s_delay_alu instid0(SALU_CYCLE_1)
	s_and_b32 vcc_lo, exec_lo, s17
	s_cbranch_vccz .LBB33_1733
; %bb.1732:
	global_load_u8 v1, v[4:5], off
	s_wait_loadcnt 0x0
	v_lshlrev_b32_e32 v1, 24, v1
	s_delay_alu instid0(VALU_DEP_1) | instskip(NEXT) | instid1(VALU_DEP_1)
	v_and_b32_e32 v3, 0x7f000000, v1
	v_clz_i32_u32_e32 v8, v3
	v_cmp_ne_u32_e32 vcc_lo, 0, v3
	v_add_nc_u32_e32 v10, 0x1000000, v3
	s_delay_alu instid0(VALU_DEP_3) | instskip(NEXT) | instid1(VALU_DEP_1)
	v_min_u32_e32 v8, 32, v8
	v_sub_nc_u32_e64 v8, v8, 4 clamp
	s_delay_alu instid0(VALU_DEP_1) | instskip(NEXT) | instid1(VALU_DEP_1)
	v_dual_lshlrev_b32 v9, v8, v3 :: v_dual_lshlrev_b32 v8, 23, v8
	v_lshrrev_b32_e32 v9, 4, v9
	s_delay_alu instid0(VALU_DEP_1) | instskip(NEXT) | instid1(VALU_DEP_1)
	v_dual_sub_nc_u32 v8, v9, v8 :: v_dual_ashrrev_i32 v9, 8, v10
	v_add_nc_u32_e32 v8, 0x3c000000, v8
	s_delay_alu instid0(VALU_DEP_1) | instskip(NEXT) | instid1(VALU_DEP_1)
	v_and_or_b32 v8, 0x7f800000, v9, v8
	v_cndmask_b32_e32 v3, 0, v8, vcc_lo
	s_delay_alu instid0(VALU_DEP_1)
	v_and_or_b32 v9, 0x80000000, v1, v3
.LBB33_1733:
	s_mov_b32 s17, 0
.LBB33_1734:
	s_delay_alu instid0(SALU_CYCLE_1)
	s_and_not1_b32 vcc_lo, exec_lo, s17
	s_cbranch_vccnz .LBB33_1736
; %bb.1735:
	global_load_u8 v1, v[4:5], off
	s_wait_loadcnt 0x0
	v_lshlrev_b32_e32 v3, 25, v1
	v_lshlrev_b16 v1, 8, v1
	s_delay_alu instid0(VALU_DEP_1) | instskip(NEXT) | instid1(VALU_DEP_3)
	v_and_or_b32 v9, 0x7f00, v1, 0.5
	v_lshrrev_b32_e32 v8, 4, v3
	v_bfe_i32 v1, v1, 0, 16
	s_delay_alu instid0(VALU_DEP_3) | instskip(NEXT) | instid1(VALU_DEP_3)
	v_add_f32_e32 v9, -0.5, v9
	v_or_b32_e32 v8, 0x70000000, v8
	s_delay_alu instid0(VALU_DEP_1) | instskip(SKIP_1) | instid1(VALU_DEP_2)
	v_mul_f32_e32 v8, 0x7800000, v8
	v_cmp_gt_u32_e32 vcc_lo, 0x8000000, v3
	v_cndmask_b32_e32 v3, v8, v9, vcc_lo
	s_delay_alu instid0(VALU_DEP_1)
	v_and_or_b32 v9, 0x80000000, v1, v3
.LBB33_1736:
	s_mov_b32 s17, 0
	s_mov_b32 s18, -1
.LBB33_1737:
	s_and_not1_b32 vcc_lo, exec_lo, s17
	s_mov_b32 s17, 0
	s_cbranch_vccnz .LBB33_1748
; %bb.1738:
	s_cmp_gt_i32 s13, 14
	s_cbranch_scc0 .LBB33_1741
; %bb.1739:
	s_cmp_eq_u32 s13, 15
	s_cbranch_scc0 .LBB33_1744
; %bb.1740:
	global_load_u16 v1, v[4:5], off
	s_mov_b32 s16, 0
	s_mov_b32 s18, -1
	s_wait_loadcnt 0x0
	v_lshlrev_b32_e32 v9, 16, v1
	s_branch .LBB33_1746
.LBB33_1741:
	s_mov_b32 s17, -1
	s_branch .LBB33_1745
.LBB33_1742:
	s_or_saveexec_b32 s18, s18
	v_mov_b32_e32 v9, 0x7f800001
	s_xor_b32 exec_lo, exec_lo, s18
	s_cbranch_execz .LBB33_1723
.LBB33_1743:
	v_cmp_ne_u16_e32 vcc_lo, 0, v1
	v_mov_b32_e32 v9, 0
	s_and_not1_b32 s17, s17, exec_lo
	s_and_b32 s19, vcc_lo, exec_lo
	s_delay_alu instid0(SALU_CYCLE_1)
	s_or_b32 s17, s17, s19
	s_or_b32 exec_lo, exec_lo, s18
	s_and_saveexec_b32 s18, s17
	s_cbranch_execnz .LBB33_1724
	s_branch .LBB33_1725
.LBB33_1744:
	s_mov_b32 s16, -1
.LBB33_1745:
                                        ; implicit-def: $vgpr9
.LBB33_1746:
	s_and_b32 vcc_lo, exec_lo, s17
	s_mov_b32 s17, 0
	s_cbranch_vccz .LBB33_1748
; %bb.1747:
	s_cmp_lg_u32 s13, 11
	s_mov_b32 s17, -1
	s_cselect_b32 s16, -1, 0
.LBB33_1748:
	s_delay_alu instid0(SALU_CYCLE_1)
	s_and_b32 vcc_lo, exec_lo, s16
	s_cbranch_vccnz .LBB33_1811
; %bb.1749:
	s_and_not1_b32 vcc_lo, exec_lo, s17
	s_cbranch_vccnz .LBB33_1751
.LBB33_1750:
	global_load_u8 v1, v[4:5], off
	s_mov_b32 s18, -1
	s_wait_loadcnt 0x0
	v_cmp_ne_u16_e32 vcc_lo, 0, v1
	v_cndmask_b32_e64 v9, 0, 1.0, vcc_lo
.LBB33_1751:
	s_branch .LBB33_1677
.LBB33_1752:
	s_and_b32 s13, 0xffff, s1
	s_delay_alu instid0(SALU_CYCLE_1)
	s_cmp_lt_i32 s13, 5
	s_cbranch_scc1 .LBB33_1757
; %bb.1753:
	s_cmp_lt_i32 s13, 8
	s_cbranch_scc1 .LBB33_1758
; %bb.1754:
	;; [unrolled: 3-line block ×3, first 2 shown]
	s_cmp_gt_i32 s13, 9
	s_cbranch_scc0 .LBB33_1760
; %bb.1756:
	global_load_b64 v[8:9], v[4:5], off
	s_mov_b32 s16, 0
	s_wait_loadcnt 0x0
	v_cvt_f32_f64_e32 v9, v[8:9]
	s_branch .LBB33_1761
.LBB33_1757:
                                        ; implicit-def: $vgpr9
	s_branch .LBB33_1779
.LBB33_1758:
	s_mov_b32 s16, -1
                                        ; implicit-def: $vgpr9
	s_branch .LBB33_1767
.LBB33_1759:
	s_mov_b32 s16, -1
                                        ; implicit-def: $vgpr9
	s_branch .LBB33_1764
.LBB33_1760:
	s_mov_b32 s16, -1
                                        ; implicit-def: $vgpr9
.LBB33_1761:
	s_delay_alu instid0(SALU_CYCLE_1)
	s_and_not1_b32 vcc_lo, exec_lo, s16
	s_cbranch_vccnz .LBB33_1763
; %bb.1762:
	global_load_b32 v9, v[4:5], off
.LBB33_1763:
	s_mov_b32 s16, 0
.LBB33_1764:
	s_delay_alu instid0(SALU_CYCLE_1)
	s_and_not1_b32 vcc_lo, exec_lo, s16
	s_cbranch_vccnz .LBB33_1766
; %bb.1765:
	global_load_b32 v1, v[4:5], off
	s_wait_loadcnt 0x0
	v_cvt_f32_f16_e32 v9, v1
.LBB33_1766:
	s_mov_b32 s16, 0
.LBB33_1767:
	s_delay_alu instid0(SALU_CYCLE_1)
	s_and_not1_b32 vcc_lo, exec_lo, s16
	s_cbranch_vccnz .LBB33_1778
; %bb.1768:
	s_cmp_lt_i32 s13, 6
	s_cbranch_scc1 .LBB33_1771
; %bb.1769:
	s_cmp_gt_i32 s13, 6
	s_cbranch_scc0 .LBB33_1772
; %bb.1770:
	s_wait_loadcnt 0x0
	global_load_b64 v[8:9], v[4:5], off
	s_mov_b32 s16, 0
	s_wait_loadcnt 0x0
	v_cvt_f32_f64_e32 v9, v[8:9]
	s_branch .LBB33_1773
.LBB33_1771:
	s_mov_b32 s16, -1
                                        ; implicit-def: $vgpr9
	s_branch .LBB33_1776
.LBB33_1772:
	s_mov_b32 s16, -1
                                        ; implicit-def: $vgpr9
.LBB33_1773:
	s_delay_alu instid0(SALU_CYCLE_1)
	s_and_not1_b32 vcc_lo, exec_lo, s16
	s_cbranch_vccnz .LBB33_1775
; %bb.1774:
	s_wait_loadcnt 0x0
	global_load_b32 v9, v[4:5], off
.LBB33_1775:
	s_mov_b32 s16, 0
.LBB33_1776:
	s_delay_alu instid0(SALU_CYCLE_1)
	s_and_not1_b32 vcc_lo, exec_lo, s16
	s_cbranch_vccnz .LBB33_1778
; %bb.1777:
	global_load_u16 v1, v[4:5], off
	s_wait_loadcnt 0x0
	v_cvt_f32_f16_e32 v9, v1
.LBB33_1778:
	s_cbranch_execnz .LBB33_1798
.LBB33_1779:
	s_cmp_lt_i32 s13, 2
	s_cbranch_scc1 .LBB33_1783
; %bb.1780:
	s_cmp_lt_i32 s13, 3
	s_cbranch_scc1 .LBB33_1784
; %bb.1781:
	s_cmp_gt_i32 s13, 3
	s_cbranch_scc0 .LBB33_1785
; %bb.1782:
	s_wait_loadcnt 0x0
	global_load_b64 v[8:9], v[4:5], off
	s_mov_b32 s16, 0
	s_wait_loadcnt 0x0
	v_xor_b32_e32 v1, v8, v9
	v_cls_i32_e32 v3, v9
	s_delay_alu instid0(VALU_DEP_2) | instskip(NEXT) | instid1(VALU_DEP_1)
	v_ashrrev_i32_e32 v1, 31, v1
	v_add_nc_u32_e32 v1, 32, v1
	s_delay_alu instid0(VALU_DEP_1) | instskip(NEXT) | instid1(VALU_DEP_1)
	v_add_min_u32_e64 v1, v3, -1, v1
	v_lshlrev_b64_e32 v[8:9], v1, v[8:9]
	v_sub_nc_u32_e32 v1, 32, v1
	s_delay_alu instid0(VALU_DEP_2) | instskip(NEXT) | instid1(VALU_DEP_1)
	v_min_u32_e32 v3, 1, v8
	v_or_b32_e32 v3, v9, v3
	s_delay_alu instid0(VALU_DEP_1) | instskip(NEXT) | instid1(VALU_DEP_1)
	v_cvt_f32_i32_e32 v3, v3
	v_ldexp_f32 v9, v3, v1
	s_branch .LBB33_1786
.LBB33_1783:
	s_mov_b32 s16, -1
                                        ; implicit-def: $vgpr9
	s_branch .LBB33_1792
.LBB33_1784:
	s_mov_b32 s16, -1
                                        ; implicit-def: $vgpr9
	s_branch .LBB33_1789
.LBB33_1785:
	s_mov_b32 s16, -1
                                        ; implicit-def: $vgpr9
.LBB33_1786:
	s_delay_alu instid0(SALU_CYCLE_1)
	s_and_not1_b32 vcc_lo, exec_lo, s16
	s_cbranch_vccnz .LBB33_1788
; %bb.1787:
	global_load_b32 v1, v[4:5], off
	s_wait_loadcnt 0x0
	v_cvt_f32_i32_e32 v9, v1
.LBB33_1788:
	s_mov_b32 s16, 0
.LBB33_1789:
	s_delay_alu instid0(SALU_CYCLE_1)
	s_and_not1_b32 vcc_lo, exec_lo, s16
	s_cbranch_vccnz .LBB33_1791
; %bb.1790:
	global_load_i16 v1, v[4:5], off
	s_wait_loadcnt 0x0
	v_cvt_f32_i32_e32 v9, v1
.LBB33_1791:
	s_mov_b32 s16, 0
.LBB33_1792:
	s_delay_alu instid0(SALU_CYCLE_1)
	s_and_not1_b32 vcc_lo, exec_lo, s16
	s_cbranch_vccnz .LBB33_1798
; %bb.1793:
	s_cmp_gt_i32 s13, 0
	s_mov_b32 s13, 0
	s_cbranch_scc0 .LBB33_1795
; %bb.1794:
	global_load_i8 v1, v[4:5], off
	s_wait_loadcnt 0x0
	v_cvt_f32_i32_e32 v9, v1
	s_branch .LBB33_1796
.LBB33_1795:
	s_mov_b32 s13, -1
                                        ; implicit-def: $vgpr9
.LBB33_1796:
	s_delay_alu instid0(SALU_CYCLE_1)
	s_and_not1_b32 vcc_lo, exec_lo, s13
	s_cbranch_vccnz .LBB33_1798
; %bb.1797:
	global_load_u8 v1, v[4:5], off
	s_wait_loadcnt 0x0
	v_cvt_f32_ubyte0_e32 v9, v1
.LBB33_1798:
.LBB33_1799:
	s_lshl_b32 s9, s9, 7
	s_cmp_lt_i32 s0, 11
	v_add_nc_u32_e32 v0, s9, v0
	s_delay_alu instid0(VALU_DEP_1) | instskip(SKIP_1) | instid1(VALU_DEP_1)
	v_ashrrev_i32_e32 v1, 31, v0
	s_wait_xcnt 0x0
	v_add_nc_u64_e32 v[4:5], s[6:7], v[0:1]
	s_cbranch_scc1 .LBB33_1806
; %bb.1800:
	s_and_b32 s13, 0xffff, s0
	s_mov_b32 s17, 0
	s_cmp_gt_i32 s13, 25
	s_cbranch_scc0 .LBB33_1808
; %bb.1801:
	s_cmp_gt_i32 s13, 28
	s_cbranch_scc0 .LBB33_1809
; %bb.1802:
	;; [unrolled: 3-line block ×4, first 2 shown]
	s_cmp_eq_u32 s13, 46
	s_mov_b32 s19, 0
	s_cbranch_scc0 .LBB33_1813
; %bb.1805:
	global_load_b32 v1, v[4:5], off
	s_mov_b32 s16, 0
	s_mov_b32 s18, -1
	s_wait_loadcnt 0x0
	v_lshlrev_b32_e32 v8, 16, v1
	s_branch .LBB33_1815
.LBB33_1806:
	s_mov_b32 s18, 0
                                        ; implicit-def: $vgpr8
	s_cbranch_execnz .LBB33_1881
.LBB33_1807:
	s_and_not1_b32 vcc_lo, exec_lo, s18
	s_cbranch_vccz .LBB33_1929
	s_branch .LBB33_3016
.LBB33_1808:
	s_mov_b32 s19, -1
	s_mov_b32 s18, 0
	s_mov_b32 s16, 0
                                        ; implicit-def: $vgpr8
	s_branch .LBB33_1844
.LBB33_1809:
	s_mov_b32 s19, -1
	s_mov_b32 s18, 0
	s_mov_b32 s16, 0
                                        ; implicit-def: $vgpr8
	s_branch .LBB33_1825
.LBB33_1810:
	s_mov_b32 s19, -1
	s_mov_b32 s18, 0
	s_mov_b32 s16, 0
                                        ; implicit-def: $vgpr8
	s_branch .LBB33_1820
.LBB33_1811:
	s_or_b32 s12, s12, exec_lo
	s_trap 2
	s_cbranch_execz .LBB33_1750
	s_branch .LBB33_1751
.LBB33_1812:
	s_mov_b32 s19, -1
	s_mov_b32 s18, 0
	s_mov_b32 s16, 0
	s_branch .LBB33_1814
.LBB33_1813:
	s_mov_b32 s16, -1
	s_mov_b32 s18, 0
.LBB33_1814:
                                        ; implicit-def: $vgpr8
.LBB33_1815:
	s_and_b32 vcc_lo, exec_lo, s19
	s_cbranch_vccz .LBB33_1819
; %bb.1816:
	s_cmp_eq_u32 s13, 44
	s_cbranch_scc0 .LBB33_1818
; %bb.1817:
	global_load_u8 v1, v[4:5], off
	s_mov_b32 s16, 0
	s_mov_b32 s18, -1
	s_wait_loadcnt 0x0
	v_lshlrev_b32_e32 v3, 23, v1
	v_cmp_ne_u32_e32 vcc_lo, 0xff, v1
	s_delay_alu instid0(VALU_DEP_2) | instskip(SKIP_1) | instid1(VALU_DEP_2)
	v_cndmask_b32_e32 v3, 0x7f800001, v3, vcc_lo
	v_cmp_ne_u32_e32 vcc_lo, 0, v1
	v_cndmask_b32_e32 v8, 0x400000, v3, vcc_lo
	s_branch .LBB33_1819
.LBB33_1818:
	s_mov_b32 s16, -1
                                        ; implicit-def: $vgpr8
.LBB33_1819:
	s_mov_b32 s19, 0
.LBB33_1820:
	s_delay_alu instid0(SALU_CYCLE_1)
	s_and_b32 vcc_lo, exec_lo, s19
	s_cbranch_vccz .LBB33_1824
; %bb.1821:
	s_cmp_eq_u32 s13, 29
	s_cbranch_scc0 .LBB33_1823
; %bb.1822:
	global_load_b64 v[10:11], v[4:5], off
	s_mov_b32 s16, 0
	s_mov_b32 s18, -1
	s_mov_b32 s19, 0
	s_wait_loadcnt 0x0
	v_clz_i32_u32_e32 v1, v11
	s_delay_alu instid0(VALU_DEP_1) | instskip(NEXT) | instid1(VALU_DEP_1)
	v_min_u32_e32 v1, 32, v1
	v_lshlrev_b64_e32 v[10:11], v1, v[10:11]
	v_sub_nc_u32_e32 v1, 32, v1
	s_delay_alu instid0(VALU_DEP_2) | instskip(NEXT) | instid1(VALU_DEP_1)
	v_min_u32_e32 v3, 1, v10
	v_or_b32_e32 v3, v11, v3
	s_delay_alu instid0(VALU_DEP_1) | instskip(NEXT) | instid1(VALU_DEP_1)
	v_cvt_f32_u32_e32 v3, v3
	v_ldexp_f32 v8, v3, v1
	s_branch .LBB33_1825
.LBB33_1823:
	s_mov_b32 s16, -1
                                        ; implicit-def: $vgpr8
.LBB33_1824:
	s_mov_b32 s19, 0
.LBB33_1825:
	s_delay_alu instid0(SALU_CYCLE_1)
	s_and_b32 vcc_lo, exec_lo, s19
	s_cbranch_vccz .LBB33_1843
; %bb.1826:
	s_cmp_lt_i32 s13, 27
	s_cbranch_scc1 .LBB33_1829
; %bb.1827:
	s_cmp_gt_i32 s13, 27
	s_cbranch_scc0 .LBB33_1830
; %bb.1828:
	global_load_b32 v1, v[4:5], off
	s_mov_b32 s18, 0
	s_wait_loadcnt 0x0
	v_cvt_f32_u32_e32 v8, v1
	s_branch .LBB33_1831
.LBB33_1829:
	s_mov_b32 s18, -1
                                        ; implicit-def: $vgpr8
	s_branch .LBB33_1834
.LBB33_1830:
	s_mov_b32 s18, -1
                                        ; implicit-def: $vgpr8
.LBB33_1831:
	s_delay_alu instid0(SALU_CYCLE_1)
	s_and_not1_b32 vcc_lo, exec_lo, s18
	s_cbranch_vccnz .LBB33_1833
; %bb.1832:
	global_load_u16 v1, v[4:5], off
	s_wait_loadcnt 0x0
	v_cvt_f32_u32_e32 v8, v1
.LBB33_1833:
	s_mov_b32 s18, 0
.LBB33_1834:
	s_delay_alu instid0(SALU_CYCLE_1)
	s_and_not1_b32 vcc_lo, exec_lo, s18
	s_cbranch_vccnz .LBB33_1842
; %bb.1835:
	global_load_u8 v1, v[4:5], off
	s_mov_b32 s18, 0
	s_mov_b32 s19, exec_lo
	s_wait_loadcnt 0x0
	v_cmpx_lt_i16_e32 0x7f, v1
	s_xor_b32 s19, exec_lo, s19
	s_cbranch_execz .LBB33_1856
; %bb.1836:
	s_mov_b32 s18, -1
	s_mov_b32 s20, exec_lo
	v_cmpx_eq_u16_e32 0x80, v1
; %bb.1837:
	s_xor_b32 s18, exec_lo, -1
; %bb.1838:
	s_or_b32 exec_lo, exec_lo, s20
	s_delay_alu instid0(SALU_CYCLE_1)
	s_and_b32 s18, s18, exec_lo
	s_or_saveexec_b32 s19, s19
	v_mov_b32_e32 v8, 0x7f800001
	s_xor_b32 exec_lo, exec_lo, s19
	s_cbranch_execnz .LBB33_1857
.LBB33_1839:
	s_or_b32 exec_lo, exec_lo, s19
	s_and_saveexec_b32 s19, s18
	s_cbranch_execz .LBB33_1841
.LBB33_1840:
	v_and_b32_e32 v3, 0xffff, v1
	s_delay_alu instid0(VALU_DEP_1) | instskip(SKIP_1) | instid1(VALU_DEP_2)
	v_and_b32_e32 v8, 7, v3
	v_bfe_u32 v12, v3, 3, 4
	v_clz_i32_u32_e32 v10, v8
	s_delay_alu instid0(VALU_DEP_2) | instskip(NEXT) | instid1(VALU_DEP_2)
	v_cmp_eq_u32_e32 vcc_lo, 0, v12
	v_min_u32_e32 v10, 32, v10
	s_delay_alu instid0(VALU_DEP_1) | instskip(NEXT) | instid1(VALU_DEP_1)
	v_subrev_nc_u32_e32 v11, 28, v10
	v_dual_lshlrev_b32 v3, v11, v3 :: v_dual_sub_nc_u32 v10, 29, v10
	s_delay_alu instid0(VALU_DEP_1) | instskip(NEXT) | instid1(VALU_DEP_2)
	v_dual_lshlrev_b32 v1, 24, v1 :: v_dual_bitop2_b32 v3, 7, v3 bitop3:0x40
	v_cndmask_b32_e32 v10, v12, v10, vcc_lo
	s_delay_alu instid0(VALU_DEP_2) | instskip(NEXT) | instid1(VALU_DEP_3)
	v_cndmask_b32_e32 v3, v8, v3, vcc_lo
	v_and_b32_e32 v1, 0x80000000, v1
	s_delay_alu instid0(VALU_DEP_3) | instskip(NEXT) | instid1(VALU_DEP_3)
	v_lshl_add_u32 v8, v10, 23, 0x3b800000
	v_lshlrev_b32_e32 v3, 20, v3
	s_delay_alu instid0(VALU_DEP_1)
	v_or3_b32 v8, v1, v8, v3
.LBB33_1841:
	s_or_b32 exec_lo, exec_lo, s19
.LBB33_1842:
	s_mov_b32 s18, -1
.LBB33_1843:
	s_mov_b32 s19, 0
.LBB33_1844:
	s_delay_alu instid0(SALU_CYCLE_1)
	s_and_b32 vcc_lo, exec_lo, s19
	s_cbranch_vccz .LBB33_1877
; %bb.1845:
	s_cmp_gt_i32 s13, 22
	s_cbranch_scc0 .LBB33_1855
; %bb.1846:
	s_cmp_lt_i32 s13, 24
	s_cbranch_scc1 .LBB33_1858
; %bb.1847:
	s_cmp_gt_i32 s13, 24
	s_cbranch_scc0 .LBB33_1859
; %bb.1848:
	global_load_u8 v1, v[4:5], off
	s_mov_b32 s18, exec_lo
	s_wait_loadcnt 0x0
	v_cmpx_lt_i16_e32 0x7f, v1
	s_xor_b32 s18, exec_lo, s18
	s_cbranch_execz .LBB33_1871
; %bb.1849:
	s_mov_b32 s17, -1
	s_mov_b32 s19, exec_lo
	v_cmpx_eq_u16_e32 0x80, v1
; %bb.1850:
	s_xor_b32 s17, exec_lo, -1
; %bb.1851:
	s_or_b32 exec_lo, exec_lo, s19
	s_delay_alu instid0(SALU_CYCLE_1)
	s_and_b32 s17, s17, exec_lo
	s_or_saveexec_b32 s18, s18
	v_mov_b32_e32 v8, 0x7f800001
	s_xor_b32 exec_lo, exec_lo, s18
	s_cbranch_execnz .LBB33_1872
.LBB33_1852:
	s_or_b32 exec_lo, exec_lo, s18
	s_and_saveexec_b32 s18, s17
	s_cbranch_execz .LBB33_1854
.LBB33_1853:
	v_and_b32_e32 v3, 0xffff, v1
	s_delay_alu instid0(VALU_DEP_1) | instskip(SKIP_1) | instid1(VALU_DEP_2)
	v_and_b32_e32 v8, 3, v3
	v_bfe_u32 v12, v3, 2, 5
	v_clz_i32_u32_e32 v10, v8
	s_delay_alu instid0(VALU_DEP_2) | instskip(NEXT) | instid1(VALU_DEP_2)
	v_cmp_eq_u32_e32 vcc_lo, 0, v12
	v_min_u32_e32 v10, 32, v10
	s_delay_alu instid0(VALU_DEP_1) | instskip(NEXT) | instid1(VALU_DEP_1)
	v_subrev_nc_u32_e32 v11, 29, v10
	v_dual_lshlrev_b32 v3, v11, v3 :: v_dual_sub_nc_u32 v10, 30, v10
	s_delay_alu instid0(VALU_DEP_1) | instskip(NEXT) | instid1(VALU_DEP_2)
	v_dual_lshlrev_b32 v1, 24, v1 :: v_dual_bitop2_b32 v3, 3, v3 bitop3:0x40
	v_cndmask_b32_e32 v10, v12, v10, vcc_lo
	s_delay_alu instid0(VALU_DEP_2) | instskip(NEXT) | instid1(VALU_DEP_3)
	v_cndmask_b32_e32 v3, v8, v3, vcc_lo
	v_and_b32_e32 v1, 0x80000000, v1
	s_delay_alu instid0(VALU_DEP_3) | instskip(NEXT) | instid1(VALU_DEP_3)
	v_lshl_add_u32 v8, v10, 23, 0x37800000
	v_lshlrev_b32_e32 v3, 21, v3
	s_delay_alu instid0(VALU_DEP_1)
	v_or3_b32 v8, v1, v8, v3
.LBB33_1854:
	s_or_b32 exec_lo, exec_lo, s18
	s_mov_b32 s17, 0
	s_branch .LBB33_1860
.LBB33_1855:
	s_mov_b32 s17, -1
                                        ; implicit-def: $vgpr8
	s_branch .LBB33_1866
.LBB33_1856:
	s_or_saveexec_b32 s19, s19
	v_mov_b32_e32 v8, 0x7f800001
	s_xor_b32 exec_lo, exec_lo, s19
	s_cbranch_execz .LBB33_1839
.LBB33_1857:
	v_cmp_ne_u16_e32 vcc_lo, 0, v1
	v_mov_b32_e32 v8, 0
	s_and_not1_b32 s18, s18, exec_lo
	s_and_b32 s20, vcc_lo, exec_lo
	s_delay_alu instid0(SALU_CYCLE_1)
	s_or_b32 s18, s18, s20
	s_or_b32 exec_lo, exec_lo, s19
	s_and_saveexec_b32 s19, s18
	s_cbranch_execnz .LBB33_1840
	s_branch .LBB33_1841
.LBB33_1858:
	s_mov_b32 s17, -1
                                        ; implicit-def: $vgpr8
	s_branch .LBB33_1863
.LBB33_1859:
	s_mov_b32 s17, -1
                                        ; implicit-def: $vgpr8
.LBB33_1860:
	s_delay_alu instid0(SALU_CYCLE_1)
	s_and_b32 vcc_lo, exec_lo, s17
	s_cbranch_vccz .LBB33_1862
; %bb.1861:
	global_load_u8 v1, v[4:5], off
	s_wait_loadcnt 0x0
	v_lshlrev_b32_e32 v1, 24, v1
	s_delay_alu instid0(VALU_DEP_1) | instskip(NEXT) | instid1(VALU_DEP_1)
	v_and_b32_e32 v3, 0x7f000000, v1
	v_clz_i32_u32_e32 v8, v3
	v_add_nc_u32_e32 v11, 0x1000000, v3
	v_cmp_ne_u32_e32 vcc_lo, 0, v3
	s_delay_alu instid0(VALU_DEP_3) | instskip(NEXT) | instid1(VALU_DEP_1)
	v_min_u32_e32 v8, 32, v8
	v_sub_nc_u32_e64 v8, v8, 4 clamp
	s_delay_alu instid0(VALU_DEP_1) | instskip(NEXT) | instid1(VALU_DEP_1)
	v_dual_lshlrev_b32 v10, v8, v3 :: v_dual_lshlrev_b32 v8, 23, v8
	v_lshrrev_b32_e32 v10, 4, v10
	s_delay_alu instid0(VALU_DEP_1) | instskip(NEXT) | instid1(VALU_DEP_1)
	v_dual_sub_nc_u32 v8, v10, v8 :: v_dual_ashrrev_i32 v10, 8, v11
	v_add_nc_u32_e32 v8, 0x3c000000, v8
	s_delay_alu instid0(VALU_DEP_1) | instskip(NEXT) | instid1(VALU_DEP_1)
	v_and_or_b32 v8, 0x7f800000, v10, v8
	v_cndmask_b32_e32 v3, 0, v8, vcc_lo
	s_delay_alu instid0(VALU_DEP_1)
	v_and_or_b32 v8, 0x80000000, v1, v3
.LBB33_1862:
	s_mov_b32 s17, 0
.LBB33_1863:
	s_delay_alu instid0(SALU_CYCLE_1)
	s_and_not1_b32 vcc_lo, exec_lo, s17
	s_cbranch_vccnz .LBB33_1865
; %bb.1864:
	global_load_u8 v1, v[4:5], off
	s_wait_loadcnt 0x0
	v_lshlrev_b32_e32 v3, 25, v1
	v_lshlrev_b16 v1, 8, v1
	s_delay_alu instid0(VALU_DEP_1) | instskip(SKIP_1) | instid1(VALU_DEP_2)
	v_and_or_b32 v10, 0x7f00, v1, 0.5
	v_bfe_i32 v1, v1, 0, 16
	v_dual_add_f32 v10, -0.5, v10 :: v_dual_lshrrev_b32 v8, 4, v3
	v_cmp_gt_u32_e32 vcc_lo, 0x8000000, v3
	s_delay_alu instid0(VALU_DEP_2) | instskip(NEXT) | instid1(VALU_DEP_1)
	v_or_b32_e32 v8, 0x70000000, v8
	v_mul_f32_e32 v8, 0x7800000, v8
	s_delay_alu instid0(VALU_DEP_1) | instskip(NEXT) | instid1(VALU_DEP_1)
	v_cndmask_b32_e32 v3, v8, v10, vcc_lo
	v_and_or_b32 v8, 0x80000000, v1, v3
.LBB33_1865:
	s_mov_b32 s17, 0
	s_mov_b32 s18, -1
.LBB33_1866:
	s_and_not1_b32 vcc_lo, exec_lo, s17
	s_mov_b32 s17, 0
	s_cbranch_vccnz .LBB33_1877
; %bb.1867:
	s_cmp_gt_i32 s13, 14
	s_cbranch_scc0 .LBB33_1870
; %bb.1868:
	s_cmp_eq_u32 s13, 15
	s_cbranch_scc0 .LBB33_1873
; %bb.1869:
	global_load_u16 v1, v[4:5], off
	s_mov_b32 s16, 0
	s_mov_b32 s18, -1
	s_wait_loadcnt 0x0
	v_lshlrev_b32_e32 v8, 16, v1
	s_branch .LBB33_1875
.LBB33_1870:
	s_mov_b32 s17, -1
	s_branch .LBB33_1874
.LBB33_1871:
	s_or_saveexec_b32 s18, s18
	v_mov_b32_e32 v8, 0x7f800001
	s_xor_b32 exec_lo, exec_lo, s18
	s_cbranch_execz .LBB33_1852
.LBB33_1872:
	v_cmp_ne_u16_e32 vcc_lo, 0, v1
	v_mov_b32_e32 v8, 0
	s_and_not1_b32 s17, s17, exec_lo
	s_and_b32 s19, vcc_lo, exec_lo
	s_delay_alu instid0(SALU_CYCLE_1)
	s_or_b32 s17, s17, s19
	s_or_b32 exec_lo, exec_lo, s18
	s_and_saveexec_b32 s18, s17
	s_cbranch_execnz .LBB33_1853
	s_branch .LBB33_1854
.LBB33_1873:
	s_mov_b32 s16, -1
.LBB33_1874:
                                        ; implicit-def: $vgpr8
.LBB33_1875:
	s_and_b32 vcc_lo, exec_lo, s17
	s_mov_b32 s17, 0
	s_cbranch_vccz .LBB33_1877
; %bb.1876:
	s_cmp_lg_u32 s13, 11
	s_mov_b32 s17, -1
	s_cselect_b32 s16, -1, 0
.LBB33_1877:
	s_delay_alu instid0(SALU_CYCLE_1)
	s_and_b32 vcc_lo, exec_lo, s16
	s_cbranch_vccnz .LBB33_1940
; %bb.1878:
	s_and_not1_b32 vcc_lo, exec_lo, s17
	s_cbranch_vccnz .LBB33_1880
.LBB33_1879:
	global_load_u8 v1, v[4:5], off
	s_mov_b32 s18, -1
	s_wait_loadcnt 0x0
	v_cmp_ne_u16_e32 vcc_lo, 0, v1
	v_cndmask_b32_e64 v8, 0, 1.0, vcc_lo
.LBB33_1880:
	s_branch .LBB33_1807
.LBB33_1881:
	s_and_b32 s13, 0xffff, s0
	s_delay_alu instid0(SALU_CYCLE_1)
	s_cmp_lt_i32 s13, 5
	s_cbranch_scc1 .LBB33_1886
; %bb.1882:
	s_cmp_lt_i32 s13, 8
	s_cbranch_scc1 .LBB33_1887
; %bb.1883:
	;; [unrolled: 3-line block ×3, first 2 shown]
	s_cmp_gt_i32 s13, 9
	s_cbranch_scc0 .LBB33_1889
; %bb.1885:
	global_load_b64 v[10:11], v[4:5], off
	s_mov_b32 s16, 0
	s_wait_loadcnt 0x0
	v_cvt_f32_f64_e32 v8, v[10:11]
	s_branch .LBB33_1890
.LBB33_1886:
	s_mov_b32 s16, -1
                                        ; implicit-def: $vgpr8
	s_branch .LBB33_1908
.LBB33_1887:
	s_mov_b32 s16, -1
                                        ; implicit-def: $vgpr8
	s_branch .LBB33_1896
.LBB33_1888:
	s_mov_b32 s16, -1
                                        ; implicit-def: $vgpr8
	s_branch .LBB33_1893
.LBB33_1889:
	s_mov_b32 s16, -1
                                        ; implicit-def: $vgpr8
.LBB33_1890:
	s_delay_alu instid0(SALU_CYCLE_1)
	s_and_not1_b32 vcc_lo, exec_lo, s16
	s_cbranch_vccnz .LBB33_1892
; %bb.1891:
	global_load_b32 v8, v[4:5], off
.LBB33_1892:
	s_mov_b32 s16, 0
.LBB33_1893:
	s_delay_alu instid0(SALU_CYCLE_1)
	s_and_not1_b32 vcc_lo, exec_lo, s16
	s_cbranch_vccnz .LBB33_1895
; %bb.1894:
	global_load_b32 v1, v[4:5], off
	s_wait_loadcnt 0x0
	v_cvt_f32_f16_e32 v8, v1
.LBB33_1895:
	s_mov_b32 s16, 0
.LBB33_1896:
	s_delay_alu instid0(SALU_CYCLE_1)
	s_and_not1_b32 vcc_lo, exec_lo, s16
	s_cbranch_vccnz .LBB33_1907
; %bb.1897:
	s_cmp_lt_i32 s13, 6
	s_cbranch_scc1 .LBB33_1900
; %bb.1898:
	s_cmp_gt_i32 s13, 6
	s_cbranch_scc0 .LBB33_1901
; %bb.1899:
	global_load_b64 v[10:11], v[4:5], off
	s_mov_b32 s16, 0
	s_wait_loadcnt 0x0
	v_cvt_f32_f64_e32 v8, v[10:11]
	s_branch .LBB33_1902
.LBB33_1900:
	s_mov_b32 s16, -1
                                        ; implicit-def: $vgpr8
	s_branch .LBB33_1905
.LBB33_1901:
	s_mov_b32 s16, -1
                                        ; implicit-def: $vgpr8
.LBB33_1902:
	s_delay_alu instid0(SALU_CYCLE_1)
	s_and_not1_b32 vcc_lo, exec_lo, s16
	s_cbranch_vccnz .LBB33_1904
; %bb.1903:
	s_wait_loadcnt 0x0
	global_load_b32 v8, v[4:5], off
.LBB33_1904:
	s_mov_b32 s16, 0
.LBB33_1905:
	s_delay_alu instid0(SALU_CYCLE_1)
	s_and_not1_b32 vcc_lo, exec_lo, s16
	s_cbranch_vccnz .LBB33_1907
; %bb.1906:
	global_load_u16 v1, v[4:5], off
	s_wait_loadcnt 0x0
	v_cvt_f32_f16_e32 v8, v1
.LBB33_1907:
	s_mov_b32 s16, 0
.LBB33_1908:
	s_delay_alu instid0(SALU_CYCLE_1)
	s_and_not1_b32 vcc_lo, exec_lo, s16
	s_cbranch_vccnz .LBB33_1928
; %bb.1909:
	s_cmp_lt_i32 s13, 2
	s_cbranch_scc1 .LBB33_1913
; %bb.1910:
	s_cmp_lt_i32 s13, 3
	s_cbranch_scc1 .LBB33_1914
; %bb.1911:
	s_cmp_gt_i32 s13, 3
	s_cbranch_scc0 .LBB33_1915
; %bb.1912:
	global_load_b64 v[10:11], v[4:5], off
	s_mov_b32 s16, 0
	s_wait_loadcnt 0x0
	v_xor_b32_e32 v1, v10, v11
	v_cls_i32_e32 v3, v11
	s_delay_alu instid0(VALU_DEP_2) | instskip(NEXT) | instid1(VALU_DEP_1)
	v_ashrrev_i32_e32 v1, 31, v1
	v_add_nc_u32_e32 v1, 32, v1
	s_delay_alu instid0(VALU_DEP_1) | instskip(NEXT) | instid1(VALU_DEP_1)
	v_add_min_u32_e64 v1, v3, -1, v1
	v_lshlrev_b64_e32 v[10:11], v1, v[10:11]
	v_sub_nc_u32_e32 v1, 32, v1
	s_delay_alu instid0(VALU_DEP_2) | instskip(NEXT) | instid1(VALU_DEP_1)
	v_min_u32_e32 v3, 1, v10
	v_or_b32_e32 v3, v11, v3
	s_delay_alu instid0(VALU_DEP_1) | instskip(NEXT) | instid1(VALU_DEP_1)
	v_cvt_f32_i32_e32 v3, v3
	v_ldexp_f32 v8, v3, v1
	s_branch .LBB33_1916
.LBB33_1913:
	s_mov_b32 s16, -1
                                        ; implicit-def: $vgpr8
	s_branch .LBB33_1922
.LBB33_1914:
	s_mov_b32 s16, -1
                                        ; implicit-def: $vgpr8
	s_branch .LBB33_1919
.LBB33_1915:
	s_mov_b32 s16, -1
                                        ; implicit-def: $vgpr8
.LBB33_1916:
	s_delay_alu instid0(SALU_CYCLE_1)
	s_and_not1_b32 vcc_lo, exec_lo, s16
	s_cbranch_vccnz .LBB33_1918
; %bb.1917:
	global_load_b32 v1, v[4:5], off
	s_wait_loadcnt 0x0
	v_cvt_f32_i32_e32 v8, v1
.LBB33_1918:
	s_mov_b32 s16, 0
.LBB33_1919:
	s_delay_alu instid0(SALU_CYCLE_1)
	s_and_not1_b32 vcc_lo, exec_lo, s16
	s_cbranch_vccnz .LBB33_1921
; %bb.1920:
	global_load_i16 v1, v[4:5], off
	s_wait_loadcnt 0x0
	v_cvt_f32_i32_e32 v8, v1
.LBB33_1921:
	s_mov_b32 s16, 0
.LBB33_1922:
	s_delay_alu instid0(SALU_CYCLE_1)
	s_and_not1_b32 vcc_lo, exec_lo, s16
	s_cbranch_vccnz .LBB33_1928
; %bb.1923:
	s_cmp_gt_i32 s13, 0
	s_mov_b32 s13, 0
	s_cbranch_scc0 .LBB33_1925
; %bb.1924:
	global_load_i8 v1, v[4:5], off
	s_wait_loadcnt 0x0
	v_cvt_f32_i32_e32 v8, v1
	s_branch .LBB33_1926
.LBB33_1925:
	s_mov_b32 s13, -1
                                        ; implicit-def: $vgpr8
.LBB33_1926:
	s_delay_alu instid0(SALU_CYCLE_1)
	s_and_not1_b32 vcc_lo, exec_lo, s13
	s_cbranch_vccnz .LBB33_1928
; %bb.1927:
	global_load_u8 v1, v[4:5], off
	s_wait_loadcnt 0x0
	v_cvt_f32_ubyte0_e32 v8, v1
.LBB33_1928:
.LBB33_1929:
	s_lshl_b32 s10, s10, 7
	s_cmp_lt_i32 s1, 11
	v_add_nc_u32_e32 v2, s10, v2
	s_delay_alu instid0(VALU_DEP_1) | instskip(SKIP_1) | instid1(VALU_DEP_1)
	v_ashrrev_i32_e32 v3, 31, v2
	s_wait_xcnt 0x0
	v_add_nc_u64_e32 v[4:5], s[2:3], v[2:3]
	s_cbranch_scc1 .LBB33_1936
; %bb.1930:
	s_and_b32 s13, 0xffff, s1
	s_mov_b32 s17, 0
	s_cmp_gt_i32 s13, 25
	s_cbranch_scc0 .LBB33_1937
; %bb.1931:
	s_cmp_gt_i32 s13, 28
	s_cbranch_scc0 .LBB33_1938
; %bb.1932:
	;; [unrolled: 3-line block ×4, first 2 shown]
	s_cmp_eq_u32 s13, 46
	s_mov_b32 s19, 0
	s_cbranch_scc0 .LBB33_1942
; %bb.1935:
	global_load_b32 v1, v[4:5], off
	s_mov_b32 s16, 0
	s_mov_b32 s18, -1
	s_wait_loadcnt 0x0
	v_lshlrev_b32_e32 v11, 16, v1
	s_branch .LBB33_1944
.LBB33_1936:
	s_mov_b32 s13, -1
	s_mov_b32 s18, 0
                                        ; implicit-def: $vgpr11
	s_branch .LBB33_2010
.LBB33_1937:
	s_mov_b32 s19, -1
	s_mov_b32 s18, 0
	s_mov_b32 s16, 0
                                        ; implicit-def: $vgpr11
	s_branch .LBB33_1973
.LBB33_1938:
	s_mov_b32 s19, -1
	s_mov_b32 s18, 0
	s_mov_b32 s16, 0
                                        ; implicit-def: $vgpr11
	s_branch .LBB33_1954
.LBB33_1939:
	s_mov_b32 s19, -1
	s_mov_b32 s18, 0
	s_mov_b32 s16, 0
                                        ; implicit-def: $vgpr11
	s_branch .LBB33_1949
.LBB33_1940:
	s_or_b32 s12, s12, exec_lo
	s_trap 2
	s_cbranch_execz .LBB33_1879
	s_branch .LBB33_1880
.LBB33_1941:
	s_mov_b32 s19, -1
	s_mov_b32 s18, 0
	s_mov_b32 s16, 0
	s_branch .LBB33_1943
.LBB33_1942:
	s_mov_b32 s16, -1
	s_mov_b32 s18, 0
.LBB33_1943:
                                        ; implicit-def: $vgpr11
.LBB33_1944:
	s_and_b32 vcc_lo, exec_lo, s19
	s_cbranch_vccz .LBB33_1948
; %bb.1945:
	s_cmp_eq_u32 s13, 44
	s_cbranch_scc0 .LBB33_1947
; %bb.1946:
	global_load_u8 v1, v[4:5], off
	s_mov_b32 s16, 0
	s_mov_b32 s18, -1
	s_wait_loadcnt 0x0
	v_lshlrev_b32_e32 v3, 23, v1
	v_cmp_ne_u32_e32 vcc_lo, 0xff, v1
	s_delay_alu instid0(VALU_DEP_2) | instskip(SKIP_1) | instid1(VALU_DEP_2)
	v_cndmask_b32_e32 v3, 0x7f800001, v3, vcc_lo
	v_cmp_ne_u32_e32 vcc_lo, 0, v1
	v_cndmask_b32_e32 v11, 0x400000, v3, vcc_lo
	s_branch .LBB33_1948
.LBB33_1947:
	s_mov_b32 s16, -1
                                        ; implicit-def: $vgpr11
.LBB33_1948:
	s_mov_b32 s19, 0
.LBB33_1949:
	s_delay_alu instid0(SALU_CYCLE_1)
	s_and_b32 vcc_lo, exec_lo, s19
	s_cbranch_vccz .LBB33_1953
; %bb.1950:
	s_cmp_eq_u32 s13, 29
	s_cbranch_scc0 .LBB33_1952
; %bb.1951:
	global_load_b64 v[10:11], v[4:5], off
	s_mov_b32 s16, 0
	s_mov_b32 s18, -1
	s_mov_b32 s19, 0
	s_wait_loadcnt 0x0
	v_clz_i32_u32_e32 v1, v11
	s_delay_alu instid0(VALU_DEP_1) | instskip(NEXT) | instid1(VALU_DEP_1)
	v_min_u32_e32 v1, 32, v1
	v_lshlrev_b64_e32 v[10:11], v1, v[10:11]
	v_sub_nc_u32_e32 v1, 32, v1
	s_delay_alu instid0(VALU_DEP_2) | instskip(NEXT) | instid1(VALU_DEP_1)
	v_min_u32_e32 v3, 1, v10
	v_or_b32_e32 v3, v11, v3
	s_delay_alu instid0(VALU_DEP_1) | instskip(NEXT) | instid1(VALU_DEP_1)
	v_cvt_f32_u32_e32 v3, v3
	v_ldexp_f32 v11, v3, v1
	s_branch .LBB33_1954
.LBB33_1952:
	s_mov_b32 s16, -1
                                        ; implicit-def: $vgpr11
.LBB33_1953:
	s_mov_b32 s19, 0
.LBB33_1954:
	s_delay_alu instid0(SALU_CYCLE_1)
	s_and_b32 vcc_lo, exec_lo, s19
	s_cbranch_vccz .LBB33_1972
; %bb.1955:
	s_cmp_lt_i32 s13, 27
	s_cbranch_scc1 .LBB33_1958
; %bb.1956:
	s_cmp_gt_i32 s13, 27
	s_cbranch_scc0 .LBB33_1959
; %bb.1957:
	global_load_b32 v1, v[4:5], off
	s_mov_b32 s18, 0
	s_wait_loadcnt 0x0
	v_cvt_f32_u32_e32 v11, v1
	s_branch .LBB33_1960
.LBB33_1958:
	s_mov_b32 s18, -1
                                        ; implicit-def: $vgpr11
	s_branch .LBB33_1963
.LBB33_1959:
	s_mov_b32 s18, -1
                                        ; implicit-def: $vgpr11
.LBB33_1960:
	s_delay_alu instid0(SALU_CYCLE_1)
	s_and_not1_b32 vcc_lo, exec_lo, s18
	s_cbranch_vccnz .LBB33_1962
; %bb.1961:
	global_load_u16 v1, v[4:5], off
	s_wait_loadcnt 0x0
	v_cvt_f32_u32_e32 v11, v1
.LBB33_1962:
	s_mov_b32 s18, 0
.LBB33_1963:
	s_delay_alu instid0(SALU_CYCLE_1)
	s_and_not1_b32 vcc_lo, exec_lo, s18
	s_cbranch_vccnz .LBB33_1971
; %bb.1964:
	global_load_u8 v1, v[4:5], off
	s_mov_b32 s18, 0
	s_mov_b32 s19, exec_lo
	s_wait_loadcnt 0x0
	v_cmpx_lt_i16_e32 0x7f, v1
	s_xor_b32 s19, exec_lo, s19
	s_cbranch_execz .LBB33_1985
; %bb.1965:
	s_mov_b32 s18, -1
	s_mov_b32 s20, exec_lo
	v_cmpx_eq_u16_e32 0x80, v1
; %bb.1966:
	s_xor_b32 s18, exec_lo, -1
; %bb.1967:
	s_or_b32 exec_lo, exec_lo, s20
	s_delay_alu instid0(SALU_CYCLE_1)
	s_and_b32 s18, s18, exec_lo
	s_or_saveexec_b32 s19, s19
	v_mov_b32_e32 v11, 0x7f800001
	s_xor_b32 exec_lo, exec_lo, s19
	s_cbranch_execnz .LBB33_1986
.LBB33_1968:
	s_or_b32 exec_lo, exec_lo, s19
	s_and_saveexec_b32 s19, s18
	s_cbranch_execz .LBB33_1970
.LBB33_1969:
	v_and_b32_e32 v3, 0xffff, v1
	s_delay_alu instid0(VALU_DEP_1) | instskip(SKIP_1) | instid1(VALU_DEP_2)
	v_dual_lshlrev_b32 v1, 24, v1 :: v_dual_bitop2_b32 v10, 7, v3 bitop3:0x40
	v_bfe_u32 v13, v3, 3, 4
	v_and_b32_e32 v1, 0x80000000, v1
	s_delay_alu instid0(VALU_DEP_3) | instskip(NEXT) | instid1(VALU_DEP_3)
	v_clz_i32_u32_e32 v11, v10
	v_cmp_eq_u32_e32 vcc_lo, 0, v13
	s_delay_alu instid0(VALU_DEP_2) | instskip(NEXT) | instid1(VALU_DEP_1)
	v_min_u32_e32 v11, 32, v11
	v_subrev_nc_u32_e32 v12, 28, v11
	v_sub_nc_u32_e32 v11, 29, v11
	s_delay_alu instid0(VALU_DEP_2) | instskip(NEXT) | instid1(VALU_DEP_2)
	v_lshlrev_b32_e32 v3, v12, v3
	v_cndmask_b32_e32 v11, v13, v11, vcc_lo
	s_delay_alu instid0(VALU_DEP_2) | instskip(NEXT) | instid1(VALU_DEP_1)
	v_and_b32_e32 v3, 7, v3
	v_cndmask_b32_e32 v3, v10, v3, vcc_lo
	s_delay_alu instid0(VALU_DEP_3) | instskip(NEXT) | instid1(VALU_DEP_2)
	v_lshl_add_u32 v10, v11, 23, 0x3b800000
	v_lshlrev_b32_e32 v3, 20, v3
	s_delay_alu instid0(VALU_DEP_1)
	v_or3_b32 v11, v1, v10, v3
.LBB33_1970:
	s_or_b32 exec_lo, exec_lo, s19
.LBB33_1971:
	s_mov_b32 s18, -1
.LBB33_1972:
	s_mov_b32 s19, 0
.LBB33_1973:
	s_delay_alu instid0(SALU_CYCLE_1)
	s_and_b32 vcc_lo, exec_lo, s19
	s_cbranch_vccz .LBB33_2006
; %bb.1974:
	s_cmp_gt_i32 s13, 22
	s_cbranch_scc0 .LBB33_1984
; %bb.1975:
	s_cmp_lt_i32 s13, 24
	s_cbranch_scc1 .LBB33_1987
; %bb.1976:
	s_cmp_gt_i32 s13, 24
	s_cbranch_scc0 .LBB33_1988
; %bb.1977:
	global_load_u8 v1, v[4:5], off
	s_mov_b32 s18, exec_lo
	s_wait_loadcnt 0x0
	v_cmpx_lt_i16_e32 0x7f, v1
	s_xor_b32 s18, exec_lo, s18
	s_cbranch_execz .LBB33_2000
; %bb.1978:
	s_mov_b32 s17, -1
	s_mov_b32 s19, exec_lo
	v_cmpx_eq_u16_e32 0x80, v1
; %bb.1979:
	s_xor_b32 s17, exec_lo, -1
; %bb.1980:
	s_or_b32 exec_lo, exec_lo, s19
	s_delay_alu instid0(SALU_CYCLE_1)
	s_and_b32 s17, s17, exec_lo
	s_or_saveexec_b32 s18, s18
	v_mov_b32_e32 v11, 0x7f800001
	s_xor_b32 exec_lo, exec_lo, s18
	s_cbranch_execnz .LBB33_2001
.LBB33_1981:
	s_or_b32 exec_lo, exec_lo, s18
	s_and_saveexec_b32 s18, s17
	s_cbranch_execz .LBB33_1983
.LBB33_1982:
	v_and_b32_e32 v3, 0xffff, v1
	s_delay_alu instid0(VALU_DEP_1) | instskip(SKIP_1) | instid1(VALU_DEP_2)
	v_dual_lshlrev_b32 v1, 24, v1 :: v_dual_bitop2_b32 v10, 3, v3 bitop3:0x40
	v_bfe_u32 v13, v3, 2, 5
	v_and_b32_e32 v1, 0x80000000, v1
	s_delay_alu instid0(VALU_DEP_3) | instskip(NEXT) | instid1(VALU_DEP_3)
	v_clz_i32_u32_e32 v11, v10
	v_cmp_eq_u32_e32 vcc_lo, 0, v13
	s_delay_alu instid0(VALU_DEP_2) | instskip(NEXT) | instid1(VALU_DEP_1)
	v_min_u32_e32 v11, 32, v11
	v_subrev_nc_u32_e32 v12, 29, v11
	v_sub_nc_u32_e32 v11, 30, v11
	s_delay_alu instid0(VALU_DEP_2) | instskip(NEXT) | instid1(VALU_DEP_2)
	v_lshlrev_b32_e32 v3, v12, v3
	v_cndmask_b32_e32 v11, v13, v11, vcc_lo
	s_delay_alu instid0(VALU_DEP_2) | instskip(NEXT) | instid1(VALU_DEP_1)
	v_and_b32_e32 v3, 3, v3
	v_cndmask_b32_e32 v3, v10, v3, vcc_lo
	s_delay_alu instid0(VALU_DEP_3) | instskip(NEXT) | instid1(VALU_DEP_2)
	v_lshl_add_u32 v10, v11, 23, 0x37800000
	v_lshlrev_b32_e32 v3, 21, v3
	s_delay_alu instid0(VALU_DEP_1)
	v_or3_b32 v11, v1, v10, v3
.LBB33_1983:
	s_or_b32 exec_lo, exec_lo, s18
	s_mov_b32 s17, 0
	s_branch .LBB33_1989
.LBB33_1984:
	s_mov_b32 s17, -1
                                        ; implicit-def: $vgpr11
	s_branch .LBB33_1995
.LBB33_1985:
	s_or_saveexec_b32 s19, s19
	v_mov_b32_e32 v11, 0x7f800001
	s_xor_b32 exec_lo, exec_lo, s19
	s_cbranch_execz .LBB33_1968
.LBB33_1986:
	v_cmp_ne_u16_e32 vcc_lo, 0, v1
	v_mov_b32_e32 v11, 0
	s_and_not1_b32 s18, s18, exec_lo
	s_and_b32 s20, vcc_lo, exec_lo
	s_delay_alu instid0(SALU_CYCLE_1)
	s_or_b32 s18, s18, s20
	s_or_b32 exec_lo, exec_lo, s19
	s_and_saveexec_b32 s19, s18
	s_cbranch_execnz .LBB33_1969
	s_branch .LBB33_1970
.LBB33_1987:
	s_mov_b32 s17, -1
                                        ; implicit-def: $vgpr11
	s_branch .LBB33_1992
.LBB33_1988:
	s_mov_b32 s17, -1
                                        ; implicit-def: $vgpr11
.LBB33_1989:
	s_delay_alu instid0(SALU_CYCLE_1)
	s_and_b32 vcc_lo, exec_lo, s17
	s_cbranch_vccz .LBB33_1991
; %bb.1990:
	global_load_u8 v1, v[4:5], off
	s_wait_loadcnt 0x0
	v_lshlrev_b32_e32 v1, 24, v1
	s_delay_alu instid0(VALU_DEP_1) | instskip(NEXT) | instid1(VALU_DEP_1)
	v_and_b32_e32 v3, 0x7f000000, v1
	v_clz_i32_u32_e32 v10, v3
	v_cmp_ne_u32_e32 vcc_lo, 0, v3
	v_add_nc_u32_e32 v12, 0x1000000, v3
	s_delay_alu instid0(VALU_DEP_3) | instskip(NEXT) | instid1(VALU_DEP_1)
	v_min_u32_e32 v10, 32, v10
	v_sub_nc_u32_e64 v10, v10, 4 clamp
	s_delay_alu instid0(VALU_DEP_1) | instskip(NEXT) | instid1(VALU_DEP_1)
	v_dual_lshlrev_b32 v11, v10, v3 :: v_dual_lshlrev_b32 v10, 23, v10
	v_lshrrev_b32_e32 v11, 4, v11
	s_delay_alu instid0(VALU_DEP_1) | instskip(NEXT) | instid1(VALU_DEP_1)
	v_dual_sub_nc_u32 v10, v11, v10 :: v_dual_ashrrev_i32 v11, 8, v12
	v_add_nc_u32_e32 v10, 0x3c000000, v10
	s_delay_alu instid0(VALU_DEP_1) | instskip(NEXT) | instid1(VALU_DEP_1)
	v_and_or_b32 v10, 0x7f800000, v11, v10
	v_cndmask_b32_e32 v3, 0, v10, vcc_lo
	s_delay_alu instid0(VALU_DEP_1)
	v_and_or_b32 v11, 0x80000000, v1, v3
.LBB33_1991:
	s_mov_b32 s17, 0
.LBB33_1992:
	s_delay_alu instid0(SALU_CYCLE_1)
	s_and_not1_b32 vcc_lo, exec_lo, s17
	s_cbranch_vccnz .LBB33_1994
; %bb.1993:
	global_load_u8 v1, v[4:5], off
	s_wait_loadcnt 0x0
	v_lshlrev_b32_e32 v3, 25, v1
	v_lshlrev_b16 v1, 8, v1
	s_delay_alu instid0(VALU_DEP_1) | instskip(SKIP_1) | instid1(VALU_DEP_2)
	v_and_or_b32 v11, 0x7f00, v1, 0.5
	v_bfe_i32 v1, v1, 0, 16
	v_add_f32_e32 v11, -0.5, v11
	v_lshrrev_b32_e32 v10, 4, v3
	v_cmp_gt_u32_e32 vcc_lo, 0x8000000, v3
	s_delay_alu instid0(VALU_DEP_2) | instskip(NEXT) | instid1(VALU_DEP_1)
	v_or_b32_e32 v10, 0x70000000, v10
	v_mul_f32_e32 v10, 0x7800000, v10
	s_delay_alu instid0(VALU_DEP_1) | instskip(NEXT) | instid1(VALU_DEP_1)
	v_cndmask_b32_e32 v3, v10, v11, vcc_lo
	v_and_or_b32 v11, 0x80000000, v1, v3
.LBB33_1994:
	s_mov_b32 s17, 0
	s_mov_b32 s18, -1
.LBB33_1995:
	s_and_not1_b32 vcc_lo, exec_lo, s17
	s_mov_b32 s17, 0
	s_cbranch_vccnz .LBB33_2006
; %bb.1996:
	s_cmp_gt_i32 s13, 14
	s_cbranch_scc0 .LBB33_1999
; %bb.1997:
	s_cmp_eq_u32 s13, 15
	s_cbranch_scc0 .LBB33_2002
; %bb.1998:
	global_load_u16 v1, v[4:5], off
	s_mov_b32 s16, 0
	s_mov_b32 s18, -1
	s_wait_loadcnt 0x0
	v_lshlrev_b32_e32 v11, 16, v1
	s_branch .LBB33_2004
.LBB33_1999:
	s_mov_b32 s17, -1
	s_branch .LBB33_2003
.LBB33_2000:
	s_or_saveexec_b32 s18, s18
	v_mov_b32_e32 v11, 0x7f800001
	s_xor_b32 exec_lo, exec_lo, s18
	s_cbranch_execz .LBB33_1981
.LBB33_2001:
	v_cmp_ne_u16_e32 vcc_lo, 0, v1
	v_mov_b32_e32 v11, 0
	s_and_not1_b32 s17, s17, exec_lo
	s_and_b32 s19, vcc_lo, exec_lo
	s_delay_alu instid0(SALU_CYCLE_1)
	s_or_b32 s17, s17, s19
	s_or_b32 exec_lo, exec_lo, s18
	s_and_saveexec_b32 s18, s17
	s_cbranch_execnz .LBB33_1982
	s_branch .LBB33_1983
.LBB33_2002:
	s_mov_b32 s16, -1
.LBB33_2003:
                                        ; implicit-def: $vgpr11
.LBB33_2004:
	s_and_b32 vcc_lo, exec_lo, s17
	s_mov_b32 s17, 0
	s_cbranch_vccz .LBB33_2006
; %bb.2005:
	s_cmp_lg_u32 s13, 11
	s_mov_b32 s17, -1
	s_cselect_b32 s16, -1, 0
.LBB33_2006:
	s_delay_alu instid0(SALU_CYCLE_1)
	s_and_b32 vcc_lo, exec_lo, s16
	s_cbranch_vccnz .LBB33_2071
; %bb.2007:
	s_and_not1_b32 vcc_lo, exec_lo, s17
	s_cbranch_vccnz .LBB33_2009
.LBB33_2008:
	global_load_u8 v1, v[4:5], off
	s_mov_b32 s18, -1
	s_wait_loadcnt 0x0
	v_cmp_ne_u16_e32 vcc_lo, 0, v1
	v_cndmask_b32_e64 v11, 0, 1.0, vcc_lo
.LBB33_2009:
	s_mov_b32 s13, 0
.LBB33_2010:
	s_delay_alu instid0(SALU_CYCLE_1)
	s_and_b32 vcc_lo, exec_lo, s13
	s_cbranch_vccz .LBB33_2059
; %bb.2011:
	s_and_b32 s13, 0xffff, s1
	s_delay_alu instid0(SALU_CYCLE_1)
	s_cmp_lt_i32 s13, 5
	s_cbranch_scc1 .LBB33_2016
; %bb.2012:
	s_cmp_lt_i32 s13, 8
	s_cbranch_scc1 .LBB33_2017
; %bb.2013:
	;; [unrolled: 3-line block ×3, first 2 shown]
	s_cmp_gt_i32 s13, 9
	s_cbranch_scc0 .LBB33_2019
; %bb.2015:
	global_load_b64 v[10:11], v[4:5], off
	s_mov_b32 s16, 0
	s_wait_loadcnt 0x0
	v_cvt_f32_f64_e32 v11, v[10:11]
	s_branch .LBB33_2020
.LBB33_2016:
	s_mov_b32 s16, -1
                                        ; implicit-def: $vgpr11
	s_branch .LBB33_2038
.LBB33_2017:
	s_mov_b32 s16, -1
                                        ; implicit-def: $vgpr11
	s_branch .LBB33_2026
.LBB33_2018:
	s_mov_b32 s16, -1
                                        ; implicit-def: $vgpr11
	s_branch .LBB33_2023
.LBB33_2019:
	s_mov_b32 s16, -1
                                        ; implicit-def: $vgpr11
.LBB33_2020:
	s_delay_alu instid0(SALU_CYCLE_1)
	s_and_not1_b32 vcc_lo, exec_lo, s16
	s_cbranch_vccnz .LBB33_2022
; %bb.2021:
	global_load_b32 v11, v[4:5], off
.LBB33_2022:
	s_mov_b32 s16, 0
.LBB33_2023:
	s_delay_alu instid0(SALU_CYCLE_1)
	s_and_not1_b32 vcc_lo, exec_lo, s16
	s_cbranch_vccnz .LBB33_2025
; %bb.2024:
	global_load_b32 v1, v[4:5], off
	s_wait_loadcnt 0x0
	v_cvt_f32_f16_e32 v11, v1
.LBB33_2025:
	s_mov_b32 s16, 0
.LBB33_2026:
	s_delay_alu instid0(SALU_CYCLE_1)
	s_and_not1_b32 vcc_lo, exec_lo, s16
	s_cbranch_vccnz .LBB33_2037
; %bb.2027:
	s_cmp_lt_i32 s13, 6
	s_cbranch_scc1 .LBB33_2030
; %bb.2028:
	s_cmp_gt_i32 s13, 6
	s_cbranch_scc0 .LBB33_2031
; %bb.2029:
	s_wait_loadcnt 0x0
	global_load_b64 v[10:11], v[4:5], off
	s_mov_b32 s16, 0
	s_wait_loadcnt 0x0
	v_cvt_f32_f64_e32 v11, v[10:11]
	s_branch .LBB33_2032
.LBB33_2030:
	s_mov_b32 s16, -1
                                        ; implicit-def: $vgpr11
	s_branch .LBB33_2035
.LBB33_2031:
	s_mov_b32 s16, -1
                                        ; implicit-def: $vgpr11
.LBB33_2032:
	s_delay_alu instid0(SALU_CYCLE_1)
	s_and_not1_b32 vcc_lo, exec_lo, s16
	s_cbranch_vccnz .LBB33_2034
; %bb.2033:
	s_wait_loadcnt 0x0
	global_load_b32 v11, v[4:5], off
.LBB33_2034:
	s_mov_b32 s16, 0
.LBB33_2035:
	s_delay_alu instid0(SALU_CYCLE_1)
	s_and_not1_b32 vcc_lo, exec_lo, s16
	s_cbranch_vccnz .LBB33_2037
; %bb.2036:
	global_load_u16 v1, v[4:5], off
	s_wait_loadcnt 0x0
	v_cvt_f32_f16_e32 v11, v1
.LBB33_2037:
	s_mov_b32 s16, 0
.LBB33_2038:
	s_delay_alu instid0(SALU_CYCLE_1)
	s_and_not1_b32 vcc_lo, exec_lo, s16
	s_cbranch_vccnz .LBB33_2058
; %bb.2039:
	s_cmp_lt_i32 s13, 2
	s_cbranch_scc1 .LBB33_2043
; %bb.2040:
	s_cmp_lt_i32 s13, 3
	s_cbranch_scc1 .LBB33_2044
; %bb.2041:
	s_cmp_gt_i32 s13, 3
	s_cbranch_scc0 .LBB33_2045
; %bb.2042:
	s_wait_loadcnt 0x0
	global_load_b64 v[10:11], v[4:5], off
	s_mov_b32 s16, 0
	s_wait_loadcnt 0x0
	v_xor_b32_e32 v1, v10, v11
	v_cls_i32_e32 v3, v11
	s_delay_alu instid0(VALU_DEP_2) | instskip(NEXT) | instid1(VALU_DEP_1)
	v_ashrrev_i32_e32 v1, 31, v1
	v_add_nc_u32_e32 v1, 32, v1
	s_delay_alu instid0(VALU_DEP_1) | instskip(NEXT) | instid1(VALU_DEP_1)
	v_add_min_u32_e64 v1, v3, -1, v1
	v_lshlrev_b64_e32 v[10:11], v1, v[10:11]
	v_sub_nc_u32_e32 v1, 32, v1
	s_delay_alu instid0(VALU_DEP_2) | instskip(NEXT) | instid1(VALU_DEP_1)
	v_min_u32_e32 v3, 1, v10
	v_or_b32_e32 v3, v11, v3
	s_delay_alu instid0(VALU_DEP_1) | instskip(NEXT) | instid1(VALU_DEP_1)
	v_cvt_f32_i32_e32 v3, v3
	v_ldexp_f32 v11, v3, v1
	s_branch .LBB33_2046
.LBB33_2043:
	s_mov_b32 s16, -1
                                        ; implicit-def: $vgpr11
	s_branch .LBB33_2052
.LBB33_2044:
	s_mov_b32 s16, -1
                                        ; implicit-def: $vgpr11
	s_branch .LBB33_2049
.LBB33_2045:
	s_mov_b32 s16, -1
                                        ; implicit-def: $vgpr11
.LBB33_2046:
	s_delay_alu instid0(SALU_CYCLE_1)
	s_and_not1_b32 vcc_lo, exec_lo, s16
	s_cbranch_vccnz .LBB33_2048
; %bb.2047:
	global_load_b32 v1, v[4:5], off
	s_wait_loadcnt 0x0
	v_cvt_f32_i32_e32 v11, v1
.LBB33_2048:
	s_mov_b32 s16, 0
.LBB33_2049:
	s_delay_alu instid0(SALU_CYCLE_1)
	s_and_not1_b32 vcc_lo, exec_lo, s16
	s_cbranch_vccnz .LBB33_2051
; %bb.2050:
	global_load_i16 v1, v[4:5], off
	s_wait_loadcnt 0x0
	v_cvt_f32_i32_e32 v11, v1
.LBB33_2051:
	s_mov_b32 s16, 0
.LBB33_2052:
	s_delay_alu instid0(SALU_CYCLE_1)
	s_and_not1_b32 vcc_lo, exec_lo, s16
	s_cbranch_vccnz .LBB33_2058
; %bb.2053:
	s_cmp_gt_i32 s13, 0
	s_mov_b32 s13, 0
	s_cbranch_scc0 .LBB33_2055
; %bb.2054:
	global_load_i8 v1, v[4:5], off
	s_wait_loadcnt 0x0
	v_cvt_f32_i32_e32 v11, v1
	s_branch .LBB33_2056
.LBB33_2055:
	s_mov_b32 s13, -1
                                        ; implicit-def: $vgpr11
.LBB33_2056:
	s_delay_alu instid0(SALU_CYCLE_1)
	s_and_not1_b32 vcc_lo, exec_lo, s13
	s_cbranch_vccnz .LBB33_2058
; %bb.2057:
	global_load_u8 v1, v[4:5], off
	s_wait_loadcnt 0x0
	v_cvt_f32_ubyte0_e32 v11, v1
.LBB33_2058:
	s_mov_b32 s18, -1
.LBB33_2059:
	s_delay_alu instid0(SALU_CYCLE_1)
	s_and_not1_b32 vcc_lo, exec_lo, s18
	s_cbranch_vccnz .LBB33_3016
; %bb.2060:
	v_add_nc_u32_e32 v0, s9, v0
	s_cmp_lt_i32 s0, 11
	s_delay_alu instid0(VALU_DEP_1) | instskip(SKIP_1) | instid1(VALU_DEP_1)
	v_ashrrev_i32_e32 v1, 31, v0
	s_wait_xcnt 0x0
	v_add_nc_u64_e32 v[4:5], s[6:7], v[0:1]
	s_cbranch_scc1 .LBB33_2067
; %bb.2061:
	s_and_b32 s13, 0xffff, s0
	s_mov_b32 s17, 0
	s_cmp_gt_i32 s13, 25
	s_cbranch_scc0 .LBB33_2068
; %bb.2062:
	s_cmp_gt_i32 s13, 28
	s_cbranch_scc0 .LBB33_2069
; %bb.2063:
	;; [unrolled: 3-line block ×4, first 2 shown]
	s_cmp_eq_u32 s13, 46
	s_mov_b32 s19, 0
	s_cbranch_scc0 .LBB33_2073
; %bb.2066:
	global_load_b32 v1, v[4:5], off
	s_mov_b32 s16, 0
	s_mov_b32 s18, -1
	s_wait_loadcnt 0x0
	v_lshlrev_b32_e32 v10, 16, v1
	s_branch .LBB33_2075
.LBB33_2067:
	s_mov_b32 s13, -1
	s_mov_b32 s18, 0
                                        ; implicit-def: $vgpr10
	s_branch .LBB33_2141
.LBB33_2068:
	s_mov_b32 s19, -1
	s_mov_b32 s18, 0
	s_mov_b32 s16, 0
                                        ; implicit-def: $vgpr10
	s_branch .LBB33_2104
.LBB33_2069:
	s_mov_b32 s19, -1
	s_mov_b32 s18, 0
	s_mov_b32 s16, 0
                                        ; implicit-def: $vgpr10
	s_branch .LBB33_2085
.LBB33_2070:
	s_mov_b32 s19, -1
	s_mov_b32 s18, 0
	s_mov_b32 s16, 0
                                        ; implicit-def: $vgpr10
	s_branch .LBB33_2080
.LBB33_2071:
	s_or_b32 s12, s12, exec_lo
	s_trap 2
	s_cbranch_execz .LBB33_2008
	s_branch .LBB33_2009
.LBB33_2072:
	s_mov_b32 s19, -1
	s_mov_b32 s18, 0
	s_mov_b32 s16, 0
	s_branch .LBB33_2074
.LBB33_2073:
	s_mov_b32 s16, -1
	s_mov_b32 s18, 0
.LBB33_2074:
                                        ; implicit-def: $vgpr10
.LBB33_2075:
	s_and_b32 vcc_lo, exec_lo, s19
	s_cbranch_vccz .LBB33_2079
; %bb.2076:
	s_cmp_eq_u32 s13, 44
	s_cbranch_scc0 .LBB33_2078
; %bb.2077:
	global_load_u8 v1, v[4:5], off
	s_mov_b32 s16, 0
	s_mov_b32 s18, -1
	s_wait_loadcnt 0x0
	v_lshlrev_b32_e32 v3, 23, v1
	v_cmp_ne_u32_e32 vcc_lo, 0xff, v1
	s_delay_alu instid0(VALU_DEP_2) | instskip(SKIP_1) | instid1(VALU_DEP_2)
	v_cndmask_b32_e32 v3, 0x7f800001, v3, vcc_lo
	v_cmp_ne_u32_e32 vcc_lo, 0, v1
	v_cndmask_b32_e32 v10, 0x400000, v3, vcc_lo
	s_branch .LBB33_2079
.LBB33_2078:
	s_mov_b32 s16, -1
                                        ; implicit-def: $vgpr10
.LBB33_2079:
	s_mov_b32 s19, 0
.LBB33_2080:
	s_delay_alu instid0(SALU_CYCLE_1)
	s_and_b32 vcc_lo, exec_lo, s19
	s_cbranch_vccz .LBB33_2084
; %bb.2081:
	s_cmp_eq_u32 s13, 29
	s_cbranch_scc0 .LBB33_2083
; %bb.2082:
	global_load_b64 v[12:13], v[4:5], off
	s_mov_b32 s16, 0
	s_mov_b32 s18, -1
	s_mov_b32 s19, 0
	s_wait_loadcnt 0x0
	v_clz_i32_u32_e32 v1, v13
	s_delay_alu instid0(VALU_DEP_1) | instskip(NEXT) | instid1(VALU_DEP_1)
	v_min_u32_e32 v1, 32, v1
	v_lshlrev_b64_e32 v[12:13], v1, v[12:13]
	v_sub_nc_u32_e32 v1, 32, v1
	s_delay_alu instid0(VALU_DEP_2) | instskip(NEXT) | instid1(VALU_DEP_1)
	v_min_u32_e32 v3, 1, v12
	v_or_b32_e32 v3, v13, v3
	s_delay_alu instid0(VALU_DEP_1) | instskip(NEXT) | instid1(VALU_DEP_1)
	v_cvt_f32_u32_e32 v3, v3
	v_ldexp_f32 v10, v3, v1
	s_branch .LBB33_2085
.LBB33_2083:
	s_mov_b32 s16, -1
                                        ; implicit-def: $vgpr10
.LBB33_2084:
	s_mov_b32 s19, 0
.LBB33_2085:
	s_delay_alu instid0(SALU_CYCLE_1)
	s_and_b32 vcc_lo, exec_lo, s19
	s_cbranch_vccz .LBB33_2103
; %bb.2086:
	s_cmp_lt_i32 s13, 27
	s_cbranch_scc1 .LBB33_2089
; %bb.2087:
	s_cmp_gt_i32 s13, 27
	s_cbranch_scc0 .LBB33_2090
; %bb.2088:
	global_load_b32 v1, v[4:5], off
	s_mov_b32 s18, 0
	s_wait_loadcnt 0x0
	v_cvt_f32_u32_e32 v10, v1
	s_branch .LBB33_2091
.LBB33_2089:
	s_mov_b32 s18, -1
                                        ; implicit-def: $vgpr10
	s_branch .LBB33_2094
.LBB33_2090:
	s_mov_b32 s18, -1
                                        ; implicit-def: $vgpr10
.LBB33_2091:
	s_delay_alu instid0(SALU_CYCLE_1)
	s_and_not1_b32 vcc_lo, exec_lo, s18
	s_cbranch_vccnz .LBB33_2093
; %bb.2092:
	global_load_u16 v1, v[4:5], off
	s_wait_loadcnt 0x0
	v_cvt_f32_u32_e32 v10, v1
.LBB33_2093:
	s_mov_b32 s18, 0
.LBB33_2094:
	s_delay_alu instid0(SALU_CYCLE_1)
	s_and_not1_b32 vcc_lo, exec_lo, s18
	s_cbranch_vccnz .LBB33_2102
; %bb.2095:
	global_load_u8 v1, v[4:5], off
	s_mov_b32 s18, 0
	s_mov_b32 s19, exec_lo
	s_wait_loadcnt 0x0
	v_cmpx_lt_i16_e32 0x7f, v1
	s_xor_b32 s19, exec_lo, s19
	s_cbranch_execz .LBB33_2116
; %bb.2096:
	s_mov_b32 s18, -1
	s_mov_b32 s20, exec_lo
	v_cmpx_eq_u16_e32 0x80, v1
; %bb.2097:
	s_xor_b32 s18, exec_lo, -1
; %bb.2098:
	s_or_b32 exec_lo, exec_lo, s20
	s_delay_alu instid0(SALU_CYCLE_1)
	s_and_b32 s18, s18, exec_lo
	s_or_saveexec_b32 s19, s19
	v_mov_b32_e32 v10, 0x7f800001
	s_xor_b32 exec_lo, exec_lo, s19
	s_cbranch_execnz .LBB33_2117
.LBB33_2099:
	s_or_b32 exec_lo, exec_lo, s19
	s_and_saveexec_b32 s19, s18
	s_cbranch_execz .LBB33_2101
.LBB33_2100:
	v_and_b32_e32 v3, 0xffff, v1
	s_delay_alu instid0(VALU_DEP_1) | instskip(SKIP_1) | instid1(VALU_DEP_2)
	v_and_b32_e32 v10, 7, v3
	v_bfe_u32 v14, v3, 3, 4
	v_clz_i32_u32_e32 v12, v10
	s_delay_alu instid0(VALU_DEP_2) | instskip(NEXT) | instid1(VALU_DEP_2)
	v_cmp_eq_u32_e32 vcc_lo, 0, v14
	v_min_u32_e32 v12, 32, v12
	s_delay_alu instid0(VALU_DEP_1) | instskip(NEXT) | instid1(VALU_DEP_1)
	v_subrev_nc_u32_e32 v13, 28, v12
	v_dual_lshlrev_b32 v3, v13, v3 :: v_dual_sub_nc_u32 v12, 29, v12
	s_delay_alu instid0(VALU_DEP_1) | instskip(NEXT) | instid1(VALU_DEP_2)
	v_dual_lshlrev_b32 v1, 24, v1 :: v_dual_bitop2_b32 v3, 7, v3 bitop3:0x40
	v_cndmask_b32_e32 v12, v14, v12, vcc_lo
	s_delay_alu instid0(VALU_DEP_2) | instskip(NEXT) | instid1(VALU_DEP_3)
	v_cndmask_b32_e32 v3, v10, v3, vcc_lo
	v_and_b32_e32 v1, 0x80000000, v1
	s_delay_alu instid0(VALU_DEP_3) | instskip(NEXT) | instid1(VALU_DEP_3)
	v_lshl_add_u32 v10, v12, 23, 0x3b800000
	v_lshlrev_b32_e32 v3, 20, v3
	s_delay_alu instid0(VALU_DEP_1)
	v_or3_b32 v10, v1, v10, v3
.LBB33_2101:
	s_or_b32 exec_lo, exec_lo, s19
.LBB33_2102:
	s_mov_b32 s18, -1
.LBB33_2103:
	s_mov_b32 s19, 0
.LBB33_2104:
	s_delay_alu instid0(SALU_CYCLE_1)
	s_and_b32 vcc_lo, exec_lo, s19
	s_cbranch_vccz .LBB33_2137
; %bb.2105:
	s_cmp_gt_i32 s13, 22
	s_cbranch_scc0 .LBB33_2115
; %bb.2106:
	s_cmp_lt_i32 s13, 24
	s_cbranch_scc1 .LBB33_2118
; %bb.2107:
	s_cmp_gt_i32 s13, 24
	s_cbranch_scc0 .LBB33_2119
; %bb.2108:
	global_load_u8 v1, v[4:5], off
	s_mov_b32 s18, exec_lo
	s_wait_loadcnt 0x0
	v_cmpx_lt_i16_e32 0x7f, v1
	s_xor_b32 s18, exec_lo, s18
	s_cbranch_execz .LBB33_2131
; %bb.2109:
	s_mov_b32 s17, -1
	s_mov_b32 s19, exec_lo
	v_cmpx_eq_u16_e32 0x80, v1
; %bb.2110:
	s_xor_b32 s17, exec_lo, -1
; %bb.2111:
	s_or_b32 exec_lo, exec_lo, s19
	s_delay_alu instid0(SALU_CYCLE_1)
	s_and_b32 s17, s17, exec_lo
	s_or_saveexec_b32 s18, s18
	v_mov_b32_e32 v10, 0x7f800001
	s_xor_b32 exec_lo, exec_lo, s18
	s_cbranch_execnz .LBB33_2132
.LBB33_2112:
	s_or_b32 exec_lo, exec_lo, s18
	s_and_saveexec_b32 s18, s17
	s_cbranch_execz .LBB33_2114
.LBB33_2113:
	v_and_b32_e32 v3, 0xffff, v1
	s_delay_alu instid0(VALU_DEP_1) | instskip(SKIP_1) | instid1(VALU_DEP_2)
	v_and_b32_e32 v10, 3, v3
	v_bfe_u32 v14, v3, 2, 5
	v_clz_i32_u32_e32 v12, v10
	s_delay_alu instid0(VALU_DEP_2) | instskip(NEXT) | instid1(VALU_DEP_2)
	v_cmp_eq_u32_e32 vcc_lo, 0, v14
	v_min_u32_e32 v12, 32, v12
	s_delay_alu instid0(VALU_DEP_1) | instskip(NEXT) | instid1(VALU_DEP_1)
	v_subrev_nc_u32_e32 v13, 29, v12
	v_dual_lshlrev_b32 v3, v13, v3 :: v_dual_sub_nc_u32 v12, 30, v12
	s_delay_alu instid0(VALU_DEP_1) | instskip(NEXT) | instid1(VALU_DEP_2)
	v_dual_lshlrev_b32 v1, 24, v1 :: v_dual_bitop2_b32 v3, 3, v3 bitop3:0x40
	v_cndmask_b32_e32 v12, v14, v12, vcc_lo
	s_delay_alu instid0(VALU_DEP_2) | instskip(NEXT) | instid1(VALU_DEP_3)
	v_cndmask_b32_e32 v3, v10, v3, vcc_lo
	v_and_b32_e32 v1, 0x80000000, v1
	s_delay_alu instid0(VALU_DEP_3) | instskip(NEXT) | instid1(VALU_DEP_3)
	v_lshl_add_u32 v10, v12, 23, 0x37800000
	v_lshlrev_b32_e32 v3, 21, v3
	s_delay_alu instid0(VALU_DEP_1)
	v_or3_b32 v10, v1, v10, v3
.LBB33_2114:
	s_or_b32 exec_lo, exec_lo, s18
	s_mov_b32 s17, 0
	s_branch .LBB33_2120
.LBB33_2115:
	s_mov_b32 s17, -1
                                        ; implicit-def: $vgpr10
	s_branch .LBB33_2126
.LBB33_2116:
	s_or_saveexec_b32 s19, s19
	v_mov_b32_e32 v10, 0x7f800001
	s_xor_b32 exec_lo, exec_lo, s19
	s_cbranch_execz .LBB33_2099
.LBB33_2117:
	v_cmp_ne_u16_e32 vcc_lo, 0, v1
	v_mov_b32_e32 v10, 0
	s_and_not1_b32 s18, s18, exec_lo
	s_and_b32 s20, vcc_lo, exec_lo
	s_delay_alu instid0(SALU_CYCLE_1)
	s_or_b32 s18, s18, s20
	s_or_b32 exec_lo, exec_lo, s19
	s_and_saveexec_b32 s19, s18
	s_cbranch_execnz .LBB33_2100
	s_branch .LBB33_2101
.LBB33_2118:
	s_mov_b32 s17, -1
                                        ; implicit-def: $vgpr10
	s_branch .LBB33_2123
.LBB33_2119:
	s_mov_b32 s17, -1
                                        ; implicit-def: $vgpr10
.LBB33_2120:
	s_delay_alu instid0(SALU_CYCLE_1)
	s_and_b32 vcc_lo, exec_lo, s17
	s_cbranch_vccz .LBB33_2122
; %bb.2121:
	global_load_u8 v1, v[4:5], off
	s_wait_loadcnt 0x0
	v_lshlrev_b32_e32 v1, 24, v1
	s_delay_alu instid0(VALU_DEP_1) | instskip(NEXT) | instid1(VALU_DEP_1)
	v_and_b32_e32 v3, 0x7f000000, v1
	v_clz_i32_u32_e32 v10, v3
	v_add_nc_u32_e32 v13, 0x1000000, v3
	v_cmp_ne_u32_e32 vcc_lo, 0, v3
	s_delay_alu instid0(VALU_DEP_3) | instskip(NEXT) | instid1(VALU_DEP_1)
	v_min_u32_e32 v10, 32, v10
	v_sub_nc_u32_e64 v10, v10, 4 clamp
	s_delay_alu instid0(VALU_DEP_1) | instskip(NEXT) | instid1(VALU_DEP_1)
	v_dual_lshlrev_b32 v12, v10, v3 :: v_dual_lshlrev_b32 v10, 23, v10
	v_lshrrev_b32_e32 v12, 4, v12
	s_delay_alu instid0(VALU_DEP_1) | instskip(NEXT) | instid1(VALU_DEP_1)
	v_dual_sub_nc_u32 v10, v12, v10 :: v_dual_ashrrev_i32 v12, 8, v13
	v_add_nc_u32_e32 v10, 0x3c000000, v10
	s_delay_alu instid0(VALU_DEP_1) | instskip(NEXT) | instid1(VALU_DEP_1)
	v_and_or_b32 v10, 0x7f800000, v12, v10
	v_cndmask_b32_e32 v3, 0, v10, vcc_lo
	s_delay_alu instid0(VALU_DEP_1)
	v_and_or_b32 v10, 0x80000000, v1, v3
.LBB33_2122:
	s_mov_b32 s17, 0
.LBB33_2123:
	s_delay_alu instid0(SALU_CYCLE_1)
	s_and_not1_b32 vcc_lo, exec_lo, s17
	s_cbranch_vccnz .LBB33_2125
; %bb.2124:
	global_load_u8 v1, v[4:5], off
	s_wait_loadcnt 0x0
	v_lshlrev_b32_e32 v3, 25, v1
	v_lshlrev_b16 v1, 8, v1
	s_delay_alu instid0(VALU_DEP_1) | instskip(SKIP_1) | instid1(VALU_DEP_2)
	v_and_or_b32 v12, 0x7f00, v1, 0.5
	v_bfe_i32 v1, v1, 0, 16
	v_dual_add_f32 v12, -0.5, v12 :: v_dual_lshrrev_b32 v10, 4, v3
	v_cmp_gt_u32_e32 vcc_lo, 0x8000000, v3
	s_delay_alu instid0(VALU_DEP_2) | instskip(NEXT) | instid1(VALU_DEP_1)
	v_or_b32_e32 v10, 0x70000000, v10
	v_mul_f32_e32 v10, 0x7800000, v10
	s_delay_alu instid0(VALU_DEP_1) | instskip(NEXT) | instid1(VALU_DEP_1)
	v_cndmask_b32_e32 v3, v10, v12, vcc_lo
	v_and_or_b32 v10, 0x80000000, v1, v3
.LBB33_2125:
	s_mov_b32 s17, 0
	s_mov_b32 s18, -1
.LBB33_2126:
	s_and_not1_b32 vcc_lo, exec_lo, s17
	s_mov_b32 s17, 0
	s_cbranch_vccnz .LBB33_2137
; %bb.2127:
	s_cmp_gt_i32 s13, 14
	s_cbranch_scc0 .LBB33_2130
; %bb.2128:
	s_cmp_eq_u32 s13, 15
	s_cbranch_scc0 .LBB33_2133
; %bb.2129:
	global_load_u16 v1, v[4:5], off
	s_mov_b32 s16, 0
	s_mov_b32 s18, -1
	s_wait_loadcnt 0x0
	v_lshlrev_b32_e32 v10, 16, v1
	s_branch .LBB33_2135
.LBB33_2130:
	s_mov_b32 s17, -1
	s_branch .LBB33_2134
.LBB33_2131:
	s_or_saveexec_b32 s18, s18
	v_mov_b32_e32 v10, 0x7f800001
	s_xor_b32 exec_lo, exec_lo, s18
	s_cbranch_execz .LBB33_2112
.LBB33_2132:
	v_cmp_ne_u16_e32 vcc_lo, 0, v1
	v_mov_b32_e32 v10, 0
	s_and_not1_b32 s17, s17, exec_lo
	s_and_b32 s19, vcc_lo, exec_lo
	s_delay_alu instid0(SALU_CYCLE_1)
	s_or_b32 s17, s17, s19
	s_or_b32 exec_lo, exec_lo, s18
	s_and_saveexec_b32 s18, s17
	s_cbranch_execnz .LBB33_2113
	s_branch .LBB33_2114
.LBB33_2133:
	s_mov_b32 s16, -1
.LBB33_2134:
                                        ; implicit-def: $vgpr10
.LBB33_2135:
	s_and_b32 vcc_lo, exec_lo, s17
	s_mov_b32 s17, 0
	s_cbranch_vccz .LBB33_2137
; %bb.2136:
	s_cmp_lg_u32 s13, 11
	s_mov_b32 s17, -1
	s_cselect_b32 s16, -1, 0
.LBB33_2137:
	s_delay_alu instid0(SALU_CYCLE_1)
	s_and_b32 vcc_lo, exec_lo, s16
	s_cbranch_vccnz .LBB33_2202
; %bb.2138:
	s_and_not1_b32 vcc_lo, exec_lo, s17
	s_cbranch_vccnz .LBB33_2140
.LBB33_2139:
	global_load_u8 v1, v[4:5], off
	s_mov_b32 s18, -1
	s_wait_loadcnt 0x0
	v_cmp_ne_u16_e32 vcc_lo, 0, v1
	v_cndmask_b32_e64 v10, 0, 1.0, vcc_lo
.LBB33_2140:
	s_mov_b32 s13, 0
.LBB33_2141:
	s_delay_alu instid0(SALU_CYCLE_1)
	s_and_b32 vcc_lo, exec_lo, s13
	s_cbranch_vccz .LBB33_2190
; %bb.2142:
	s_and_b32 s13, 0xffff, s0
	s_delay_alu instid0(SALU_CYCLE_1)
	s_cmp_lt_i32 s13, 5
	s_cbranch_scc1 .LBB33_2147
; %bb.2143:
	s_cmp_lt_i32 s13, 8
	s_cbranch_scc1 .LBB33_2148
; %bb.2144:
	;; [unrolled: 3-line block ×3, first 2 shown]
	s_cmp_gt_i32 s13, 9
	s_cbranch_scc0 .LBB33_2150
; %bb.2146:
	global_load_b64 v[12:13], v[4:5], off
	s_mov_b32 s16, 0
	s_wait_loadcnt 0x0
	v_cvt_f32_f64_e32 v10, v[12:13]
	s_branch .LBB33_2151
.LBB33_2147:
	s_mov_b32 s16, -1
                                        ; implicit-def: $vgpr10
	s_branch .LBB33_2169
.LBB33_2148:
	s_mov_b32 s16, -1
                                        ; implicit-def: $vgpr10
	s_branch .LBB33_2157
.LBB33_2149:
	s_mov_b32 s16, -1
                                        ; implicit-def: $vgpr10
	s_branch .LBB33_2154
.LBB33_2150:
	s_mov_b32 s16, -1
                                        ; implicit-def: $vgpr10
.LBB33_2151:
	s_delay_alu instid0(SALU_CYCLE_1)
	s_and_not1_b32 vcc_lo, exec_lo, s16
	s_cbranch_vccnz .LBB33_2153
; %bb.2152:
	global_load_b32 v10, v[4:5], off
.LBB33_2153:
	s_mov_b32 s16, 0
.LBB33_2154:
	s_delay_alu instid0(SALU_CYCLE_1)
	s_and_not1_b32 vcc_lo, exec_lo, s16
	s_cbranch_vccnz .LBB33_2156
; %bb.2155:
	global_load_b32 v1, v[4:5], off
	s_wait_loadcnt 0x0
	v_cvt_f32_f16_e32 v10, v1
.LBB33_2156:
	s_mov_b32 s16, 0
.LBB33_2157:
	s_delay_alu instid0(SALU_CYCLE_1)
	s_and_not1_b32 vcc_lo, exec_lo, s16
	s_cbranch_vccnz .LBB33_2168
; %bb.2158:
	s_cmp_lt_i32 s13, 6
	s_cbranch_scc1 .LBB33_2161
; %bb.2159:
	s_cmp_gt_i32 s13, 6
	s_cbranch_scc0 .LBB33_2162
; %bb.2160:
	global_load_b64 v[12:13], v[4:5], off
	s_mov_b32 s16, 0
	s_wait_loadcnt 0x0
	v_cvt_f32_f64_e32 v10, v[12:13]
	s_branch .LBB33_2163
.LBB33_2161:
	s_mov_b32 s16, -1
                                        ; implicit-def: $vgpr10
	s_branch .LBB33_2166
.LBB33_2162:
	s_mov_b32 s16, -1
                                        ; implicit-def: $vgpr10
.LBB33_2163:
	s_delay_alu instid0(SALU_CYCLE_1)
	s_and_not1_b32 vcc_lo, exec_lo, s16
	s_cbranch_vccnz .LBB33_2165
; %bb.2164:
	s_wait_loadcnt 0x0
	global_load_b32 v10, v[4:5], off
.LBB33_2165:
	s_mov_b32 s16, 0
.LBB33_2166:
	s_delay_alu instid0(SALU_CYCLE_1)
	s_and_not1_b32 vcc_lo, exec_lo, s16
	s_cbranch_vccnz .LBB33_2168
; %bb.2167:
	global_load_u16 v1, v[4:5], off
	s_wait_loadcnt 0x0
	v_cvt_f32_f16_e32 v10, v1
.LBB33_2168:
	s_mov_b32 s16, 0
.LBB33_2169:
	s_delay_alu instid0(SALU_CYCLE_1)
	s_and_not1_b32 vcc_lo, exec_lo, s16
	s_cbranch_vccnz .LBB33_2189
; %bb.2170:
	s_cmp_lt_i32 s13, 2
	s_cbranch_scc1 .LBB33_2174
; %bb.2171:
	s_cmp_lt_i32 s13, 3
	s_cbranch_scc1 .LBB33_2175
; %bb.2172:
	s_cmp_gt_i32 s13, 3
	s_cbranch_scc0 .LBB33_2176
; %bb.2173:
	global_load_b64 v[12:13], v[4:5], off
	s_mov_b32 s16, 0
	s_wait_loadcnt 0x0
	v_xor_b32_e32 v1, v12, v13
	v_cls_i32_e32 v3, v13
	s_delay_alu instid0(VALU_DEP_2) | instskip(NEXT) | instid1(VALU_DEP_1)
	v_ashrrev_i32_e32 v1, 31, v1
	v_add_nc_u32_e32 v1, 32, v1
	s_delay_alu instid0(VALU_DEP_1) | instskip(NEXT) | instid1(VALU_DEP_1)
	v_add_min_u32_e64 v1, v3, -1, v1
	v_lshlrev_b64_e32 v[12:13], v1, v[12:13]
	v_sub_nc_u32_e32 v1, 32, v1
	s_delay_alu instid0(VALU_DEP_2) | instskip(NEXT) | instid1(VALU_DEP_1)
	v_min_u32_e32 v3, 1, v12
	v_or_b32_e32 v3, v13, v3
	s_delay_alu instid0(VALU_DEP_1) | instskip(NEXT) | instid1(VALU_DEP_1)
	v_cvt_f32_i32_e32 v3, v3
	v_ldexp_f32 v10, v3, v1
	s_branch .LBB33_2177
.LBB33_2174:
	s_mov_b32 s16, -1
                                        ; implicit-def: $vgpr10
	s_branch .LBB33_2183
.LBB33_2175:
	s_mov_b32 s16, -1
                                        ; implicit-def: $vgpr10
	s_branch .LBB33_2180
.LBB33_2176:
	s_mov_b32 s16, -1
                                        ; implicit-def: $vgpr10
.LBB33_2177:
	s_delay_alu instid0(SALU_CYCLE_1)
	s_and_not1_b32 vcc_lo, exec_lo, s16
	s_cbranch_vccnz .LBB33_2179
; %bb.2178:
	global_load_b32 v1, v[4:5], off
	s_wait_loadcnt 0x0
	v_cvt_f32_i32_e32 v10, v1
.LBB33_2179:
	s_mov_b32 s16, 0
.LBB33_2180:
	s_delay_alu instid0(SALU_CYCLE_1)
	s_and_not1_b32 vcc_lo, exec_lo, s16
	s_cbranch_vccnz .LBB33_2182
; %bb.2181:
	global_load_i16 v1, v[4:5], off
	s_wait_loadcnt 0x0
	v_cvt_f32_i32_e32 v10, v1
.LBB33_2182:
	s_mov_b32 s16, 0
.LBB33_2183:
	s_delay_alu instid0(SALU_CYCLE_1)
	s_and_not1_b32 vcc_lo, exec_lo, s16
	s_cbranch_vccnz .LBB33_2189
; %bb.2184:
	s_cmp_gt_i32 s13, 0
	s_mov_b32 s13, 0
	s_cbranch_scc0 .LBB33_2186
; %bb.2185:
	global_load_i8 v1, v[4:5], off
	s_wait_loadcnt 0x0
	v_cvt_f32_i32_e32 v10, v1
	s_branch .LBB33_2187
.LBB33_2186:
	s_mov_b32 s13, -1
                                        ; implicit-def: $vgpr10
.LBB33_2187:
	s_delay_alu instid0(SALU_CYCLE_1)
	s_and_not1_b32 vcc_lo, exec_lo, s13
	s_cbranch_vccnz .LBB33_2189
; %bb.2188:
	global_load_u8 v1, v[4:5], off
	s_wait_loadcnt 0x0
	v_cvt_f32_ubyte0_e32 v10, v1
.LBB33_2189:
	s_mov_b32 s18, -1
.LBB33_2190:
	s_delay_alu instid0(SALU_CYCLE_1)
	s_and_not1_b32 vcc_lo, exec_lo, s18
	s_cbranch_vccnz .LBB33_3016
; %bb.2191:
	v_add_nc_u32_e32 v2, s10, v2
	s_cmp_lt_i32 s1, 11
	s_delay_alu instid0(VALU_DEP_1) | instskip(SKIP_1) | instid1(VALU_DEP_1)
	v_ashrrev_i32_e32 v3, 31, v2
	s_wait_xcnt 0x0
	v_add_nc_u64_e32 v[4:5], s[2:3], v[2:3]
	s_cbranch_scc1 .LBB33_2198
; %bb.2192:
	s_and_b32 s13, 0xffff, s1
	s_mov_b32 s17, 0
	s_cmp_gt_i32 s13, 25
	s_cbranch_scc0 .LBB33_2199
; %bb.2193:
	s_cmp_gt_i32 s13, 28
	s_cbranch_scc0 .LBB33_2200
; %bb.2194:
	;; [unrolled: 3-line block ×4, first 2 shown]
	s_cmp_eq_u32 s13, 46
	s_mov_b32 s19, 0
	s_cbranch_scc0 .LBB33_2206
; %bb.2197:
	global_load_b32 v1, v[4:5], off
	s_mov_b32 s16, 0
	s_mov_b32 s18, -1
	s_wait_loadcnt 0x0
	v_lshlrev_b32_e32 v13, 16, v1
	s_branch .LBB33_2208
.LBB33_2198:
	s_mov_b32 s13, -1
	s_mov_b32 s18, 0
                                        ; implicit-def: $vgpr13
	s_branch .LBB33_2274
.LBB33_2199:
	s_mov_b32 s19, -1
	s_mov_b32 s18, 0
	s_mov_b32 s16, 0
                                        ; implicit-def: $vgpr13
	s_branch .LBB33_2237
.LBB33_2200:
	s_mov_b32 s19, -1
	s_mov_b32 s18, 0
	s_mov_b32 s16, 0
                                        ; implicit-def: $vgpr13
	s_branch .LBB33_2218
.LBB33_2201:
	s_mov_b32 s19, -1
	s_mov_b32 s18, 0
	s_mov_b32 s16, 0
                                        ; implicit-def: $vgpr13
	s_branch .LBB33_2213
.LBB33_2202:
	s_or_b32 s12, s12, exec_lo
	s_trap 2
	s_cbranch_execz .LBB33_2139
	s_branch .LBB33_2140
.LBB33_2203:
	s_mov_b32 s19, -1
	s_mov_b32 s18, 0
	s_mov_b32 s16, 0
	s_branch .LBB33_2207
.LBB33_2204:
	s_and_not1_saveexec_b32 s31, s31
	s_cbranch_execz .LBB33_1140
.LBB33_2205:
	v_add_f32_e64 v3, 0x42800000, |v2|
	s_and_not1_b32 s30, s30, exec_lo
	s_delay_alu instid0(VALU_DEP_1) | instskip(NEXT) | instid1(VALU_DEP_1)
	v_and_b32_e32 v3, 0xff, v3
	v_cmp_ne_u32_e32 vcc_lo, 0, v3
	s_and_b32 s33, vcc_lo, exec_lo
	s_delay_alu instid0(SALU_CYCLE_1)
	s_or_b32 s30, s30, s33
	s_or_b32 exec_lo, exec_lo, s31
	v_mov_b32_e32 v4, 0
	s_and_saveexec_b32 s31, s30
	s_cbranch_execnz .LBB33_1141
	s_branch .LBB33_1142
.LBB33_2206:
	s_mov_b32 s16, -1
	s_mov_b32 s18, 0
.LBB33_2207:
                                        ; implicit-def: $vgpr13
.LBB33_2208:
	s_and_b32 vcc_lo, exec_lo, s19
	s_cbranch_vccz .LBB33_2212
; %bb.2209:
	s_cmp_eq_u32 s13, 44
	s_cbranch_scc0 .LBB33_2211
; %bb.2210:
	global_load_u8 v1, v[4:5], off
	s_mov_b32 s16, 0
	s_mov_b32 s18, -1
	s_wait_loadcnt 0x0
	v_lshlrev_b32_e32 v3, 23, v1
	v_cmp_ne_u32_e32 vcc_lo, 0xff, v1
	s_delay_alu instid0(VALU_DEP_2) | instskip(SKIP_1) | instid1(VALU_DEP_2)
	v_cndmask_b32_e32 v3, 0x7f800001, v3, vcc_lo
	v_cmp_ne_u32_e32 vcc_lo, 0, v1
	v_cndmask_b32_e32 v13, 0x400000, v3, vcc_lo
	s_branch .LBB33_2212
.LBB33_2211:
	s_mov_b32 s16, -1
                                        ; implicit-def: $vgpr13
.LBB33_2212:
	s_mov_b32 s19, 0
.LBB33_2213:
	s_delay_alu instid0(SALU_CYCLE_1)
	s_and_b32 vcc_lo, exec_lo, s19
	s_cbranch_vccz .LBB33_2217
; %bb.2214:
	s_cmp_eq_u32 s13, 29
	s_cbranch_scc0 .LBB33_2216
; %bb.2215:
	global_load_b64 v[12:13], v[4:5], off
	s_mov_b32 s16, 0
	s_mov_b32 s18, -1
	s_mov_b32 s19, 0
	s_wait_loadcnt 0x0
	v_clz_i32_u32_e32 v1, v13
	s_delay_alu instid0(VALU_DEP_1) | instskip(NEXT) | instid1(VALU_DEP_1)
	v_min_u32_e32 v1, 32, v1
	v_lshlrev_b64_e32 v[12:13], v1, v[12:13]
	v_sub_nc_u32_e32 v1, 32, v1
	s_delay_alu instid0(VALU_DEP_2) | instskip(NEXT) | instid1(VALU_DEP_1)
	v_min_u32_e32 v3, 1, v12
	v_or_b32_e32 v3, v13, v3
	s_delay_alu instid0(VALU_DEP_1) | instskip(NEXT) | instid1(VALU_DEP_1)
	v_cvt_f32_u32_e32 v3, v3
	v_ldexp_f32 v13, v3, v1
	s_branch .LBB33_2218
.LBB33_2216:
	s_mov_b32 s16, -1
                                        ; implicit-def: $vgpr13
.LBB33_2217:
	s_mov_b32 s19, 0
.LBB33_2218:
	s_delay_alu instid0(SALU_CYCLE_1)
	s_and_b32 vcc_lo, exec_lo, s19
	s_cbranch_vccz .LBB33_2236
; %bb.2219:
	s_cmp_lt_i32 s13, 27
	s_cbranch_scc1 .LBB33_2222
; %bb.2220:
	s_cmp_gt_i32 s13, 27
	s_cbranch_scc0 .LBB33_2223
; %bb.2221:
	global_load_b32 v1, v[4:5], off
	s_mov_b32 s18, 0
	s_wait_loadcnt 0x0
	v_cvt_f32_u32_e32 v13, v1
	s_branch .LBB33_2224
.LBB33_2222:
	s_mov_b32 s18, -1
                                        ; implicit-def: $vgpr13
	s_branch .LBB33_2227
.LBB33_2223:
	s_mov_b32 s18, -1
                                        ; implicit-def: $vgpr13
.LBB33_2224:
	s_delay_alu instid0(SALU_CYCLE_1)
	s_and_not1_b32 vcc_lo, exec_lo, s18
	s_cbranch_vccnz .LBB33_2226
; %bb.2225:
	global_load_u16 v1, v[4:5], off
	s_wait_loadcnt 0x0
	v_cvt_f32_u32_e32 v13, v1
.LBB33_2226:
	s_mov_b32 s18, 0
.LBB33_2227:
	s_delay_alu instid0(SALU_CYCLE_1)
	s_and_not1_b32 vcc_lo, exec_lo, s18
	s_cbranch_vccnz .LBB33_2235
; %bb.2228:
	global_load_u8 v1, v[4:5], off
	s_mov_b32 s18, 0
	s_mov_b32 s19, exec_lo
	s_wait_loadcnt 0x0
	v_cmpx_lt_i16_e32 0x7f, v1
	s_xor_b32 s19, exec_lo, s19
	s_cbranch_execz .LBB33_2249
; %bb.2229:
	s_mov_b32 s18, -1
	s_mov_b32 s20, exec_lo
	v_cmpx_eq_u16_e32 0x80, v1
; %bb.2230:
	s_xor_b32 s18, exec_lo, -1
; %bb.2231:
	s_or_b32 exec_lo, exec_lo, s20
	s_delay_alu instid0(SALU_CYCLE_1)
	s_and_b32 s18, s18, exec_lo
	s_or_saveexec_b32 s19, s19
	v_mov_b32_e32 v13, 0x7f800001
	s_xor_b32 exec_lo, exec_lo, s19
	s_cbranch_execnz .LBB33_2250
.LBB33_2232:
	s_or_b32 exec_lo, exec_lo, s19
	s_and_saveexec_b32 s19, s18
	s_cbranch_execz .LBB33_2234
.LBB33_2233:
	v_and_b32_e32 v3, 0xffff, v1
	s_delay_alu instid0(VALU_DEP_1) | instskip(SKIP_1) | instid1(VALU_DEP_2)
	v_and_b32_e32 v12, 7, v3
	v_bfe_u32 v15, v3, 3, 4
	v_clz_i32_u32_e32 v13, v12
	s_delay_alu instid0(VALU_DEP_2) | instskip(NEXT) | instid1(VALU_DEP_2)
	v_cmp_eq_u32_e32 vcc_lo, 0, v15
	v_min_u32_e32 v13, 32, v13
	s_delay_alu instid0(VALU_DEP_1) | instskip(NEXT) | instid1(VALU_DEP_1)
	v_subrev_nc_u32_e32 v14, 28, v13
	v_dual_lshlrev_b32 v3, v14, v3 :: v_dual_sub_nc_u32 v13, 29, v13
	s_delay_alu instid0(VALU_DEP_1) | instskip(NEXT) | instid1(VALU_DEP_1)
	v_dual_lshlrev_b32 v1, 24, v1 :: v_dual_bitop2_b32 v3, 7, v3 bitop3:0x40
	v_dual_cndmask_b32 v3, v12, v3, vcc_lo :: v_dual_cndmask_b32 v13, v15, v13, vcc_lo
	s_delay_alu instid0(VALU_DEP_2) | instskip(NEXT) | instid1(VALU_DEP_2)
	v_and_b32_e32 v1, 0x80000000, v1
	v_lshlrev_b32_e32 v3, 20, v3
	s_delay_alu instid0(VALU_DEP_3) | instskip(NEXT) | instid1(VALU_DEP_1)
	v_lshl_add_u32 v12, v13, 23, 0x3b800000
	v_or3_b32 v13, v1, v12, v3
.LBB33_2234:
	s_or_b32 exec_lo, exec_lo, s19
.LBB33_2235:
	s_mov_b32 s18, -1
.LBB33_2236:
	s_mov_b32 s19, 0
.LBB33_2237:
	s_delay_alu instid0(SALU_CYCLE_1)
	s_and_b32 vcc_lo, exec_lo, s19
	s_cbranch_vccz .LBB33_2270
; %bb.2238:
	s_cmp_gt_i32 s13, 22
	s_cbranch_scc0 .LBB33_2248
; %bb.2239:
	s_cmp_lt_i32 s13, 24
	s_cbranch_scc1 .LBB33_2251
; %bb.2240:
	s_cmp_gt_i32 s13, 24
	s_cbranch_scc0 .LBB33_2252
; %bb.2241:
	global_load_u8 v1, v[4:5], off
	s_mov_b32 s18, exec_lo
	s_wait_loadcnt 0x0
	v_cmpx_lt_i16_e32 0x7f, v1
	s_xor_b32 s18, exec_lo, s18
	s_cbranch_execz .LBB33_2264
; %bb.2242:
	s_mov_b32 s17, -1
	s_mov_b32 s19, exec_lo
	v_cmpx_eq_u16_e32 0x80, v1
; %bb.2243:
	s_xor_b32 s17, exec_lo, -1
; %bb.2244:
	s_or_b32 exec_lo, exec_lo, s19
	s_delay_alu instid0(SALU_CYCLE_1)
	s_and_b32 s17, s17, exec_lo
	s_or_saveexec_b32 s18, s18
	v_mov_b32_e32 v13, 0x7f800001
	s_xor_b32 exec_lo, exec_lo, s18
	s_cbranch_execnz .LBB33_2265
.LBB33_2245:
	s_or_b32 exec_lo, exec_lo, s18
	s_and_saveexec_b32 s18, s17
	s_cbranch_execz .LBB33_2247
.LBB33_2246:
	v_and_b32_e32 v3, 0xffff, v1
	s_delay_alu instid0(VALU_DEP_1) | instskip(SKIP_1) | instid1(VALU_DEP_2)
	v_and_b32_e32 v12, 3, v3
	v_bfe_u32 v15, v3, 2, 5
	v_clz_i32_u32_e32 v13, v12
	s_delay_alu instid0(VALU_DEP_2) | instskip(NEXT) | instid1(VALU_DEP_2)
	v_cmp_eq_u32_e32 vcc_lo, 0, v15
	v_min_u32_e32 v13, 32, v13
	s_delay_alu instid0(VALU_DEP_1) | instskip(NEXT) | instid1(VALU_DEP_1)
	v_subrev_nc_u32_e32 v14, 29, v13
	v_dual_lshlrev_b32 v3, v14, v3 :: v_dual_sub_nc_u32 v13, 30, v13
	s_delay_alu instid0(VALU_DEP_1) | instskip(NEXT) | instid1(VALU_DEP_1)
	v_dual_lshlrev_b32 v1, 24, v1 :: v_dual_bitop2_b32 v3, 3, v3 bitop3:0x40
	v_dual_cndmask_b32 v3, v12, v3, vcc_lo :: v_dual_cndmask_b32 v13, v15, v13, vcc_lo
	s_delay_alu instid0(VALU_DEP_2) | instskip(NEXT) | instid1(VALU_DEP_2)
	v_and_b32_e32 v1, 0x80000000, v1
	v_lshlrev_b32_e32 v3, 21, v3
	s_delay_alu instid0(VALU_DEP_3) | instskip(NEXT) | instid1(VALU_DEP_1)
	v_lshl_add_u32 v12, v13, 23, 0x37800000
	v_or3_b32 v13, v1, v12, v3
.LBB33_2247:
	s_or_b32 exec_lo, exec_lo, s18
	s_mov_b32 s17, 0
	s_branch .LBB33_2253
.LBB33_2248:
	s_mov_b32 s17, -1
                                        ; implicit-def: $vgpr13
	s_branch .LBB33_2259
.LBB33_2249:
	s_or_saveexec_b32 s19, s19
	v_mov_b32_e32 v13, 0x7f800001
	s_xor_b32 exec_lo, exec_lo, s19
	s_cbranch_execz .LBB33_2232
.LBB33_2250:
	v_cmp_ne_u16_e32 vcc_lo, 0, v1
	v_mov_b32_e32 v13, 0
	s_and_not1_b32 s18, s18, exec_lo
	s_and_b32 s20, vcc_lo, exec_lo
	s_delay_alu instid0(SALU_CYCLE_1)
	s_or_b32 s18, s18, s20
	s_or_b32 exec_lo, exec_lo, s19
	s_and_saveexec_b32 s19, s18
	s_cbranch_execnz .LBB33_2233
	s_branch .LBB33_2234
.LBB33_2251:
	s_mov_b32 s17, -1
                                        ; implicit-def: $vgpr13
	s_branch .LBB33_2256
.LBB33_2252:
	s_mov_b32 s17, -1
                                        ; implicit-def: $vgpr13
.LBB33_2253:
	s_delay_alu instid0(SALU_CYCLE_1)
	s_and_b32 vcc_lo, exec_lo, s17
	s_cbranch_vccz .LBB33_2255
; %bb.2254:
	global_load_u8 v1, v[4:5], off
	s_wait_loadcnt 0x0
	v_lshlrev_b32_e32 v1, 24, v1
	s_delay_alu instid0(VALU_DEP_1) | instskip(NEXT) | instid1(VALU_DEP_1)
	v_and_b32_e32 v3, 0x7f000000, v1
	v_clz_i32_u32_e32 v12, v3
	v_cmp_ne_u32_e32 vcc_lo, 0, v3
	v_add_nc_u32_e32 v14, 0x1000000, v3
	s_delay_alu instid0(VALU_DEP_3) | instskip(NEXT) | instid1(VALU_DEP_1)
	v_min_u32_e32 v12, 32, v12
	v_sub_nc_u32_e64 v12, v12, 4 clamp
	s_delay_alu instid0(VALU_DEP_1) | instskip(NEXT) | instid1(VALU_DEP_1)
	v_dual_lshlrev_b32 v13, v12, v3 :: v_dual_lshlrev_b32 v12, 23, v12
	v_lshrrev_b32_e32 v13, 4, v13
	s_delay_alu instid0(VALU_DEP_1) | instskip(NEXT) | instid1(VALU_DEP_1)
	v_dual_sub_nc_u32 v12, v13, v12 :: v_dual_ashrrev_i32 v13, 8, v14
	v_add_nc_u32_e32 v12, 0x3c000000, v12
	s_delay_alu instid0(VALU_DEP_1) | instskip(NEXT) | instid1(VALU_DEP_1)
	v_and_or_b32 v12, 0x7f800000, v13, v12
	v_cndmask_b32_e32 v3, 0, v12, vcc_lo
	s_delay_alu instid0(VALU_DEP_1)
	v_and_or_b32 v13, 0x80000000, v1, v3
.LBB33_2255:
	s_mov_b32 s17, 0
.LBB33_2256:
	s_delay_alu instid0(SALU_CYCLE_1)
	s_and_not1_b32 vcc_lo, exec_lo, s17
	s_cbranch_vccnz .LBB33_2258
; %bb.2257:
	global_load_u8 v1, v[4:5], off
	s_wait_loadcnt 0x0
	v_lshlrev_b32_e32 v3, 25, v1
	v_lshlrev_b16 v1, 8, v1
	s_delay_alu instid0(VALU_DEP_1) | instskip(NEXT) | instid1(VALU_DEP_3)
	v_and_or_b32 v13, 0x7f00, v1, 0.5
	v_lshrrev_b32_e32 v12, 4, v3
	v_bfe_i32 v1, v1, 0, 16
	s_delay_alu instid0(VALU_DEP_3) | instskip(NEXT) | instid1(VALU_DEP_3)
	v_add_f32_e32 v13, -0.5, v13
	v_or_b32_e32 v12, 0x70000000, v12
	s_delay_alu instid0(VALU_DEP_1) | instskip(SKIP_1) | instid1(VALU_DEP_2)
	v_mul_f32_e32 v12, 0x7800000, v12
	v_cmp_gt_u32_e32 vcc_lo, 0x8000000, v3
	v_cndmask_b32_e32 v3, v12, v13, vcc_lo
	s_delay_alu instid0(VALU_DEP_1)
	v_and_or_b32 v13, 0x80000000, v1, v3
.LBB33_2258:
	s_mov_b32 s17, 0
	s_mov_b32 s18, -1
.LBB33_2259:
	s_and_not1_b32 vcc_lo, exec_lo, s17
	s_mov_b32 s17, 0
	s_cbranch_vccnz .LBB33_2270
; %bb.2260:
	s_cmp_gt_i32 s13, 14
	s_cbranch_scc0 .LBB33_2263
; %bb.2261:
	s_cmp_eq_u32 s13, 15
	s_cbranch_scc0 .LBB33_2266
; %bb.2262:
	global_load_u16 v1, v[4:5], off
	s_mov_b32 s16, 0
	s_mov_b32 s18, -1
	s_wait_loadcnt 0x0
	v_lshlrev_b32_e32 v13, 16, v1
	s_branch .LBB33_2268
.LBB33_2263:
	s_mov_b32 s17, -1
	s_branch .LBB33_2267
.LBB33_2264:
	s_or_saveexec_b32 s18, s18
	v_mov_b32_e32 v13, 0x7f800001
	s_xor_b32 exec_lo, exec_lo, s18
	s_cbranch_execz .LBB33_2245
.LBB33_2265:
	v_cmp_ne_u16_e32 vcc_lo, 0, v1
	v_mov_b32_e32 v13, 0
	s_and_not1_b32 s17, s17, exec_lo
	s_and_b32 s19, vcc_lo, exec_lo
	s_delay_alu instid0(SALU_CYCLE_1)
	s_or_b32 s17, s17, s19
	s_or_b32 exec_lo, exec_lo, s18
	s_and_saveexec_b32 s18, s17
	s_cbranch_execnz .LBB33_2246
	s_branch .LBB33_2247
.LBB33_2266:
	s_mov_b32 s16, -1
.LBB33_2267:
                                        ; implicit-def: $vgpr13
.LBB33_2268:
	s_and_b32 vcc_lo, exec_lo, s17
	s_mov_b32 s17, 0
	s_cbranch_vccz .LBB33_2270
; %bb.2269:
	s_cmp_lg_u32 s13, 11
	s_mov_b32 s17, -1
	s_cselect_b32 s16, -1, 0
.LBB33_2270:
	s_delay_alu instid0(SALU_CYCLE_1)
	s_and_b32 vcc_lo, exec_lo, s16
	s_cbranch_vccnz .LBB33_2335
; %bb.2271:
	s_and_not1_b32 vcc_lo, exec_lo, s17
	s_cbranch_vccnz .LBB33_2273
.LBB33_2272:
	global_load_u8 v1, v[4:5], off
	s_mov_b32 s18, -1
	s_wait_loadcnt 0x0
	v_cmp_ne_u16_e32 vcc_lo, 0, v1
	v_cndmask_b32_e64 v13, 0, 1.0, vcc_lo
.LBB33_2273:
	s_mov_b32 s13, 0
.LBB33_2274:
	s_delay_alu instid0(SALU_CYCLE_1)
	s_and_b32 vcc_lo, exec_lo, s13
	s_cbranch_vccz .LBB33_2323
; %bb.2275:
	s_and_b32 s13, 0xffff, s1
	s_delay_alu instid0(SALU_CYCLE_1)
	s_cmp_lt_i32 s13, 5
	s_cbranch_scc1 .LBB33_2280
; %bb.2276:
	s_cmp_lt_i32 s13, 8
	s_cbranch_scc1 .LBB33_2281
; %bb.2277:
	;; [unrolled: 3-line block ×3, first 2 shown]
	s_cmp_gt_i32 s13, 9
	s_cbranch_scc0 .LBB33_2283
; %bb.2279:
	global_load_b64 v[12:13], v[4:5], off
	s_mov_b32 s16, 0
	s_wait_loadcnt 0x0
	v_cvt_f32_f64_e32 v13, v[12:13]
	s_branch .LBB33_2284
.LBB33_2280:
	s_mov_b32 s16, -1
                                        ; implicit-def: $vgpr13
	s_branch .LBB33_2302
.LBB33_2281:
	s_mov_b32 s16, -1
                                        ; implicit-def: $vgpr13
	s_branch .LBB33_2290
.LBB33_2282:
	s_mov_b32 s16, -1
                                        ; implicit-def: $vgpr13
	s_branch .LBB33_2287
.LBB33_2283:
	s_mov_b32 s16, -1
                                        ; implicit-def: $vgpr13
.LBB33_2284:
	s_delay_alu instid0(SALU_CYCLE_1)
	s_and_not1_b32 vcc_lo, exec_lo, s16
	s_cbranch_vccnz .LBB33_2286
; %bb.2285:
	global_load_b32 v13, v[4:5], off
.LBB33_2286:
	s_mov_b32 s16, 0
.LBB33_2287:
	s_delay_alu instid0(SALU_CYCLE_1)
	s_and_not1_b32 vcc_lo, exec_lo, s16
	s_cbranch_vccnz .LBB33_2289
; %bb.2288:
	global_load_b32 v1, v[4:5], off
	s_wait_loadcnt 0x0
	v_cvt_f32_f16_e32 v13, v1
.LBB33_2289:
	s_mov_b32 s16, 0
.LBB33_2290:
	s_delay_alu instid0(SALU_CYCLE_1)
	s_and_not1_b32 vcc_lo, exec_lo, s16
	s_cbranch_vccnz .LBB33_2301
; %bb.2291:
	s_cmp_lt_i32 s13, 6
	s_cbranch_scc1 .LBB33_2294
; %bb.2292:
	s_cmp_gt_i32 s13, 6
	s_cbranch_scc0 .LBB33_2295
; %bb.2293:
	s_wait_loadcnt 0x0
	global_load_b64 v[12:13], v[4:5], off
	s_mov_b32 s16, 0
	s_wait_loadcnt 0x0
	v_cvt_f32_f64_e32 v13, v[12:13]
	s_branch .LBB33_2296
.LBB33_2294:
	s_mov_b32 s16, -1
                                        ; implicit-def: $vgpr13
	s_branch .LBB33_2299
.LBB33_2295:
	s_mov_b32 s16, -1
                                        ; implicit-def: $vgpr13
.LBB33_2296:
	s_delay_alu instid0(SALU_CYCLE_1)
	s_and_not1_b32 vcc_lo, exec_lo, s16
	s_cbranch_vccnz .LBB33_2298
; %bb.2297:
	s_wait_loadcnt 0x0
	global_load_b32 v13, v[4:5], off
.LBB33_2298:
	s_mov_b32 s16, 0
.LBB33_2299:
	s_delay_alu instid0(SALU_CYCLE_1)
	s_and_not1_b32 vcc_lo, exec_lo, s16
	s_cbranch_vccnz .LBB33_2301
; %bb.2300:
	global_load_u16 v1, v[4:5], off
	s_wait_loadcnt 0x0
	v_cvt_f32_f16_e32 v13, v1
.LBB33_2301:
	s_mov_b32 s16, 0
.LBB33_2302:
	s_delay_alu instid0(SALU_CYCLE_1)
	s_and_not1_b32 vcc_lo, exec_lo, s16
	s_cbranch_vccnz .LBB33_2322
; %bb.2303:
	s_cmp_lt_i32 s13, 2
	s_cbranch_scc1 .LBB33_2307
; %bb.2304:
	s_cmp_lt_i32 s13, 3
	s_cbranch_scc1 .LBB33_2308
; %bb.2305:
	s_cmp_gt_i32 s13, 3
	s_cbranch_scc0 .LBB33_2309
; %bb.2306:
	s_wait_loadcnt 0x0
	global_load_b64 v[12:13], v[4:5], off
	s_mov_b32 s16, 0
	s_wait_loadcnt 0x0
	v_xor_b32_e32 v1, v12, v13
	v_cls_i32_e32 v3, v13
	s_delay_alu instid0(VALU_DEP_2) | instskip(NEXT) | instid1(VALU_DEP_1)
	v_ashrrev_i32_e32 v1, 31, v1
	v_add_nc_u32_e32 v1, 32, v1
	s_delay_alu instid0(VALU_DEP_1) | instskip(NEXT) | instid1(VALU_DEP_1)
	v_add_min_u32_e64 v1, v3, -1, v1
	v_lshlrev_b64_e32 v[12:13], v1, v[12:13]
	v_sub_nc_u32_e32 v1, 32, v1
	s_delay_alu instid0(VALU_DEP_2) | instskip(NEXT) | instid1(VALU_DEP_1)
	v_min_u32_e32 v3, 1, v12
	v_or_b32_e32 v3, v13, v3
	s_delay_alu instid0(VALU_DEP_1) | instskip(NEXT) | instid1(VALU_DEP_1)
	v_cvt_f32_i32_e32 v3, v3
	v_ldexp_f32 v13, v3, v1
	s_branch .LBB33_2310
.LBB33_2307:
	s_mov_b32 s16, -1
                                        ; implicit-def: $vgpr13
	s_branch .LBB33_2316
.LBB33_2308:
	s_mov_b32 s16, -1
                                        ; implicit-def: $vgpr13
	s_branch .LBB33_2313
.LBB33_2309:
	s_mov_b32 s16, -1
                                        ; implicit-def: $vgpr13
.LBB33_2310:
	s_delay_alu instid0(SALU_CYCLE_1)
	s_and_not1_b32 vcc_lo, exec_lo, s16
	s_cbranch_vccnz .LBB33_2312
; %bb.2311:
	global_load_b32 v1, v[4:5], off
	s_wait_loadcnt 0x0
	v_cvt_f32_i32_e32 v13, v1
.LBB33_2312:
	s_mov_b32 s16, 0
.LBB33_2313:
	s_delay_alu instid0(SALU_CYCLE_1)
	s_and_not1_b32 vcc_lo, exec_lo, s16
	s_cbranch_vccnz .LBB33_2315
; %bb.2314:
	global_load_i16 v1, v[4:5], off
	s_wait_loadcnt 0x0
	v_cvt_f32_i32_e32 v13, v1
.LBB33_2315:
	s_mov_b32 s16, 0
.LBB33_2316:
	s_delay_alu instid0(SALU_CYCLE_1)
	s_and_not1_b32 vcc_lo, exec_lo, s16
	s_cbranch_vccnz .LBB33_2322
; %bb.2317:
	s_cmp_gt_i32 s13, 0
	s_mov_b32 s13, 0
	s_cbranch_scc0 .LBB33_2319
; %bb.2318:
	global_load_i8 v1, v[4:5], off
	s_wait_loadcnt 0x0
	v_cvt_f32_i32_e32 v13, v1
	s_branch .LBB33_2320
.LBB33_2319:
	s_mov_b32 s13, -1
                                        ; implicit-def: $vgpr13
.LBB33_2320:
	s_delay_alu instid0(SALU_CYCLE_1)
	s_and_not1_b32 vcc_lo, exec_lo, s13
	s_cbranch_vccnz .LBB33_2322
; %bb.2321:
	global_load_u8 v1, v[4:5], off
	s_wait_loadcnt 0x0
	v_cvt_f32_ubyte0_e32 v13, v1
.LBB33_2322:
	s_mov_b32 s18, -1
.LBB33_2323:
	s_delay_alu instid0(SALU_CYCLE_1)
	s_and_not1_b32 vcc_lo, exec_lo, s18
	s_cbranch_vccnz .LBB33_3016
; %bb.2324:
	v_add_nc_u32_e32 v0, s9, v0
	s_cmp_lt_i32 s0, 11
	s_delay_alu instid0(VALU_DEP_1) | instskip(NEXT) | instid1(VALU_DEP_1)
	v_ashrrev_i32_e32 v1, 31, v0
	v_add_nc_u64_e32 v[0:1], s[6:7], v[0:1]
	s_cbranch_scc1 .LBB33_2331
; %bb.2325:
	s_and_b32 s6, 0xffff, s0
	s_mov_b32 s9, 0
	s_cmp_gt_i32 s6, 25
	s_cbranch_scc0 .LBB33_2332
; %bb.2326:
	s_cmp_gt_i32 s6, 28
	s_cbranch_scc0 .LBB33_2333
; %bb.2327:
	;; [unrolled: 3-line block ×4, first 2 shown]
	s_cmp_eq_u32 s6, 46
	s_mov_b32 s16, 0
	s_cbranch_scc0 .LBB33_2337
; %bb.2330:
	global_load_b32 v3, v[0:1], off
	s_mov_b32 s7, 0
	s_mov_b32 s13, -1
	s_wait_loadcnt 0x0
	v_lshlrev_b32_e32 v12, 16, v3
	s_branch .LBB33_2339
.LBB33_2331:
	s_mov_b32 s6, -1
	s_mov_b32 s13, 0
                                        ; implicit-def: $vgpr12
	s_branch .LBB33_2405
.LBB33_2332:
	s_mov_b32 s16, -1
	s_mov_b32 s13, 0
	s_mov_b32 s7, 0
                                        ; implicit-def: $vgpr12
	s_branch .LBB33_2368
.LBB33_2333:
	s_mov_b32 s16, -1
	s_mov_b32 s13, 0
	s_mov_b32 s7, 0
                                        ; implicit-def: $vgpr12
	s_branch .LBB33_2349
.LBB33_2334:
	s_mov_b32 s16, -1
	s_mov_b32 s13, 0
	s_mov_b32 s7, 0
                                        ; implicit-def: $vgpr12
	s_branch .LBB33_2344
.LBB33_2335:
	s_or_b32 s12, s12, exec_lo
	s_trap 2
	s_cbranch_execz .LBB33_2272
	s_branch .LBB33_2273
.LBB33_2336:
	s_mov_b32 s16, -1
	s_mov_b32 s13, 0
	s_mov_b32 s7, 0
	s_branch .LBB33_2338
.LBB33_2337:
	s_mov_b32 s7, -1
	s_mov_b32 s13, 0
.LBB33_2338:
                                        ; implicit-def: $vgpr12
.LBB33_2339:
	s_and_b32 vcc_lo, exec_lo, s16
	s_cbranch_vccz .LBB33_2343
; %bb.2340:
	s_cmp_eq_u32 s6, 44
	s_cbranch_scc0 .LBB33_2342
; %bb.2341:
	global_load_u8 v3, v[0:1], off
	s_mov_b32 s7, 0
	s_mov_b32 s13, -1
	s_wait_loadcnt 0x0
	s_wait_xcnt 0x1
	v_lshlrev_b32_e32 v4, 23, v3
	v_cmp_ne_u32_e32 vcc_lo, 0xff, v3
	s_delay_alu instid0(VALU_DEP_2) | instskip(SKIP_1) | instid1(VALU_DEP_2)
	v_cndmask_b32_e32 v4, 0x7f800001, v4, vcc_lo
	v_cmp_ne_u32_e32 vcc_lo, 0, v3
	v_cndmask_b32_e32 v12, 0x400000, v4, vcc_lo
	s_branch .LBB33_2343
.LBB33_2342:
	s_mov_b32 s7, -1
                                        ; implicit-def: $vgpr12
.LBB33_2343:
	s_mov_b32 s16, 0
.LBB33_2344:
	s_delay_alu instid0(SALU_CYCLE_1)
	s_and_b32 vcc_lo, exec_lo, s16
	s_cbranch_vccz .LBB33_2348
; %bb.2345:
	s_cmp_eq_u32 s6, 29
	s_cbranch_scc0 .LBB33_2347
; %bb.2346:
	global_load_b64 v[4:5], v[0:1], off
	s_mov_b32 s7, 0
	s_mov_b32 s13, -1
	s_mov_b32 s16, 0
	s_wait_loadcnt 0x0
	v_clz_i32_u32_e32 v3, v5
	s_delay_alu instid0(VALU_DEP_1) | instskip(NEXT) | instid1(VALU_DEP_1)
	v_min_u32_e32 v3, 32, v3
	v_lshlrev_b64_e32 v[4:5], v3, v[4:5]
	v_sub_nc_u32_e32 v3, 32, v3
	s_delay_alu instid0(VALU_DEP_2) | instskip(NEXT) | instid1(VALU_DEP_1)
	v_min_u32_e32 v4, 1, v4
	v_or_b32_e32 v4, v5, v4
	s_delay_alu instid0(VALU_DEP_1) | instskip(NEXT) | instid1(VALU_DEP_1)
	v_cvt_f32_u32_e32 v4, v4
	v_ldexp_f32 v12, v4, v3
	s_branch .LBB33_2349
.LBB33_2347:
	s_mov_b32 s7, -1
                                        ; implicit-def: $vgpr12
.LBB33_2348:
	s_mov_b32 s16, 0
.LBB33_2349:
	s_delay_alu instid0(SALU_CYCLE_1)
	s_and_b32 vcc_lo, exec_lo, s16
	s_cbranch_vccz .LBB33_2367
; %bb.2350:
	s_cmp_lt_i32 s6, 27
	s_cbranch_scc1 .LBB33_2353
; %bb.2351:
	s_cmp_gt_i32 s6, 27
	s_cbranch_scc0 .LBB33_2354
; %bb.2352:
	global_load_b32 v3, v[0:1], off
	s_mov_b32 s13, 0
	s_wait_loadcnt 0x0
	v_cvt_f32_u32_e32 v12, v3
	s_branch .LBB33_2355
.LBB33_2353:
	s_mov_b32 s13, -1
                                        ; implicit-def: $vgpr12
	s_branch .LBB33_2358
.LBB33_2354:
	s_mov_b32 s13, -1
                                        ; implicit-def: $vgpr12
.LBB33_2355:
	s_delay_alu instid0(SALU_CYCLE_1)
	s_and_not1_b32 vcc_lo, exec_lo, s13
	s_cbranch_vccnz .LBB33_2357
; %bb.2356:
	global_load_u16 v3, v[0:1], off
	s_wait_loadcnt 0x0
	v_cvt_f32_u32_e32 v12, v3
.LBB33_2357:
	s_mov_b32 s13, 0
.LBB33_2358:
	s_delay_alu instid0(SALU_CYCLE_1)
	s_and_not1_b32 vcc_lo, exec_lo, s13
	s_cbranch_vccnz .LBB33_2366
; %bb.2359:
	global_load_u8 v3, v[0:1], off
	s_mov_b32 s13, 0
	s_mov_b32 s16, exec_lo
	s_wait_loadcnt 0x0
	v_cmpx_lt_i16_e32 0x7f, v3
	s_xor_b32 s16, exec_lo, s16
	s_cbranch_execz .LBB33_2380
; %bb.2360:
	s_mov_b32 s13, -1
	s_mov_b32 s17, exec_lo
	v_cmpx_eq_u16_e32 0x80, v3
; %bb.2361:
	s_xor_b32 s13, exec_lo, -1
; %bb.2362:
	s_or_b32 exec_lo, exec_lo, s17
	s_delay_alu instid0(SALU_CYCLE_1)
	s_and_b32 s13, s13, exec_lo
	s_or_saveexec_b32 s16, s16
	v_mov_b32_e32 v12, 0x7f800001
	s_xor_b32 exec_lo, exec_lo, s16
	s_cbranch_execnz .LBB33_2381
.LBB33_2363:
	s_or_b32 exec_lo, exec_lo, s16
	s_and_saveexec_b32 s16, s13
	s_cbranch_execz .LBB33_2365
.LBB33_2364:
	v_and_b32_e32 v4, 0xffff, v3
	s_delay_alu instid0(VALU_DEP_1) | instskip(SKIP_1) | instid1(VALU_DEP_2)
	v_dual_lshlrev_b32 v3, 24, v3 :: v_dual_bitop2_b32 v5, 7, v4 bitop3:0x40
	v_bfe_u32 v15, v4, 3, 4
	v_and_b32_e32 v3, 0x80000000, v3
	s_delay_alu instid0(VALU_DEP_3) | instskip(NEXT) | instid1(VALU_DEP_3)
	v_clz_i32_u32_e32 v12, v5
	v_cmp_eq_u32_e32 vcc_lo, 0, v15
	s_delay_alu instid0(VALU_DEP_2) | instskip(NEXT) | instid1(VALU_DEP_1)
	v_min_u32_e32 v12, 32, v12
	v_subrev_nc_u32_e32 v14, 28, v12
	v_sub_nc_u32_e32 v12, 29, v12
	s_delay_alu instid0(VALU_DEP_2) | instskip(NEXT) | instid1(VALU_DEP_2)
	v_lshlrev_b32_e32 v4, v14, v4
	v_cndmask_b32_e32 v12, v15, v12, vcc_lo
	s_delay_alu instid0(VALU_DEP_2) | instskip(NEXT) | instid1(VALU_DEP_1)
	v_and_b32_e32 v4, 7, v4
	v_cndmask_b32_e32 v4, v5, v4, vcc_lo
	s_delay_alu instid0(VALU_DEP_3) | instskip(NEXT) | instid1(VALU_DEP_2)
	v_lshl_add_u32 v5, v12, 23, 0x3b800000
	v_lshlrev_b32_e32 v4, 20, v4
	s_delay_alu instid0(VALU_DEP_1)
	v_or3_b32 v12, v3, v5, v4
.LBB33_2365:
	s_or_b32 exec_lo, exec_lo, s16
.LBB33_2366:
	s_mov_b32 s13, -1
.LBB33_2367:
	s_mov_b32 s16, 0
.LBB33_2368:
	s_delay_alu instid0(SALU_CYCLE_1)
	s_and_b32 vcc_lo, exec_lo, s16
	s_cbranch_vccz .LBB33_2401
; %bb.2369:
	s_cmp_gt_i32 s6, 22
	s_cbranch_scc0 .LBB33_2379
; %bb.2370:
	s_cmp_lt_i32 s6, 24
	s_cbranch_scc1 .LBB33_2382
; %bb.2371:
	s_cmp_gt_i32 s6, 24
	s_cbranch_scc0 .LBB33_2383
; %bb.2372:
	global_load_u8 v3, v[0:1], off
	s_mov_b32 s13, exec_lo
	s_wait_loadcnt 0x0
	v_cmpx_lt_i16_e32 0x7f, v3
	s_xor_b32 s13, exec_lo, s13
	s_cbranch_execz .LBB33_2395
; %bb.2373:
	s_mov_b32 s9, -1
	s_mov_b32 s16, exec_lo
	v_cmpx_eq_u16_e32 0x80, v3
; %bb.2374:
	s_xor_b32 s9, exec_lo, -1
; %bb.2375:
	s_or_b32 exec_lo, exec_lo, s16
	s_delay_alu instid0(SALU_CYCLE_1)
	s_and_b32 s9, s9, exec_lo
	s_or_saveexec_b32 s13, s13
	v_mov_b32_e32 v12, 0x7f800001
	s_xor_b32 exec_lo, exec_lo, s13
	s_cbranch_execnz .LBB33_2396
.LBB33_2376:
	s_or_b32 exec_lo, exec_lo, s13
	s_and_saveexec_b32 s13, s9
	s_cbranch_execz .LBB33_2378
.LBB33_2377:
	v_and_b32_e32 v4, 0xffff, v3
	s_delay_alu instid0(VALU_DEP_1) | instskip(SKIP_1) | instid1(VALU_DEP_2)
	v_dual_lshlrev_b32 v3, 24, v3 :: v_dual_bitop2_b32 v5, 3, v4 bitop3:0x40
	v_bfe_u32 v15, v4, 2, 5
	v_and_b32_e32 v3, 0x80000000, v3
	s_delay_alu instid0(VALU_DEP_3) | instskip(NEXT) | instid1(VALU_DEP_3)
	v_clz_i32_u32_e32 v12, v5
	v_cmp_eq_u32_e32 vcc_lo, 0, v15
	s_delay_alu instid0(VALU_DEP_2) | instskip(NEXT) | instid1(VALU_DEP_1)
	v_min_u32_e32 v12, 32, v12
	v_subrev_nc_u32_e32 v14, 29, v12
	v_sub_nc_u32_e32 v12, 30, v12
	s_delay_alu instid0(VALU_DEP_2) | instskip(NEXT) | instid1(VALU_DEP_2)
	v_lshlrev_b32_e32 v4, v14, v4
	v_cndmask_b32_e32 v12, v15, v12, vcc_lo
	s_delay_alu instid0(VALU_DEP_2) | instskip(NEXT) | instid1(VALU_DEP_1)
	v_and_b32_e32 v4, 3, v4
	v_cndmask_b32_e32 v4, v5, v4, vcc_lo
	s_delay_alu instid0(VALU_DEP_3) | instskip(NEXT) | instid1(VALU_DEP_2)
	v_lshl_add_u32 v5, v12, 23, 0x37800000
	v_lshlrev_b32_e32 v4, 21, v4
	s_delay_alu instid0(VALU_DEP_1)
	v_or3_b32 v12, v3, v5, v4
.LBB33_2378:
	s_or_b32 exec_lo, exec_lo, s13
	s_mov_b32 s9, 0
	s_branch .LBB33_2384
.LBB33_2379:
	s_mov_b32 s9, -1
                                        ; implicit-def: $vgpr12
	s_branch .LBB33_2390
.LBB33_2380:
	s_or_saveexec_b32 s16, s16
	v_mov_b32_e32 v12, 0x7f800001
	s_xor_b32 exec_lo, exec_lo, s16
	s_cbranch_execz .LBB33_2363
.LBB33_2381:
	v_cmp_ne_u16_e32 vcc_lo, 0, v3
	v_mov_b32_e32 v12, 0
	s_and_not1_b32 s13, s13, exec_lo
	s_and_b32 s17, vcc_lo, exec_lo
	s_delay_alu instid0(SALU_CYCLE_1)
	s_or_b32 s13, s13, s17
	s_or_b32 exec_lo, exec_lo, s16
	s_and_saveexec_b32 s16, s13
	s_cbranch_execnz .LBB33_2364
	s_branch .LBB33_2365
.LBB33_2382:
	s_mov_b32 s9, -1
                                        ; implicit-def: $vgpr12
	s_branch .LBB33_2387
.LBB33_2383:
	s_mov_b32 s9, -1
                                        ; implicit-def: $vgpr12
.LBB33_2384:
	s_delay_alu instid0(SALU_CYCLE_1)
	s_and_b32 vcc_lo, exec_lo, s9
	s_cbranch_vccz .LBB33_2386
; %bb.2385:
	global_load_u8 v3, v[0:1], off
	s_wait_loadcnt 0x0
	v_lshlrev_b32_e32 v3, 24, v3
	s_wait_xcnt 0x1
	s_delay_alu instid0(VALU_DEP_1) | instskip(NEXT) | instid1(VALU_DEP_1)
	v_and_b32_e32 v4, 0x7f000000, v3
	v_clz_i32_u32_e32 v5, v4
	v_add_nc_u32_e32 v14, 0x1000000, v4
	v_cmp_ne_u32_e32 vcc_lo, 0, v4
	s_delay_alu instid0(VALU_DEP_3) | instskip(NEXT) | instid1(VALU_DEP_1)
	v_min_u32_e32 v5, 32, v5
	v_sub_nc_u32_e64 v5, v5, 4 clamp
	s_delay_alu instid0(VALU_DEP_1) | instskip(NEXT) | instid1(VALU_DEP_1)
	v_dual_lshlrev_b32 v12, v5, v4 :: v_dual_lshlrev_b32 v5, 23, v5
	v_lshrrev_b32_e32 v12, 4, v12
	s_delay_alu instid0(VALU_DEP_1) | instskip(NEXT) | instid1(VALU_DEP_1)
	v_dual_sub_nc_u32 v5, v12, v5 :: v_dual_ashrrev_i32 v12, 8, v14
	v_add_nc_u32_e32 v5, 0x3c000000, v5
	s_delay_alu instid0(VALU_DEP_1) | instskip(NEXT) | instid1(VALU_DEP_1)
	v_and_or_b32 v5, 0x7f800000, v12, v5
	v_cndmask_b32_e32 v4, 0, v5, vcc_lo
	s_delay_alu instid0(VALU_DEP_1)
	v_and_or_b32 v12, 0x80000000, v3, v4
.LBB33_2386:
	s_mov_b32 s9, 0
.LBB33_2387:
	s_delay_alu instid0(SALU_CYCLE_1)
	s_and_not1_b32 vcc_lo, exec_lo, s9
	s_cbranch_vccnz .LBB33_2389
; %bb.2388:
	global_load_u8 v3, v[0:1], off
	s_wait_loadcnt 0x0
	s_wait_xcnt 0x1
	v_lshlrev_b32_e32 v4, 25, v3
	v_lshlrev_b16 v3, 8, v3
	s_delay_alu instid0(VALU_DEP_1) | instskip(SKIP_1) | instid1(VALU_DEP_2)
	v_and_or_b32 v12, 0x7f00, v3, 0.5
	v_bfe_i32 v3, v3, 0, 16
	v_add_f32_e32 v12, -0.5, v12
	v_lshrrev_b32_e32 v5, 4, v4
	v_cmp_gt_u32_e32 vcc_lo, 0x8000000, v4
	s_delay_alu instid0(VALU_DEP_2) | instskip(NEXT) | instid1(VALU_DEP_1)
	v_or_b32_e32 v5, 0x70000000, v5
	v_mul_f32_e32 v5, 0x7800000, v5
	s_delay_alu instid0(VALU_DEP_1) | instskip(NEXT) | instid1(VALU_DEP_1)
	v_cndmask_b32_e32 v4, v5, v12, vcc_lo
	v_and_or_b32 v12, 0x80000000, v3, v4
.LBB33_2389:
	s_mov_b32 s9, 0
	s_mov_b32 s13, -1
.LBB33_2390:
	s_and_not1_b32 vcc_lo, exec_lo, s9
	s_mov_b32 s9, 0
	s_cbranch_vccnz .LBB33_2401
; %bb.2391:
	s_cmp_gt_i32 s6, 14
	s_cbranch_scc0 .LBB33_2394
; %bb.2392:
	s_cmp_eq_u32 s6, 15
	s_cbranch_scc0 .LBB33_2397
; %bb.2393:
	global_load_u16 v3, v[0:1], off
	s_mov_b32 s7, 0
	s_mov_b32 s13, -1
	s_wait_loadcnt 0x0
	v_lshlrev_b32_e32 v12, 16, v3
	s_branch .LBB33_2399
.LBB33_2394:
	s_mov_b32 s9, -1
	s_branch .LBB33_2398
.LBB33_2395:
	s_or_saveexec_b32 s13, s13
	v_mov_b32_e32 v12, 0x7f800001
	s_xor_b32 exec_lo, exec_lo, s13
	s_cbranch_execz .LBB33_2376
.LBB33_2396:
	v_cmp_ne_u16_e32 vcc_lo, 0, v3
	v_mov_b32_e32 v12, 0
	s_and_not1_b32 s9, s9, exec_lo
	s_and_b32 s16, vcc_lo, exec_lo
	s_delay_alu instid0(SALU_CYCLE_1)
	s_or_b32 s9, s9, s16
	s_or_b32 exec_lo, exec_lo, s13
	s_and_saveexec_b32 s13, s9
	s_cbranch_execnz .LBB33_2377
	s_branch .LBB33_2378
.LBB33_2397:
	s_mov_b32 s7, -1
.LBB33_2398:
                                        ; implicit-def: $vgpr12
.LBB33_2399:
	s_and_b32 vcc_lo, exec_lo, s9
	s_mov_b32 s9, 0
	s_cbranch_vccz .LBB33_2401
; %bb.2400:
	s_cmp_lg_u32 s6, 11
	s_mov_b32 s9, -1
	s_cselect_b32 s7, -1, 0
.LBB33_2401:
	s_delay_alu instid0(SALU_CYCLE_1)
	s_and_b32 vcc_lo, exec_lo, s7
	s_cbranch_vccnz .LBB33_2466
; %bb.2402:
	s_and_not1_b32 vcc_lo, exec_lo, s9
	s_cbranch_vccnz .LBB33_2404
.LBB33_2403:
	global_load_u8 v3, v[0:1], off
	s_mov_b32 s13, -1
	s_wait_loadcnt 0x0
	v_cmp_ne_u16_e32 vcc_lo, 0, v3
	v_cndmask_b32_e64 v12, 0, 1.0, vcc_lo
.LBB33_2404:
	s_mov_b32 s6, 0
.LBB33_2405:
	s_delay_alu instid0(SALU_CYCLE_1)
	s_and_b32 vcc_lo, exec_lo, s6
	s_cbranch_vccz .LBB33_2454
; %bb.2406:
	s_and_b32 s0, 0xffff, s0
	s_delay_alu instid0(SALU_CYCLE_1)
	s_cmp_lt_i32 s0, 5
	s_cbranch_scc1 .LBB33_2411
; %bb.2407:
	s_cmp_lt_i32 s0, 8
	s_cbranch_scc1 .LBB33_2412
; %bb.2408:
	s_cmp_lt_i32 s0, 9
	s_cbranch_scc1 .LBB33_2413
; %bb.2409:
	s_cmp_gt_i32 s0, 9
	s_cbranch_scc0 .LBB33_2414
; %bb.2410:
	global_load_b64 v[4:5], v[0:1], off
	s_mov_b32 s6, 0
	s_wait_loadcnt 0x0
	v_cvt_f32_f64_e32 v12, v[4:5]
	s_branch .LBB33_2415
.LBB33_2411:
	s_mov_b32 s6, -1
                                        ; implicit-def: $vgpr12
	s_branch .LBB33_2433
.LBB33_2412:
	s_mov_b32 s6, -1
                                        ; implicit-def: $vgpr12
	s_branch .LBB33_2421
.LBB33_2413:
	s_mov_b32 s6, -1
                                        ; implicit-def: $vgpr12
	s_branch .LBB33_2418
.LBB33_2414:
	s_mov_b32 s6, -1
                                        ; implicit-def: $vgpr12
.LBB33_2415:
	s_delay_alu instid0(SALU_CYCLE_1)
	s_and_not1_b32 vcc_lo, exec_lo, s6
	s_cbranch_vccnz .LBB33_2417
; %bb.2416:
	global_load_b32 v12, v[0:1], off
.LBB33_2417:
	s_mov_b32 s6, 0
.LBB33_2418:
	s_delay_alu instid0(SALU_CYCLE_1)
	s_and_not1_b32 vcc_lo, exec_lo, s6
	s_cbranch_vccnz .LBB33_2420
; %bb.2419:
	global_load_b32 v3, v[0:1], off
	s_wait_loadcnt 0x0
	v_cvt_f32_f16_e32 v12, v3
.LBB33_2420:
	s_mov_b32 s6, 0
.LBB33_2421:
	s_delay_alu instid0(SALU_CYCLE_1)
	s_and_not1_b32 vcc_lo, exec_lo, s6
	s_cbranch_vccnz .LBB33_2432
; %bb.2422:
	s_cmp_lt_i32 s0, 6
	s_cbranch_scc1 .LBB33_2425
; %bb.2423:
	s_cmp_gt_i32 s0, 6
	s_cbranch_scc0 .LBB33_2426
; %bb.2424:
	global_load_b64 v[4:5], v[0:1], off
	s_mov_b32 s6, 0
	s_wait_loadcnt 0x0
	v_cvt_f32_f64_e32 v12, v[4:5]
	s_branch .LBB33_2427
.LBB33_2425:
	s_mov_b32 s6, -1
                                        ; implicit-def: $vgpr12
	s_branch .LBB33_2430
.LBB33_2426:
	s_mov_b32 s6, -1
                                        ; implicit-def: $vgpr12
.LBB33_2427:
	s_delay_alu instid0(SALU_CYCLE_1)
	s_and_not1_b32 vcc_lo, exec_lo, s6
	s_cbranch_vccnz .LBB33_2429
; %bb.2428:
	s_wait_loadcnt 0x0
	global_load_b32 v12, v[0:1], off
.LBB33_2429:
	s_mov_b32 s6, 0
.LBB33_2430:
	s_delay_alu instid0(SALU_CYCLE_1)
	s_and_not1_b32 vcc_lo, exec_lo, s6
	s_cbranch_vccnz .LBB33_2432
; %bb.2431:
	global_load_u16 v3, v[0:1], off
	s_wait_loadcnt 0x0
	v_cvt_f32_f16_e32 v12, v3
.LBB33_2432:
	s_mov_b32 s6, 0
.LBB33_2433:
	s_delay_alu instid0(SALU_CYCLE_1)
	s_and_not1_b32 vcc_lo, exec_lo, s6
	s_cbranch_vccnz .LBB33_2453
; %bb.2434:
	s_cmp_lt_i32 s0, 2
	s_cbranch_scc1 .LBB33_2438
; %bb.2435:
	s_cmp_lt_i32 s0, 3
	s_cbranch_scc1 .LBB33_2439
; %bb.2436:
	s_cmp_gt_i32 s0, 3
	s_cbranch_scc0 .LBB33_2440
; %bb.2437:
	global_load_b64 v[4:5], v[0:1], off
	s_mov_b32 s6, 0
	s_wait_loadcnt 0x0
	v_xor_b32_e32 v3, v4, v5
	v_cls_i32_e32 v12, v5
	s_delay_alu instid0(VALU_DEP_2) | instskip(NEXT) | instid1(VALU_DEP_1)
	v_ashrrev_i32_e32 v3, 31, v3
	v_add_nc_u32_e32 v3, 32, v3
	s_delay_alu instid0(VALU_DEP_1) | instskip(NEXT) | instid1(VALU_DEP_1)
	v_add_min_u32_e64 v3, v12, -1, v3
	v_lshlrev_b64_e32 v[4:5], v3, v[4:5]
	v_sub_nc_u32_e32 v3, 32, v3
	s_delay_alu instid0(VALU_DEP_2) | instskip(NEXT) | instid1(VALU_DEP_1)
	v_min_u32_e32 v4, 1, v4
	v_or_b32_e32 v4, v5, v4
	s_delay_alu instid0(VALU_DEP_1) | instskip(NEXT) | instid1(VALU_DEP_1)
	v_cvt_f32_i32_e32 v4, v4
	v_ldexp_f32 v12, v4, v3
	s_branch .LBB33_2441
.LBB33_2438:
	s_mov_b32 s6, -1
                                        ; implicit-def: $vgpr12
	s_branch .LBB33_2447
.LBB33_2439:
	s_mov_b32 s6, -1
                                        ; implicit-def: $vgpr12
	s_branch .LBB33_2444
.LBB33_2440:
	s_mov_b32 s6, -1
                                        ; implicit-def: $vgpr12
.LBB33_2441:
	s_delay_alu instid0(SALU_CYCLE_1)
	s_and_not1_b32 vcc_lo, exec_lo, s6
	s_cbranch_vccnz .LBB33_2443
; %bb.2442:
	global_load_b32 v3, v[0:1], off
	s_wait_loadcnt 0x0
	v_cvt_f32_i32_e32 v12, v3
.LBB33_2443:
	s_mov_b32 s6, 0
.LBB33_2444:
	s_delay_alu instid0(SALU_CYCLE_1)
	s_and_not1_b32 vcc_lo, exec_lo, s6
	s_cbranch_vccnz .LBB33_2446
; %bb.2445:
	global_load_i16 v3, v[0:1], off
	s_wait_loadcnt 0x0
	v_cvt_f32_i32_e32 v12, v3
.LBB33_2446:
	s_mov_b32 s6, 0
.LBB33_2447:
	s_delay_alu instid0(SALU_CYCLE_1)
	s_and_not1_b32 vcc_lo, exec_lo, s6
	s_cbranch_vccnz .LBB33_2453
; %bb.2448:
	s_cmp_gt_i32 s0, 0
	s_mov_b32 s0, 0
	s_cbranch_scc0 .LBB33_2450
; %bb.2449:
	global_load_i8 v3, v[0:1], off
	s_wait_loadcnt 0x0
	v_cvt_f32_i32_e32 v12, v3
	s_branch .LBB33_2451
.LBB33_2450:
	s_mov_b32 s0, -1
                                        ; implicit-def: $vgpr12
.LBB33_2451:
	s_delay_alu instid0(SALU_CYCLE_1)
	s_and_not1_b32 vcc_lo, exec_lo, s0
	s_cbranch_vccnz .LBB33_2453
; %bb.2452:
	global_load_u8 v0, v[0:1], off
	s_wait_loadcnt 0x0
	v_cvt_f32_ubyte0_e32 v12, v0
.LBB33_2453:
	s_mov_b32 s13, -1
.LBB33_2454:
	s_delay_alu instid0(SALU_CYCLE_1)
	s_and_not1_b32 vcc_lo, exec_lo, s13
	s_cbranch_vccnz .LBB33_3016
; %bb.2455:
	s_wait_xcnt 0x0
	v_add_nc_u32_e32 v0, s10, v2
	s_cmp_lt_i32 s1, 11
	s_delay_alu instid0(VALU_DEP_1) | instskip(NEXT) | instid1(VALU_DEP_1)
	v_ashrrev_i32_e32 v1, 31, v0
	v_add_nc_u64_e32 v[0:1], s[2:3], v[0:1]
	s_cbranch_scc1 .LBB33_2462
; %bb.2456:
	s_and_b32 s0, 0xffff, s1
	s_mov_b32 s3, 0
	s_cmp_gt_i32 s0, 25
	s_cbranch_scc0 .LBB33_2463
; %bb.2457:
	s_cmp_gt_i32 s0, 28
	s_cbranch_scc0 .LBB33_2464
; %bb.2458:
	;; [unrolled: 3-line block ×4, first 2 shown]
	s_cmp_eq_u32 s0, 46
	s_mov_b32 s7, 0
	s_cbranch_scc0 .LBB33_2468
; %bb.2461:
	global_load_b32 v2, v[0:1], off
	s_mov_b32 s2, 0
	s_mov_b32 s6, -1
	s_wait_loadcnt 0x0
	v_lshlrev_b32_e32 v14, 16, v2
	s_branch .LBB33_2470
.LBB33_2462:
	s_mov_b32 s0, -1
	s_mov_b32 s6, 0
                                        ; implicit-def: $vgpr14
	s_branch .LBB33_2536
.LBB33_2463:
	s_mov_b32 s7, -1
	s_mov_b32 s6, 0
	s_mov_b32 s2, 0
                                        ; implicit-def: $vgpr14
	s_branch .LBB33_2499
.LBB33_2464:
	s_mov_b32 s7, -1
	s_mov_b32 s6, 0
	s_mov_b32 s2, 0
                                        ; implicit-def: $vgpr14
	s_branch .LBB33_2480
.LBB33_2465:
	s_mov_b32 s7, -1
	s_mov_b32 s6, 0
	s_mov_b32 s2, 0
                                        ; implicit-def: $vgpr14
	s_branch .LBB33_2475
.LBB33_2466:
	s_or_b32 s12, s12, exec_lo
	s_trap 2
	s_cbranch_execz .LBB33_2403
	s_branch .LBB33_2404
.LBB33_2467:
	s_mov_b32 s7, -1
	s_mov_b32 s6, 0
	s_mov_b32 s2, 0
	s_branch .LBB33_2469
.LBB33_2468:
	s_mov_b32 s2, -1
	s_mov_b32 s6, 0
.LBB33_2469:
                                        ; implicit-def: $vgpr14
.LBB33_2470:
	s_and_b32 vcc_lo, exec_lo, s7
	s_cbranch_vccz .LBB33_2474
; %bb.2471:
	s_cmp_eq_u32 s0, 44
	s_cbranch_scc0 .LBB33_2473
; %bb.2472:
	global_load_u8 v2, v[0:1], off
	s_mov_b32 s2, 0
	s_mov_b32 s6, -1
	s_wait_loadcnt 0x0
	v_lshlrev_b32_e32 v3, 23, v2
	v_cmp_ne_u32_e32 vcc_lo, 0xff, v2
	s_delay_alu instid0(VALU_DEP_2) | instskip(SKIP_1) | instid1(VALU_DEP_2)
	v_cndmask_b32_e32 v3, 0x7f800001, v3, vcc_lo
	v_cmp_ne_u32_e32 vcc_lo, 0, v2
	v_cndmask_b32_e32 v14, 0x400000, v3, vcc_lo
	s_branch .LBB33_2474
.LBB33_2473:
	s_mov_b32 s2, -1
                                        ; implicit-def: $vgpr14
.LBB33_2474:
	s_mov_b32 s7, 0
.LBB33_2475:
	s_delay_alu instid0(SALU_CYCLE_1)
	s_and_b32 vcc_lo, exec_lo, s7
	s_cbranch_vccz .LBB33_2479
; %bb.2476:
	s_cmp_eq_u32 s0, 29
	s_cbranch_scc0 .LBB33_2478
; %bb.2477:
	global_load_b64 v[2:3], v[0:1], off
	s_mov_b32 s2, 0
	s_mov_b32 s6, -1
	s_mov_b32 s7, 0
	s_wait_loadcnt 0x0
	v_clz_i32_u32_e32 v4, v3
	s_delay_alu instid0(VALU_DEP_1) | instskip(NEXT) | instid1(VALU_DEP_1)
	v_min_u32_e32 v4, 32, v4
	v_lshlrev_b64_e32 v[2:3], v4, v[2:3]
	s_delay_alu instid0(VALU_DEP_1) | instskip(NEXT) | instid1(VALU_DEP_1)
	v_min_u32_e32 v2, 1, v2
	v_dual_sub_nc_u32 v3, 32, v4 :: v_dual_bitop2_b32 v2, v3, v2 bitop3:0x54
	s_delay_alu instid0(VALU_DEP_1) | instskip(NEXT) | instid1(VALU_DEP_1)
	v_cvt_f32_u32_e32 v2, v2
	v_ldexp_f32 v14, v2, v3
	s_branch .LBB33_2480
.LBB33_2478:
	s_mov_b32 s2, -1
                                        ; implicit-def: $vgpr14
.LBB33_2479:
	s_mov_b32 s7, 0
.LBB33_2480:
	s_delay_alu instid0(SALU_CYCLE_1)
	s_and_b32 vcc_lo, exec_lo, s7
	s_cbranch_vccz .LBB33_2498
; %bb.2481:
	s_cmp_lt_i32 s0, 27
	s_cbranch_scc1 .LBB33_2484
; %bb.2482:
	s_cmp_gt_i32 s0, 27
	s_cbranch_scc0 .LBB33_2485
; %bb.2483:
	global_load_b32 v2, v[0:1], off
	s_mov_b32 s6, 0
	s_wait_loadcnt 0x0
	v_cvt_f32_u32_e32 v14, v2
	s_branch .LBB33_2486
.LBB33_2484:
	s_mov_b32 s6, -1
                                        ; implicit-def: $vgpr14
	s_branch .LBB33_2489
.LBB33_2485:
	s_mov_b32 s6, -1
                                        ; implicit-def: $vgpr14
.LBB33_2486:
	s_delay_alu instid0(SALU_CYCLE_1)
	s_and_not1_b32 vcc_lo, exec_lo, s6
	s_cbranch_vccnz .LBB33_2488
; %bb.2487:
	global_load_u16 v2, v[0:1], off
	s_wait_loadcnt 0x0
	v_cvt_f32_u32_e32 v14, v2
.LBB33_2488:
	s_mov_b32 s6, 0
.LBB33_2489:
	s_delay_alu instid0(SALU_CYCLE_1)
	s_and_not1_b32 vcc_lo, exec_lo, s6
	s_cbranch_vccnz .LBB33_2497
; %bb.2490:
	global_load_u8 v2, v[0:1], off
	s_mov_b32 s6, 0
	s_mov_b32 s7, exec_lo
	s_wait_loadcnt 0x0
	v_cmpx_lt_i16_e32 0x7f, v2
	s_xor_b32 s7, exec_lo, s7
	s_cbranch_execz .LBB33_2511
; %bb.2491:
	s_mov_b32 s6, -1
	s_mov_b32 s9, exec_lo
	v_cmpx_eq_u16_e32 0x80, v2
; %bb.2492:
	s_xor_b32 s6, exec_lo, -1
; %bb.2493:
	s_or_b32 exec_lo, exec_lo, s9
	s_delay_alu instid0(SALU_CYCLE_1)
	s_and_b32 s6, s6, exec_lo
	s_or_saveexec_b32 s7, s7
	v_mov_b32_e32 v14, 0x7f800001
	s_xor_b32 exec_lo, exec_lo, s7
	s_cbranch_execnz .LBB33_2512
.LBB33_2494:
	s_or_b32 exec_lo, exec_lo, s7
	s_and_saveexec_b32 s7, s6
	s_cbranch_execz .LBB33_2496
.LBB33_2495:
	v_and_b32_e32 v3, 0xffff, v2
	s_delay_alu instid0(VALU_DEP_1) | instskip(SKIP_1) | instid1(VALU_DEP_2)
	v_and_b32_e32 v4, 7, v3
	v_bfe_u32 v15, v3, 3, 4
	v_clz_i32_u32_e32 v5, v4
	s_delay_alu instid0(VALU_DEP_2) | instskip(NEXT) | instid1(VALU_DEP_2)
	v_cmp_eq_u32_e32 vcc_lo, 0, v15
	v_min_u32_e32 v5, 32, v5
	s_delay_alu instid0(VALU_DEP_1) | instskip(NEXT) | instid1(VALU_DEP_1)
	v_subrev_nc_u32_e32 v14, 28, v5
	v_dual_lshlrev_b32 v3, v14, v3 :: v_dual_sub_nc_u32 v5, 29, v5
	s_delay_alu instid0(VALU_DEP_1) | instskip(NEXT) | instid1(VALU_DEP_1)
	v_dual_lshlrev_b32 v2, 24, v2 :: v_dual_bitop2_b32 v3, 7, v3 bitop3:0x40
	v_dual_cndmask_b32 v5, v15, v5, vcc_lo :: v_dual_cndmask_b32 v3, v4, v3, vcc_lo
	s_delay_alu instid0(VALU_DEP_2) | instskip(NEXT) | instid1(VALU_DEP_2)
	v_and_b32_e32 v2, 0x80000000, v2
	v_lshl_add_u32 v4, v5, 23, 0x3b800000
	s_delay_alu instid0(VALU_DEP_3) | instskip(NEXT) | instid1(VALU_DEP_1)
	v_lshlrev_b32_e32 v3, 20, v3
	v_or3_b32 v14, v2, v4, v3
.LBB33_2496:
	s_or_b32 exec_lo, exec_lo, s7
.LBB33_2497:
	s_mov_b32 s6, -1
.LBB33_2498:
	s_mov_b32 s7, 0
.LBB33_2499:
	s_delay_alu instid0(SALU_CYCLE_1)
	s_and_b32 vcc_lo, exec_lo, s7
	s_cbranch_vccz .LBB33_2532
; %bb.2500:
	s_cmp_gt_i32 s0, 22
	s_cbranch_scc0 .LBB33_2510
; %bb.2501:
	s_cmp_lt_i32 s0, 24
	s_cbranch_scc1 .LBB33_2513
; %bb.2502:
	s_cmp_gt_i32 s0, 24
	s_cbranch_scc0 .LBB33_2514
; %bb.2503:
	global_load_u8 v2, v[0:1], off
	s_mov_b32 s6, exec_lo
	s_wait_loadcnt 0x0
	v_cmpx_lt_i16_e32 0x7f, v2
	s_xor_b32 s6, exec_lo, s6
	s_cbranch_execz .LBB33_2526
; %bb.2504:
	s_mov_b32 s3, -1
	s_mov_b32 s7, exec_lo
	v_cmpx_eq_u16_e32 0x80, v2
; %bb.2505:
	s_xor_b32 s3, exec_lo, -1
; %bb.2506:
	s_or_b32 exec_lo, exec_lo, s7
	s_delay_alu instid0(SALU_CYCLE_1)
	s_and_b32 s3, s3, exec_lo
	s_or_saveexec_b32 s6, s6
	v_mov_b32_e32 v14, 0x7f800001
	s_xor_b32 exec_lo, exec_lo, s6
	s_cbranch_execnz .LBB33_2527
.LBB33_2507:
	s_or_b32 exec_lo, exec_lo, s6
	s_and_saveexec_b32 s6, s3
	s_cbranch_execz .LBB33_2509
.LBB33_2508:
	v_and_b32_e32 v3, 0xffff, v2
	s_delay_alu instid0(VALU_DEP_1) | instskip(SKIP_1) | instid1(VALU_DEP_2)
	v_and_b32_e32 v4, 3, v3
	v_bfe_u32 v15, v3, 2, 5
	v_clz_i32_u32_e32 v5, v4
	s_delay_alu instid0(VALU_DEP_2) | instskip(NEXT) | instid1(VALU_DEP_2)
	v_cmp_eq_u32_e32 vcc_lo, 0, v15
	v_min_u32_e32 v5, 32, v5
	s_delay_alu instid0(VALU_DEP_1) | instskip(NEXT) | instid1(VALU_DEP_1)
	v_subrev_nc_u32_e32 v14, 29, v5
	v_dual_lshlrev_b32 v3, v14, v3 :: v_dual_sub_nc_u32 v5, 30, v5
	s_delay_alu instid0(VALU_DEP_1) | instskip(NEXT) | instid1(VALU_DEP_1)
	v_dual_lshlrev_b32 v2, 24, v2 :: v_dual_bitop2_b32 v3, 3, v3 bitop3:0x40
	v_dual_cndmask_b32 v5, v15, v5, vcc_lo :: v_dual_cndmask_b32 v3, v4, v3, vcc_lo
	s_delay_alu instid0(VALU_DEP_2) | instskip(NEXT) | instid1(VALU_DEP_2)
	v_and_b32_e32 v2, 0x80000000, v2
	v_lshl_add_u32 v4, v5, 23, 0x37800000
	s_delay_alu instid0(VALU_DEP_3) | instskip(NEXT) | instid1(VALU_DEP_1)
	v_lshlrev_b32_e32 v3, 21, v3
	v_or3_b32 v14, v2, v4, v3
.LBB33_2509:
	s_or_b32 exec_lo, exec_lo, s6
	s_mov_b32 s3, 0
	s_branch .LBB33_2515
.LBB33_2510:
	s_mov_b32 s3, -1
                                        ; implicit-def: $vgpr14
	s_branch .LBB33_2521
.LBB33_2511:
	s_or_saveexec_b32 s7, s7
	v_mov_b32_e32 v14, 0x7f800001
	s_xor_b32 exec_lo, exec_lo, s7
	s_cbranch_execz .LBB33_2494
.LBB33_2512:
	v_cmp_ne_u16_e32 vcc_lo, 0, v2
	v_mov_b32_e32 v14, 0
	s_and_not1_b32 s6, s6, exec_lo
	s_and_b32 s9, vcc_lo, exec_lo
	s_delay_alu instid0(SALU_CYCLE_1)
	s_or_b32 s6, s6, s9
	s_or_b32 exec_lo, exec_lo, s7
	s_and_saveexec_b32 s7, s6
	s_cbranch_execnz .LBB33_2495
	s_branch .LBB33_2496
.LBB33_2513:
	s_mov_b32 s3, -1
                                        ; implicit-def: $vgpr14
	s_branch .LBB33_2518
.LBB33_2514:
	s_mov_b32 s3, -1
                                        ; implicit-def: $vgpr14
.LBB33_2515:
	s_delay_alu instid0(SALU_CYCLE_1)
	s_and_b32 vcc_lo, exec_lo, s3
	s_cbranch_vccz .LBB33_2517
; %bb.2516:
	global_load_u8 v2, v[0:1], off
	s_wait_loadcnt 0x0
	v_lshlrev_b32_e32 v2, 24, v2
	s_delay_alu instid0(VALU_DEP_1) | instskip(NEXT) | instid1(VALU_DEP_1)
	v_and_b32_e32 v3, 0x7f000000, v2
	v_clz_i32_u32_e32 v4, v3
	v_cmp_ne_u32_e32 vcc_lo, 0, v3
	v_add_nc_u32_e32 v14, 0x1000000, v3
	s_delay_alu instid0(VALU_DEP_3) | instskip(NEXT) | instid1(VALU_DEP_1)
	v_min_u32_e32 v4, 32, v4
	v_sub_nc_u32_e64 v4, v4, 4 clamp
	s_delay_alu instid0(VALU_DEP_1) | instskip(NEXT) | instid1(VALU_DEP_1)
	v_dual_lshlrev_b32 v5, v4, v3 :: v_dual_lshlrev_b32 v4, 23, v4
	v_lshrrev_b32_e32 v5, 4, v5
	s_delay_alu instid0(VALU_DEP_1) | instskip(NEXT) | instid1(VALU_DEP_1)
	v_dual_sub_nc_u32 v4, v5, v4 :: v_dual_ashrrev_i32 v5, 8, v14
	v_add_nc_u32_e32 v4, 0x3c000000, v4
	s_delay_alu instid0(VALU_DEP_1) | instskip(NEXT) | instid1(VALU_DEP_1)
	v_and_or_b32 v4, 0x7f800000, v5, v4
	v_cndmask_b32_e32 v3, 0, v4, vcc_lo
	s_delay_alu instid0(VALU_DEP_1)
	v_and_or_b32 v14, 0x80000000, v2, v3
.LBB33_2517:
	s_mov_b32 s3, 0
.LBB33_2518:
	s_delay_alu instid0(SALU_CYCLE_1)
	s_and_not1_b32 vcc_lo, exec_lo, s3
	s_cbranch_vccnz .LBB33_2520
; %bb.2519:
	global_load_u8 v2, v[0:1], off
	s_wait_loadcnt 0x0
	v_lshlrev_b32_e32 v3, 25, v2
	v_lshlrev_b16 v2, 8, v2
	s_delay_alu instid0(VALU_DEP_1) | instskip(SKIP_1) | instid1(VALU_DEP_2)
	v_and_or_b32 v5, 0x7f00, v2, 0.5
	v_bfe_i32 v2, v2, 0, 16
	v_dual_add_f32 v5, -0.5, v5 :: v_dual_lshrrev_b32 v4, 4, v3
	v_cmp_gt_u32_e32 vcc_lo, 0x8000000, v3
	s_delay_alu instid0(VALU_DEP_2) | instskip(NEXT) | instid1(VALU_DEP_1)
	v_or_b32_e32 v4, 0x70000000, v4
	v_mul_f32_e32 v4, 0x7800000, v4
	s_delay_alu instid0(VALU_DEP_1) | instskip(NEXT) | instid1(VALU_DEP_1)
	v_cndmask_b32_e32 v3, v4, v5, vcc_lo
	v_and_or_b32 v14, 0x80000000, v2, v3
.LBB33_2520:
	s_mov_b32 s3, 0
	s_mov_b32 s6, -1
.LBB33_2521:
	s_and_not1_b32 vcc_lo, exec_lo, s3
	s_mov_b32 s3, 0
	s_cbranch_vccnz .LBB33_2532
; %bb.2522:
	s_cmp_gt_i32 s0, 14
	s_cbranch_scc0 .LBB33_2525
; %bb.2523:
	s_cmp_eq_u32 s0, 15
	s_cbranch_scc0 .LBB33_2528
; %bb.2524:
	global_load_u16 v2, v[0:1], off
	s_mov_b32 s2, 0
	s_mov_b32 s6, -1
	s_wait_loadcnt 0x0
	v_lshlrev_b32_e32 v14, 16, v2
	s_branch .LBB33_2530
.LBB33_2525:
	s_mov_b32 s3, -1
	s_branch .LBB33_2529
.LBB33_2526:
	s_or_saveexec_b32 s6, s6
	v_mov_b32_e32 v14, 0x7f800001
	s_xor_b32 exec_lo, exec_lo, s6
	s_cbranch_execz .LBB33_2507
.LBB33_2527:
	v_cmp_ne_u16_e32 vcc_lo, 0, v2
	v_mov_b32_e32 v14, 0
	s_and_not1_b32 s3, s3, exec_lo
	s_and_b32 s7, vcc_lo, exec_lo
	s_delay_alu instid0(SALU_CYCLE_1)
	s_or_b32 s3, s3, s7
	s_or_b32 exec_lo, exec_lo, s6
	s_and_saveexec_b32 s6, s3
	s_cbranch_execnz .LBB33_2508
	s_branch .LBB33_2509
.LBB33_2528:
	s_mov_b32 s2, -1
.LBB33_2529:
                                        ; implicit-def: $vgpr14
.LBB33_2530:
	s_and_b32 vcc_lo, exec_lo, s3
	s_mov_b32 s3, 0
	s_cbranch_vccz .LBB33_2532
; %bb.2531:
	s_cmp_lg_u32 s0, 11
	s_mov_b32 s3, -1
	s_cselect_b32 s2, -1, 0
.LBB33_2532:
	s_delay_alu instid0(SALU_CYCLE_1)
	s_and_b32 vcc_lo, exec_lo, s2
	s_cbranch_vccnz .LBB33_3061
; %bb.2533:
	s_and_not1_b32 vcc_lo, exec_lo, s3
	s_cbranch_vccnz .LBB33_2535
.LBB33_2534:
	global_load_u8 v2, v[0:1], off
	s_mov_b32 s6, -1
	s_wait_loadcnt 0x0
	v_cmp_ne_u16_e32 vcc_lo, 0, v2
	v_cndmask_b32_e64 v14, 0, 1.0, vcc_lo
.LBB33_2535:
	s_mov_b32 s0, 0
.LBB33_2536:
	s_delay_alu instid0(SALU_CYCLE_1)
	s_and_b32 vcc_lo, exec_lo, s0
	s_cbranch_vccz .LBB33_2585
; %bb.2537:
	s_and_b32 s0, 0xffff, s1
	s_delay_alu instid0(SALU_CYCLE_1)
	s_cmp_lt_i32 s0, 5
	s_cbranch_scc1 .LBB33_2542
; %bb.2538:
	s_cmp_lt_i32 s0, 8
	s_cbranch_scc1 .LBB33_2543
; %bb.2539:
	;; [unrolled: 3-line block ×3, first 2 shown]
	s_cmp_gt_i32 s0, 9
	s_cbranch_scc0 .LBB33_2545
; %bb.2541:
	global_load_b64 v[2:3], v[0:1], off
	s_mov_b32 s1, 0
	s_wait_loadcnt 0x0
	v_cvt_f32_f64_e32 v14, v[2:3]
	s_branch .LBB33_2546
.LBB33_2542:
	s_mov_b32 s1, -1
                                        ; implicit-def: $vgpr14
	s_branch .LBB33_2564
.LBB33_2543:
	s_mov_b32 s1, -1
                                        ; implicit-def: $vgpr14
	s_branch .LBB33_2552
.LBB33_2544:
	s_mov_b32 s1, -1
                                        ; implicit-def: $vgpr14
	s_branch .LBB33_2549
.LBB33_2545:
	s_mov_b32 s1, -1
                                        ; implicit-def: $vgpr14
.LBB33_2546:
	s_delay_alu instid0(SALU_CYCLE_1)
	s_and_not1_b32 vcc_lo, exec_lo, s1
	s_cbranch_vccnz .LBB33_2548
; %bb.2547:
	global_load_b32 v14, v[0:1], off
.LBB33_2548:
	s_mov_b32 s1, 0
.LBB33_2549:
	s_delay_alu instid0(SALU_CYCLE_1)
	s_and_not1_b32 vcc_lo, exec_lo, s1
	s_cbranch_vccnz .LBB33_2551
; %bb.2550:
	global_load_b32 v2, v[0:1], off
	s_wait_loadcnt 0x0
	v_cvt_f32_f16_e32 v14, v2
.LBB33_2551:
	s_mov_b32 s1, 0
.LBB33_2552:
	s_delay_alu instid0(SALU_CYCLE_1)
	s_and_not1_b32 vcc_lo, exec_lo, s1
	s_cbranch_vccnz .LBB33_2563
; %bb.2553:
	s_cmp_lt_i32 s0, 6
	s_cbranch_scc1 .LBB33_2556
; %bb.2554:
	s_cmp_gt_i32 s0, 6
	s_cbranch_scc0 .LBB33_2557
; %bb.2555:
	global_load_b64 v[2:3], v[0:1], off
	s_mov_b32 s1, 0
	s_wait_loadcnt 0x0
	v_cvt_f32_f64_e32 v14, v[2:3]
	s_branch .LBB33_2558
.LBB33_2556:
	s_mov_b32 s1, -1
                                        ; implicit-def: $vgpr14
	s_branch .LBB33_2561
.LBB33_2557:
	s_mov_b32 s1, -1
                                        ; implicit-def: $vgpr14
.LBB33_2558:
	s_delay_alu instid0(SALU_CYCLE_1)
	s_and_not1_b32 vcc_lo, exec_lo, s1
	s_cbranch_vccnz .LBB33_2560
; %bb.2559:
	s_wait_loadcnt 0x0
	global_load_b32 v14, v[0:1], off
.LBB33_2560:
	s_mov_b32 s1, 0
.LBB33_2561:
	s_delay_alu instid0(SALU_CYCLE_1)
	s_and_not1_b32 vcc_lo, exec_lo, s1
	s_cbranch_vccnz .LBB33_2563
; %bb.2562:
	global_load_u16 v2, v[0:1], off
	s_wait_loadcnt 0x0
	v_cvt_f32_f16_e32 v14, v2
.LBB33_2563:
	s_mov_b32 s1, 0
.LBB33_2564:
	s_delay_alu instid0(SALU_CYCLE_1)
	s_and_not1_b32 vcc_lo, exec_lo, s1
	s_cbranch_vccnz .LBB33_2584
; %bb.2565:
	s_cmp_lt_i32 s0, 2
	s_cbranch_scc1 .LBB33_2569
; %bb.2566:
	s_cmp_lt_i32 s0, 3
	s_cbranch_scc1 .LBB33_2570
; %bb.2567:
	s_cmp_gt_i32 s0, 3
	s_cbranch_scc0 .LBB33_2571
; %bb.2568:
	global_load_b64 v[2:3], v[0:1], off
	s_mov_b32 s1, 0
	s_wait_loadcnt 0x0
	v_xor_b32_e32 v4, v2, v3
	v_cls_i32_e32 v5, v3
	s_delay_alu instid0(VALU_DEP_2) | instskip(NEXT) | instid1(VALU_DEP_1)
	v_ashrrev_i32_e32 v4, 31, v4
	v_add_nc_u32_e32 v4, 32, v4
	s_delay_alu instid0(VALU_DEP_1) | instskip(NEXT) | instid1(VALU_DEP_1)
	v_add_min_u32_e64 v4, v5, -1, v4
	v_lshlrev_b64_e32 v[2:3], v4, v[2:3]
	s_delay_alu instid0(VALU_DEP_1) | instskip(NEXT) | instid1(VALU_DEP_1)
	v_min_u32_e32 v2, 1, v2
	v_dual_sub_nc_u32 v3, 32, v4 :: v_dual_bitop2_b32 v2, v3, v2 bitop3:0x54
	s_delay_alu instid0(VALU_DEP_1) | instskip(NEXT) | instid1(VALU_DEP_1)
	v_cvt_f32_i32_e32 v2, v2
	v_ldexp_f32 v14, v2, v3
	s_branch .LBB33_2572
.LBB33_2569:
	s_mov_b32 s1, -1
                                        ; implicit-def: $vgpr14
	s_branch .LBB33_2578
.LBB33_2570:
	s_mov_b32 s1, -1
                                        ; implicit-def: $vgpr14
	s_branch .LBB33_2575
.LBB33_2571:
	s_mov_b32 s1, -1
                                        ; implicit-def: $vgpr14
.LBB33_2572:
	s_delay_alu instid0(SALU_CYCLE_1)
	s_and_not1_b32 vcc_lo, exec_lo, s1
	s_cbranch_vccnz .LBB33_2574
; %bb.2573:
	global_load_b32 v2, v[0:1], off
	s_wait_loadcnt 0x0
	v_cvt_f32_i32_e32 v14, v2
.LBB33_2574:
	s_mov_b32 s1, 0
.LBB33_2575:
	s_delay_alu instid0(SALU_CYCLE_1)
	s_and_not1_b32 vcc_lo, exec_lo, s1
	s_cbranch_vccnz .LBB33_2577
; %bb.2576:
	global_load_i16 v2, v[0:1], off
	s_wait_loadcnt 0x0
	v_cvt_f32_i32_e32 v14, v2
.LBB33_2577:
	s_mov_b32 s1, 0
.LBB33_2578:
	s_delay_alu instid0(SALU_CYCLE_1)
	s_and_not1_b32 vcc_lo, exec_lo, s1
	s_cbranch_vccnz .LBB33_2584
; %bb.2579:
	s_cmp_gt_i32 s0, 0
	s_mov_b32 s0, 0
	s_cbranch_scc0 .LBB33_2581
; %bb.2580:
	global_load_i8 v2, v[0:1], off
	s_wait_loadcnt 0x0
	v_cvt_f32_i32_e32 v14, v2
	s_branch .LBB33_2582
.LBB33_2581:
	s_mov_b32 s0, -1
                                        ; implicit-def: $vgpr14
.LBB33_2582:
	s_delay_alu instid0(SALU_CYCLE_1)
	s_and_not1_b32 vcc_lo, exec_lo, s0
	s_cbranch_vccnz .LBB33_2584
; %bb.2583:
	global_load_u8 v0, v[0:1], off
	s_wait_loadcnt 0x0
	v_cvt_f32_ubyte0_e32 v14, v0
.LBB33_2584:
	s_mov_b32 s6, -1
.LBB33_2585:
	s_delay_alu instid0(SALU_CYCLE_1)
	s_and_not1_b32 vcc_lo, exec_lo, s6
	s_cbranch_vccnz .LBB33_3016
; %bb.2586:
	s_wait_xcnt 0x0
	v_mul_lo_u32 v0, s8, v6
	s_wait_loadcnt 0x0
	v_cmp_lt_f32_e32 vcc_lo, 0, v7
	s_and_b32 s16, s11, 0xff
	s_mov_b32 s3, 0
	s_cmp_lt_i32 s16, 11
	s_mov_b32 s0, -1
	s_delay_alu instid0(VALU_DEP_2) | instskip(NEXT) | instid1(VALU_DEP_1)
	v_dual_mul_f32 v4, v7, v9 :: v_dual_ashrrev_i32 v1, 31, v0
	v_cndmask_b32_e32 v4, v4, v7, vcc_lo
	s_delay_alu instid0(VALU_DEP_2)
	v_add_nc_u64_e32 v[2:3], s[4:5], v[0:1]
	s_cbranch_scc1 .LBB33_2665
; %bb.2587:
	s_and_b32 s1, 0xffff, s16
	s_mov_b32 s6, -1
	s_mov_b32 s2, 0
	s_cmp_gt_i32 s1, 25
	s_mov_b32 s0, 0
	s_cbranch_scc0 .LBB33_2620
; %bb.2588:
	s_cmp_gt_i32 s1, 28
	s_cbranch_scc0 .LBB33_2603
; %bb.2589:
	s_cmp_gt_i32 s1, 43
	;; [unrolled: 3-line block ×3, first 2 shown]
	s_cbranch_scc0 .LBB33_2593
; %bb.2591:
	s_mov_b32 s0, -1
	s_mov_b32 s6, 0
	s_cmp_eq_u32 s1, 46
	s_cbranch_scc0 .LBB33_2593
; %bb.2592:
	v_bfe_u32 v1, v4, 16, 1
	v_cmp_o_f32_e32 vcc_lo, v4, v4
	s_mov_b32 s0, 0
	s_mov_b32 s3, -1
	s_delay_alu instid0(VALU_DEP_2) | instskip(NEXT) | instid1(VALU_DEP_1)
	v_add3_u32 v1, v4, v1, 0x7fff
	v_lshrrev_b32_e32 v1, 16, v1
	s_delay_alu instid0(VALU_DEP_1)
	v_cndmask_b32_e32 v1, 0x7fc0, v1, vcc_lo
	global_store_b32 v[2:3], v1, off
.LBB33_2593:
	s_and_b32 vcc_lo, exec_lo, s6
	s_cbranch_vccz .LBB33_2598
; %bb.2594:
	s_cmp_eq_u32 s1, 44
	s_mov_b32 s0, -1
	s_cbranch_scc0 .LBB33_2598
; %bb.2595:
	v_bfe_u32 v5, v4, 23, 8
	s_wait_xcnt 0x0
	v_mov_b32_e32 v1, 0xff
	s_mov_b32 s3, exec_lo
	s_delay_alu instid0(VALU_DEP_2)
	v_cmpx_ne_u32_e32 0xff, v5
	s_cbranch_execz .LBB33_2597
; %bb.2596:
	v_and_b32_e32 v1, 0x400000, v4
	v_and_or_b32 v5, 0x3fffff, v4, v5
	s_delay_alu instid0(VALU_DEP_2) | instskip(NEXT) | instid1(VALU_DEP_2)
	v_cmp_ne_u32_e32 vcc_lo, 0, v1
	v_cmp_ne_u32_e64 s0, 0, v5
	v_lshrrev_b32_e32 v1, 23, v4
	s_and_b32 s0, vcc_lo, s0
	s_delay_alu instid0(SALU_CYCLE_1) | instskip(NEXT) | instid1(VALU_DEP_1)
	v_cndmask_b32_e64 v5, 0, 1, s0
	v_add_nc_u32_e32 v1, v1, v5
.LBB33_2597:
	s_or_b32 exec_lo, exec_lo, s3
	s_mov_b32 s0, 0
	s_mov_b32 s3, -1
	global_store_b8 v[2:3], v1, off
.LBB33_2598:
	s_mov_b32 s6, 0
.LBB33_2599:
	s_delay_alu instid0(SALU_CYCLE_1)
	s_and_b32 vcc_lo, exec_lo, s6
	s_cbranch_vccz .LBB33_2602
; %bb.2600:
	s_cmp_eq_u32 s1, 29
	s_mov_b32 s0, -1
	s_cbranch_scc0 .LBB33_2602
; %bb.2601:
	s_wait_xcnt 0x0
	v_trunc_f32_e32 v1, v4
	s_mov_b32 s0, 0
	s_mov_b32 s3, -1
	s_delay_alu instid0(VALU_DEP_1) | instskip(NEXT) | instid1(VALU_DEP_1)
	v_mul_f32_e32 v5, 0x2f800000, v1
	v_floor_f32_e32 v5, v5
	s_delay_alu instid0(VALU_DEP_1) | instskip(SKIP_1) | instid1(VALU_DEP_2)
	v_fmamk_f32 v1, v5, 0xcf800000, v1
	v_cvt_u32_f32_e32 v7, v5
	v_cvt_u32_f32_e32 v6, v1
	global_store_b64 v[2:3], v[6:7], off
.LBB33_2602:
	s_mov_b32 s6, 0
.LBB33_2603:
	s_delay_alu instid0(SALU_CYCLE_1)
	s_and_b32 vcc_lo, exec_lo, s6
	s_cbranch_vccz .LBB33_2619
; %bb.2604:
	s_cmp_lt_i32 s1, 27
	s_mov_b32 s3, -1
	s_cbranch_scc1 .LBB33_2610
; %bb.2605:
	s_wait_xcnt 0x0
	v_cvt_u32_f32_e32 v1, v4
	s_cmp_gt_i32 s1, 27
	s_cbranch_scc0 .LBB33_2607
; %bb.2606:
	s_mov_b32 s3, 0
	global_store_b32 v[2:3], v1, off
.LBB33_2607:
	s_and_not1_b32 vcc_lo, exec_lo, s3
	s_cbranch_vccnz .LBB33_2609
; %bb.2608:
	global_store_b16 v[2:3], v1, off
.LBB33_2609:
	s_mov_b32 s3, 0
.LBB33_2610:
	s_delay_alu instid0(SALU_CYCLE_1)
	s_and_not1_b32 vcc_lo, exec_lo, s3
	s_cbranch_vccnz .LBB33_2618
; %bb.2611:
	s_wait_xcnt 0x0
	v_and_b32_e32 v1, 0x7fffffff, v4
	v_mov_b32_e32 v5, 0x80
	s_mov_b32 s3, exec_lo
	s_delay_alu instid0(VALU_DEP_2)
	v_cmpx_gt_u32_e32 0x43800000, v1
	s_cbranch_execz .LBB33_2617
; %bb.2612:
	v_cmp_lt_u32_e32 vcc_lo, 0x3bffffff, v1
	s_mov_b32 s6, 0
                                        ; implicit-def: $vgpr1
	s_and_saveexec_b32 s7, vcc_lo
	s_delay_alu instid0(SALU_CYCLE_1)
	s_xor_b32 s7, exec_lo, s7
	s_cbranch_execz .LBB33_3062
; %bb.2613:
	v_bfe_u32 v1, v4, 20, 1
	s_mov_b32 s6, exec_lo
	s_delay_alu instid0(VALU_DEP_1) | instskip(NEXT) | instid1(VALU_DEP_1)
	v_add3_u32 v1, v4, v1, 0x487ffff
	v_lshrrev_b32_e32 v1, 20, v1
	s_and_not1_saveexec_b32 s7, s7
	s_cbranch_execnz .LBB33_3063
.LBB33_2614:
	s_or_b32 exec_lo, exec_lo, s7
	v_mov_b32_e32 v5, 0
	s_and_saveexec_b32 s7, s6
.LBB33_2615:
	v_lshrrev_b32_e32 v5, 24, v4
	s_delay_alu instid0(VALU_DEP_1)
	v_and_or_b32 v5, 0x80, v5, v1
.LBB33_2616:
	s_or_b32 exec_lo, exec_lo, s7
.LBB33_2617:
	s_delay_alu instid0(SALU_CYCLE_1)
	s_or_b32 exec_lo, exec_lo, s3
	global_store_b8 v[2:3], v5, off
.LBB33_2618:
	s_mov_b32 s3, -1
.LBB33_2619:
	s_mov_b32 s6, 0
.LBB33_2620:
	s_delay_alu instid0(SALU_CYCLE_1)
	s_and_b32 vcc_lo, exec_lo, s6
	s_cbranch_vccz .LBB33_2660
; %bb.2621:
	s_cmp_gt_i32 s1, 22
	s_mov_b32 s2, -1
	s_cbranch_scc0 .LBB33_2653
; %bb.2622:
	s_cmp_lt_i32 s1, 24
	s_cbranch_scc1 .LBB33_2642
; %bb.2623:
	s_cmp_gt_i32 s1, 24
	s_cbranch_scc0 .LBB33_2631
; %bb.2624:
	s_wait_xcnt 0x0
	v_and_b32_e32 v1, 0x7fffffff, v4
	v_mov_b32_e32 v5, 0x80
	s_mov_b32 s2, exec_lo
	s_delay_alu instid0(VALU_DEP_2)
	v_cmpx_gt_u32_e32 0x47800000, v1
	s_cbranch_execz .LBB33_2630
; %bb.2625:
	v_cmp_lt_u32_e32 vcc_lo, 0x37ffffff, v1
	s_mov_b32 s3, 0
                                        ; implicit-def: $vgpr1
	s_and_saveexec_b32 s6, vcc_lo
	s_delay_alu instid0(SALU_CYCLE_1)
	s_xor_b32 s6, exec_lo, s6
	s_cbranch_execz .LBB33_3065
; %bb.2626:
	v_bfe_u32 v1, v4, 21, 1
	s_mov_b32 s3, exec_lo
	s_delay_alu instid0(VALU_DEP_1) | instskip(NEXT) | instid1(VALU_DEP_1)
	v_add3_u32 v1, v4, v1, 0x88fffff
	v_lshrrev_b32_e32 v1, 21, v1
	s_and_not1_saveexec_b32 s6, s6
	s_cbranch_execnz .LBB33_3066
.LBB33_2627:
	s_or_b32 exec_lo, exec_lo, s6
	v_mov_b32_e32 v5, 0
	s_and_saveexec_b32 s6, s3
.LBB33_2628:
	v_lshrrev_b32_e32 v5, 24, v4
	s_delay_alu instid0(VALU_DEP_1)
	v_and_or_b32 v5, 0x80, v5, v1
.LBB33_2629:
	s_or_b32 exec_lo, exec_lo, s6
.LBB33_2630:
	s_delay_alu instid0(SALU_CYCLE_1)
	s_or_b32 exec_lo, exec_lo, s2
	s_mov_b32 s2, 0
	global_store_b8 v[2:3], v5, off
.LBB33_2631:
	s_and_b32 vcc_lo, exec_lo, s2
	s_cbranch_vccz .LBB33_2641
; %bb.2632:
	s_wait_xcnt 0x0
	v_and_b32_e32 v5, 0x7fffffff, v4
	s_mov_b32 s2, exec_lo
                                        ; implicit-def: $vgpr1
	s_delay_alu instid0(VALU_DEP_1)
	v_cmpx_gt_u32_e32 0x43f00000, v5
	s_xor_b32 s2, exec_lo, s2
	s_cbranch_execz .LBB33_2638
; %bb.2633:
	s_mov_b32 s3, exec_lo
                                        ; implicit-def: $vgpr1
	v_cmpx_lt_u32_e32 0x3c7fffff, v5
	s_xor_b32 s3, exec_lo, s3
; %bb.2634:
	v_bfe_u32 v1, v4, 20, 1
	s_delay_alu instid0(VALU_DEP_1) | instskip(NEXT) | instid1(VALU_DEP_1)
	v_add3_u32 v1, v4, v1, 0x407ffff
	v_and_b32_e32 v5, 0xff00000, v1
	v_lshrrev_b32_e32 v1, 20, v1
	s_delay_alu instid0(VALU_DEP_2) | instskip(NEXT) | instid1(VALU_DEP_2)
	v_cmp_ne_u32_e32 vcc_lo, 0x7f00000, v5
	v_cndmask_b32_e32 v1, 0x7e, v1, vcc_lo
; %bb.2635:
	s_and_not1_saveexec_b32 s3, s3
; %bb.2636:
	v_add_f32_e64 v1, 0x46800000, |v4|
; %bb.2637:
	s_or_b32 exec_lo, exec_lo, s3
                                        ; implicit-def: $vgpr5
.LBB33_2638:
	s_and_not1_saveexec_b32 s2, s2
; %bb.2639:
	v_mov_b32_e32 v1, 0x7f
	v_cmp_lt_u32_e32 vcc_lo, 0x7f800000, v5
	s_delay_alu instid0(VALU_DEP_2)
	v_cndmask_b32_e32 v1, 0x7e, v1, vcc_lo
; %bb.2640:
	s_or_b32 exec_lo, exec_lo, s2
	v_lshrrev_b32_e32 v5, 24, v4
	s_delay_alu instid0(VALU_DEP_1)
	v_and_or_b32 v1, 0x80, v5, v1
	global_store_b8 v[2:3], v1, off
.LBB33_2641:
	s_mov_b32 s2, 0
.LBB33_2642:
	s_delay_alu instid0(SALU_CYCLE_1)
	s_and_not1_b32 vcc_lo, exec_lo, s2
	s_cbranch_vccnz .LBB33_2652
; %bb.2643:
	s_wait_xcnt 0x0
	v_and_b32_e32 v5, 0x7fffffff, v4
	s_mov_b32 s2, exec_lo
                                        ; implicit-def: $vgpr1
	s_delay_alu instid0(VALU_DEP_1)
	v_cmpx_gt_u32_e32 0x47800000, v5
	s_xor_b32 s2, exec_lo, s2
	s_cbranch_execz .LBB33_2649
; %bb.2644:
	s_mov_b32 s3, exec_lo
                                        ; implicit-def: $vgpr1
	v_cmpx_lt_u32_e32 0x387fffff, v5
	s_xor_b32 s3, exec_lo, s3
; %bb.2645:
	v_bfe_u32 v1, v4, 21, 1
	s_delay_alu instid0(VALU_DEP_1) | instskip(NEXT) | instid1(VALU_DEP_1)
	v_add3_u32 v1, v4, v1, 0x80fffff
	v_lshrrev_b32_e32 v1, 21, v1
; %bb.2646:
	s_and_not1_saveexec_b32 s3, s3
; %bb.2647:
	v_add_f32_e64 v1, 0x43000000, |v4|
; %bb.2648:
	s_or_b32 exec_lo, exec_lo, s3
                                        ; implicit-def: $vgpr5
.LBB33_2649:
	s_and_not1_saveexec_b32 s2, s2
; %bb.2650:
	v_mov_b32_e32 v1, 0x7f
	v_cmp_lt_u32_e32 vcc_lo, 0x7f800000, v5
	s_delay_alu instid0(VALU_DEP_2)
	v_cndmask_b32_e32 v1, 0x7c, v1, vcc_lo
; %bb.2651:
	s_or_b32 exec_lo, exec_lo, s2
	v_lshrrev_b32_e32 v5, 24, v4
	s_delay_alu instid0(VALU_DEP_1)
	v_and_or_b32 v1, 0x80, v5, v1
	global_store_b8 v[2:3], v1, off
.LBB33_2652:
	s_mov_b32 s2, 0
	s_mov_b32 s3, -1
.LBB33_2653:
	s_and_not1_b32 vcc_lo, exec_lo, s2
	s_mov_b32 s2, 0
	s_cbranch_vccnz .LBB33_2660
; %bb.2654:
	s_cmp_gt_i32 s1, 14
	s_mov_b32 s2, -1
	s_cbranch_scc0 .LBB33_2658
; %bb.2655:
	s_cmp_eq_u32 s1, 15
	s_mov_b32 s0, -1
	s_cbranch_scc0 .LBB33_2657
; %bb.2656:
	s_wait_xcnt 0x0
	v_bfe_u32 v1, v4, 16, 1
	v_cmp_o_f32_e32 vcc_lo, v4, v4
	s_mov_b32 s0, 0
	s_mov_b32 s3, -1
	s_delay_alu instid0(VALU_DEP_2) | instskip(NEXT) | instid1(VALU_DEP_1)
	v_add3_u32 v1, v4, v1, 0x7fff
	v_lshrrev_b32_e32 v1, 16, v1
	s_delay_alu instid0(VALU_DEP_1)
	v_cndmask_b32_e32 v1, 0x7fc0, v1, vcc_lo
	global_store_b16 v[2:3], v1, off
.LBB33_2657:
	s_mov_b32 s2, 0
.LBB33_2658:
	s_delay_alu instid0(SALU_CYCLE_1)
	s_and_b32 vcc_lo, exec_lo, s2
	s_mov_b32 s2, 0
	s_cbranch_vccz .LBB33_2660
; %bb.2659:
	s_cmp_lg_u32 s1, 11
	s_mov_b32 s2, -1
	s_cselect_b32 s0, -1, 0
.LBB33_2660:
	s_delay_alu instid0(SALU_CYCLE_1)
	s_and_b32 vcc_lo, exec_lo, s0
	s_cbranch_vccnz .LBB33_3064
; %bb.2661:
	s_and_not1_b32 vcc_lo, exec_lo, s2
	s_cbranch_vccnz .LBB33_2663
.LBB33_2662:
	v_cmp_neq_f32_e32 vcc_lo, 0, v4
	s_mov_b32 s3, -1
	s_wait_xcnt 0x0
	v_cndmask_b32_e64 v1, 0, 1, vcc_lo
	global_store_b8 v[2:3], v1, off
.LBB33_2663:
.LBB33_2664:
	s_and_not1_b32 vcc_lo, exec_lo, s3
	s_cbranch_vccz .LBB33_2704
	s_branch .LBB33_3016
.LBB33_2665:
	s_and_b32 vcc_lo, exec_lo, s0
	s_cbranch_vccz .LBB33_2664
; %bb.2666:
	s_and_b32 s0, 0xffff, s16
	s_mov_b32 s1, -1
	s_cmp_lt_i32 s0, 5
	s_cbranch_scc1 .LBB33_2687
; %bb.2667:
	s_cmp_lt_i32 s0, 8
	s_cbranch_scc1 .LBB33_2677
; %bb.2668:
	;; [unrolled: 3-line block ×3, first 2 shown]
	s_cmp_gt_i32 s0, 9
	s_cbranch_scc0 .LBB33_2671
; %bb.2670:
	v_cvt_f64_f32_e32 v[16:17], v4
	v_mov_b32_e32 v18, 0
	s_mov_b32 s1, 0
	s_delay_alu instid0(VALU_DEP_1)
	v_mov_b32_e32 v19, v18
	global_store_b128 v[2:3], v[16:19], off
.LBB33_2671:
	s_and_not1_b32 vcc_lo, exec_lo, s1
	s_cbranch_vccnz .LBB33_2673
; %bb.2672:
	s_wait_xcnt 0x0
	v_mov_b32_e32 v5, 0
	global_store_b64 v[2:3], v[4:5], off
.LBB33_2673:
	s_mov_b32 s1, 0
.LBB33_2674:
	s_delay_alu instid0(SALU_CYCLE_1)
	s_and_not1_b32 vcc_lo, exec_lo, s1
	s_cbranch_vccnz .LBB33_2676
; %bb.2675:
	s_wait_xcnt 0x0
	v_cvt_f16_f32_e32 v1, v4
	s_delay_alu instid0(VALU_DEP_1)
	v_and_b32_e32 v1, 0xffff, v1
	global_store_b32 v[2:3], v1, off
.LBB33_2676:
	s_mov_b32 s1, 0
.LBB33_2677:
	s_delay_alu instid0(SALU_CYCLE_1)
	s_and_not1_b32 vcc_lo, exec_lo, s1
	s_cbranch_vccnz .LBB33_2686
; %bb.2678:
	s_cmp_lt_i32 s0, 6
	s_mov_b32 s1, -1
	s_cbranch_scc1 .LBB33_2684
; %bb.2679:
	s_cmp_gt_i32 s0, 6
	s_cbranch_scc0 .LBB33_2681
; %bb.2680:
	s_wait_xcnt 0x0
	v_cvt_f64_f32_e32 v[6:7], v4
	s_mov_b32 s1, 0
	global_store_b64 v[2:3], v[6:7], off
.LBB33_2681:
	s_and_not1_b32 vcc_lo, exec_lo, s1
	s_cbranch_vccnz .LBB33_2683
; %bb.2682:
	global_store_b32 v[2:3], v4, off
.LBB33_2683:
	s_mov_b32 s1, 0
.LBB33_2684:
	s_delay_alu instid0(SALU_CYCLE_1)
	s_and_not1_b32 vcc_lo, exec_lo, s1
	s_cbranch_vccnz .LBB33_2686
; %bb.2685:
	s_wait_xcnt 0x0
	v_cvt_f16_f32_e32 v1, v4
	global_store_b16 v[2:3], v1, off
.LBB33_2686:
	s_mov_b32 s1, 0
.LBB33_2687:
	s_delay_alu instid0(SALU_CYCLE_1)
	s_and_not1_b32 vcc_lo, exec_lo, s1
	s_cbranch_vccnz .LBB33_2703
; %bb.2688:
	s_cmp_lt_i32 s0, 2
	s_mov_b32 s1, -1
	s_cbranch_scc1 .LBB33_2698
; %bb.2689:
	s_cmp_lt_i32 s0, 3
	s_cbranch_scc1 .LBB33_2695
; %bb.2690:
	s_cmp_gt_i32 s0, 3
	s_cbranch_scc0 .LBB33_2692
; %bb.2691:
	s_wait_xcnt 0x0
	v_trunc_f32_e32 v1, v4
	s_mov_b32 s1, 0
	s_delay_alu instid0(VALU_DEP_1) | instskip(SKIP_1) | instid1(VALU_DEP_2)
	v_mul_f32_e64 v5, 0x2f800000, |v1|
	v_ashrrev_i32_e32 v6, 31, v1
	v_floor_f32_e32 v5, v5
	s_delay_alu instid0(VALU_DEP_1) | instskip(SKIP_1) | instid1(VALU_DEP_2)
	v_fma_f32 v7, 0xcf800000, v5, |v1|
	v_cvt_u32_f32_e32 v1, v5
	v_cvt_u32_f32_e32 v5, v7
	s_delay_alu instid0(VALU_DEP_2) | instskip(NEXT) | instid1(VALU_DEP_2)
	v_dual_mov_b32 v7, v6 :: v_dual_bitop2_b32 v17, v1, v6 bitop3:0x14
	v_xor_b32_e32 v16, v5, v6
	s_delay_alu instid0(VALU_DEP_1)
	v_sub_nc_u64_e32 v[6:7], v[16:17], v[6:7]
	global_store_b64 v[2:3], v[6:7], off
.LBB33_2692:
	s_and_not1_b32 vcc_lo, exec_lo, s1
	s_cbranch_vccnz .LBB33_2694
; %bb.2693:
	s_wait_xcnt 0x0
	v_cvt_i32_f32_e32 v1, v4
	global_store_b32 v[2:3], v1, off
.LBB33_2694:
	s_mov_b32 s1, 0
.LBB33_2695:
	s_delay_alu instid0(SALU_CYCLE_1)
	s_and_not1_b32 vcc_lo, exec_lo, s1
	s_cbranch_vccnz .LBB33_2697
; %bb.2696:
	s_wait_xcnt 0x0
	v_cvt_i32_f32_e32 v1, v4
	global_store_b16 v[2:3], v1, off
.LBB33_2697:
	s_mov_b32 s1, 0
.LBB33_2698:
	s_delay_alu instid0(SALU_CYCLE_1)
	s_and_not1_b32 vcc_lo, exec_lo, s1
	s_cbranch_vccnz .LBB33_2703
; %bb.2699:
	s_cmp_gt_i32 s0, 0
	s_mov_b32 s0, -1
	s_cbranch_scc0 .LBB33_2701
; %bb.2700:
	s_wait_xcnt 0x0
	v_cvt_i32_f32_e32 v1, v4
	s_mov_b32 s0, 0
	global_store_b8 v[2:3], v1, off
.LBB33_2701:
	s_and_not1_b32 vcc_lo, exec_lo, s0
	s_cbranch_vccnz .LBB33_2703
; %bb.2702:
	s_wait_xcnt 0x0
	v_trunc_f32_e32 v1, v4
	s_delay_alu instid0(VALU_DEP_1) | instskip(NEXT) | instid1(VALU_DEP_1)
	v_mul_f32_e64 v4, 0x2f800000, |v1|
	v_floor_f32_e32 v4, v4
	s_delay_alu instid0(VALU_DEP_1) | instskip(SKIP_1) | instid1(VALU_DEP_2)
	v_fma_f32 v4, 0xcf800000, v4, |v1|
	v_ashrrev_i32_e32 v1, 31, v1
	v_cvt_u32_f32_e32 v4, v4
	s_delay_alu instid0(VALU_DEP_1) | instskip(NEXT) | instid1(VALU_DEP_1)
	v_xor_b32_e32 v4, v4, v1
	v_sub_nc_u32_e32 v1, v4, v1
	global_store_b8 v[2:3], v1, off
.LBB33_2703:
.LBB33_2704:
	s_lshl_b32 s1, s8, 7
	v_cmp_lt_f32_e32 vcc_lo, 0, v8
	s_wait_xcnt 0x0
	v_dual_add_nc_u32 v0, s1, v0 :: v_dual_mul_f32 v4, v8, v11
	s_mov_b32 s6, 0
	s_cmp_lt_i32 s16, 11
	s_mov_b32 s0, -1
	s_delay_alu instid0(VALU_DEP_1) | instskip(SKIP_1) | instid1(VALU_DEP_2)
	v_ashrrev_i32_e32 v1, 31, v0
	v_cndmask_b32_e32 v4, v4, v8, vcc_lo
	v_add_nc_u64_e32 v[2:3], s[4:5], v[0:1]
	s_cbranch_scc1 .LBB33_2783
; %bb.2705:
	s_and_b32 s2, 0xffff, s16
	s_mov_b32 s7, -1
	s_mov_b32 s3, 0
	s_cmp_gt_i32 s2, 25
	s_mov_b32 s0, 0
	s_cbranch_scc0 .LBB33_2738
; %bb.2706:
	s_cmp_gt_i32 s2, 28
	s_cbranch_scc0 .LBB33_2721
; %bb.2707:
	s_cmp_gt_i32 s2, 43
	;; [unrolled: 3-line block ×3, first 2 shown]
	s_cbranch_scc0 .LBB33_2711
; %bb.2709:
	s_mov_b32 s0, -1
	s_mov_b32 s7, 0
	s_cmp_eq_u32 s2, 46
	s_cbranch_scc0 .LBB33_2711
; %bb.2710:
	v_bfe_u32 v1, v4, 16, 1
	v_cmp_o_f32_e32 vcc_lo, v4, v4
	s_mov_b32 s0, 0
	s_mov_b32 s6, -1
	s_delay_alu instid0(VALU_DEP_2) | instskip(NEXT) | instid1(VALU_DEP_1)
	v_add3_u32 v1, v4, v1, 0x7fff
	v_lshrrev_b32_e32 v1, 16, v1
	s_delay_alu instid0(VALU_DEP_1)
	v_cndmask_b32_e32 v1, 0x7fc0, v1, vcc_lo
	global_store_b32 v[2:3], v1, off
.LBB33_2711:
	s_and_b32 vcc_lo, exec_lo, s7
	s_cbranch_vccz .LBB33_2716
; %bb.2712:
	s_cmp_eq_u32 s2, 44
	s_mov_b32 s0, -1
	s_cbranch_scc0 .LBB33_2716
; %bb.2713:
	v_bfe_u32 v5, v4, 23, 8
	s_wait_xcnt 0x0
	v_mov_b32_e32 v1, 0xff
	s_mov_b32 s6, exec_lo
	s_delay_alu instid0(VALU_DEP_2)
	v_cmpx_ne_u32_e32 0xff, v5
	s_cbranch_execz .LBB33_2715
; %bb.2714:
	v_and_b32_e32 v1, 0x400000, v4
	v_and_or_b32 v5, 0x3fffff, v4, v5
	s_delay_alu instid0(VALU_DEP_2) | instskip(NEXT) | instid1(VALU_DEP_2)
	v_cmp_ne_u32_e32 vcc_lo, 0, v1
	v_cmp_ne_u32_e64 s0, 0, v5
	v_lshrrev_b32_e32 v1, 23, v4
	s_and_b32 s0, vcc_lo, s0
	s_delay_alu instid0(SALU_CYCLE_1) | instskip(NEXT) | instid1(VALU_DEP_1)
	v_cndmask_b32_e64 v5, 0, 1, s0
	v_add_nc_u32_e32 v1, v1, v5
.LBB33_2715:
	s_or_b32 exec_lo, exec_lo, s6
	s_mov_b32 s0, 0
	s_mov_b32 s6, -1
	global_store_b8 v[2:3], v1, off
.LBB33_2716:
	s_mov_b32 s7, 0
.LBB33_2717:
	s_delay_alu instid0(SALU_CYCLE_1)
	s_and_b32 vcc_lo, exec_lo, s7
	s_cbranch_vccz .LBB33_2720
; %bb.2718:
	s_cmp_eq_u32 s2, 29
	s_mov_b32 s0, -1
	s_cbranch_scc0 .LBB33_2720
; %bb.2719:
	s_wait_xcnt 0x0
	v_trunc_f32_e32 v1, v4
	s_mov_b32 s0, 0
	s_mov_b32 s6, -1
	s_delay_alu instid0(VALU_DEP_1) | instskip(NEXT) | instid1(VALU_DEP_1)
	v_mul_f32_e32 v5, 0x2f800000, v1
	v_floor_f32_e32 v5, v5
	s_delay_alu instid0(VALU_DEP_1) | instskip(SKIP_1) | instid1(VALU_DEP_2)
	v_fmamk_f32 v1, v5, 0xcf800000, v1
	v_cvt_u32_f32_e32 v7, v5
	v_cvt_u32_f32_e32 v6, v1
	global_store_b64 v[2:3], v[6:7], off
.LBB33_2720:
	s_mov_b32 s7, 0
.LBB33_2721:
	s_delay_alu instid0(SALU_CYCLE_1)
	s_and_b32 vcc_lo, exec_lo, s7
	s_cbranch_vccz .LBB33_2737
; %bb.2722:
	s_cmp_lt_i32 s2, 27
	s_mov_b32 s6, -1
	s_cbranch_scc1 .LBB33_2728
; %bb.2723:
	s_wait_xcnt 0x0
	v_cvt_u32_f32_e32 v1, v4
	s_cmp_gt_i32 s2, 27
	s_cbranch_scc0 .LBB33_2725
; %bb.2724:
	s_mov_b32 s6, 0
	global_store_b32 v[2:3], v1, off
.LBB33_2725:
	s_and_not1_b32 vcc_lo, exec_lo, s6
	s_cbranch_vccnz .LBB33_2727
; %bb.2726:
	global_store_b16 v[2:3], v1, off
.LBB33_2727:
	s_mov_b32 s6, 0
.LBB33_2728:
	s_delay_alu instid0(SALU_CYCLE_1)
	s_and_not1_b32 vcc_lo, exec_lo, s6
	s_cbranch_vccnz .LBB33_2736
; %bb.2729:
	s_wait_xcnt 0x0
	v_and_b32_e32 v1, 0x7fffffff, v4
	v_mov_b32_e32 v5, 0x80
	s_mov_b32 s6, exec_lo
	s_delay_alu instid0(VALU_DEP_2)
	v_cmpx_gt_u32_e32 0x43800000, v1
	s_cbranch_execz .LBB33_2735
; %bb.2730:
	v_cmp_lt_u32_e32 vcc_lo, 0x3bffffff, v1
	s_mov_b32 s7, 0
                                        ; implicit-def: $vgpr1
	s_and_saveexec_b32 s8, vcc_lo
	s_delay_alu instid0(SALU_CYCLE_1)
	s_xor_b32 s8, exec_lo, s8
	s_cbranch_execz .LBB33_3067
; %bb.2731:
	v_bfe_u32 v1, v4, 20, 1
	s_mov_b32 s7, exec_lo
	s_delay_alu instid0(VALU_DEP_1) | instskip(NEXT) | instid1(VALU_DEP_1)
	v_add3_u32 v1, v4, v1, 0x487ffff
	v_lshrrev_b32_e32 v1, 20, v1
	s_and_not1_saveexec_b32 s8, s8
	s_cbranch_execnz .LBB33_3068
.LBB33_2732:
	s_or_b32 exec_lo, exec_lo, s8
	v_mov_b32_e32 v5, 0
	s_and_saveexec_b32 s8, s7
.LBB33_2733:
	v_lshrrev_b32_e32 v5, 24, v4
	s_delay_alu instid0(VALU_DEP_1)
	v_and_or_b32 v5, 0x80, v5, v1
.LBB33_2734:
	s_or_b32 exec_lo, exec_lo, s8
.LBB33_2735:
	s_delay_alu instid0(SALU_CYCLE_1)
	s_or_b32 exec_lo, exec_lo, s6
	global_store_b8 v[2:3], v5, off
.LBB33_2736:
	s_mov_b32 s6, -1
.LBB33_2737:
	s_mov_b32 s7, 0
.LBB33_2738:
	s_delay_alu instid0(SALU_CYCLE_1)
	s_and_b32 vcc_lo, exec_lo, s7
	s_cbranch_vccz .LBB33_2778
; %bb.2739:
	s_cmp_gt_i32 s2, 22
	s_mov_b32 s3, -1
	s_cbranch_scc0 .LBB33_2771
; %bb.2740:
	s_cmp_lt_i32 s2, 24
	s_cbranch_scc1 .LBB33_2760
; %bb.2741:
	s_cmp_gt_i32 s2, 24
	s_cbranch_scc0 .LBB33_2749
; %bb.2742:
	s_wait_xcnt 0x0
	v_and_b32_e32 v1, 0x7fffffff, v4
	v_mov_b32_e32 v5, 0x80
	s_mov_b32 s3, exec_lo
	s_delay_alu instid0(VALU_DEP_2)
	v_cmpx_gt_u32_e32 0x47800000, v1
	s_cbranch_execz .LBB33_2748
; %bb.2743:
	v_cmp_lt_u32_e32 vcc_lo, 0x37ffffff, v1
	s_mov_b32 s6, 0
                                        ; implicit-def: $vgpr1
	s_and_saveexec_b32 s7, vcc_lo
	s_delay_alu instid0(SALU_CYCLE_1)
	s_xor_b32 s7, exec_lo, s7
	s_cbranch_execz .LBB33_3070
; %bb.2744:
	v_bfe_u32 v1, v4, 21, 1
	s_mov_b32 s6, exec_lo
	s_delay_alu instid0(VALU_DEP_1) | instskip(NEXT) | instid1(VALU_DEP_1)
	v_add3_u32 v1, v4, v1, 0x88fffff
	v_lshrrev_b32_e32 v1, 21, v1
	s_and_not1_saveexec_b32 s7, s7
	s_cbranch_execnz .LBB33_3071
.LBB33_2745:
	s_or_b32 exec_lo, exec_lo, s7
	v_mov_b32_e32 v5, 0
	s_and_saveexec_b32 s7, s6
.LBB33_2746:
	v_lshrrev_b32_e32 v5, 24, v4
	s_delay_alu instid0(VALU_DEP_1)
	v_and_or_b32 v5, 0x80, v5, v1
.LBB33_2747:
	s_or_b32 exec_lo, exec_lo, s7
.LBB33_2748:
	s_delay_alu instid0(SALU_CYCLE_1)
	s_or_b32 exec_lo, exec_lo, s3
	s_mov_b32 s3, 0
	global_store_b8 v[2:3], v5, off
.LBB33_2749:
	s_and_b32 vcc_lo, exec_lo, s3
	s_cbranch_vccz .LBB33_2759
; %bb.2750:
	s_wait_xcnt 0x0
	v_and_b32_e32 v5, 0x7fffffff, v4
	s_mov_b32 s3, exec_lo
                                        ; implicit-def: $vgpr1
	s_delay_alu instid0(VALU_DEP_1)
	v_cmpx_gt_u32_e32 0x43f00000, v5
	s_xor_b32 s3, exec_lo, s3
	s_cbranch_execz .LBB33_2756
; %bb.2751:
	s_mov_b32 s6, exec_lo
                                        ; implicit-def: $vgpr1
	v_cmpx_lt_u32_e32 0x3c7fffff, v5
	s_xor_b32 s6, exec_lo, s6
; %bb.2752:
	v_bfe_u32 v1, v4, 20, 1
	s_delay_alu instid0(VALU_DEP_1) | instskip(NEXT) | instid1(VALU_DEP_1)
	v_add3_u32 v1, v4, v1, 0x407ffff
	v_and_b32_e32 v5, 0xff00000, v1
	v_lshrrev_b32_e32 v1, 20, v1
	s_delay_alu instid0(VALU_DEP_2) | instskip(NEXT) | instid1(VALU_DEP_2)
	v_cmp_ne_u32_e32 vcc_lo, 0x7f00000, v5
	v_cndmask_b32_e32 v1, 0x7e, v1, vcc_lo
; %bb.2753:
	s_and_not1_saveexec_b32 s6, s6
; %bb.2754:
	v_add_f32_e64 v1, 0x46800000, |v4|
; %bb.2755:
	s_or_b32 exec_lo, exec_lo, s6
                                        ; implicit-def: $vgpr5
.LBB33_2756:
	s_and_not1_saveexec_b32 s3, s3
; %bb.2757:
	v_mov_b32_e32 v1, 0x7f
	v_cmp_lt_u32_e32 vcc_lo, 0x7f800000, v5
	s_delay_alu instid0(VALU_DEP_2)
	v_cndmask_b32_e32 v1, 0x7e, v1, vcc_lo
; %bb.2758:
	s_or_b32 exec_lo, exec_lo, s3
	v_lshrrev_b32_e32 v5, 24, v4
	s_delay_alu instid0(VALU_DEP_1)
	v_and_or_b32 v1, 0x80, v5, v1
	global_store_b8 v[2:3], v1, off
.LBB33_2759:
	s_mov_b32 s3, 0
.LBB33_2760:
	s_delay_alu instid0(SALU_CYCLE_1)
	s_and_not1_b32 vcc_lo, exec_lo, s3
	s_cbranch_vccnz .LBB33_2770
; %bb.2761:
	s_wait_xcnt 0x0
	v_and_b32_e32 v5, 0x7fffffff, v4
	s_mov_b32 s3, exec_lo
                                        ; implicit-def: $vgpr1
	s_delay_alu instid0(VALU_DEP_1)
	v_cmpx_gt_u32_e32 0x47800000, v5
	s_xor_b32 s3, exec_lo, s3
	s_cbranch_execz .LBB33_2767
; %bb.2762:
	s_mov_b32 s6, exec_lo
                                        ; implicit-def: $vgpr1
	v_cmpx_lt_u32_e32 0x387fffff, v5
	s_xor_b32 s6, exec_lo, s6
; %bb.2763:
	v_bfe_u32 v1, v4, 21, 1
	s_delay_alu instid0(VALU_DEP_1) | instskip(NEXT) | instid1(VALU_DEP_1)
	v_add3_u32 v1, v4, v1, 0x80fffff
	v_lshrrev_b32_e32 v1, 21, v1
; %bb.2764:
	s_and_not1_saveexec_b32 s6, s6
; %bb.2765:
	v_add_f32_e64 v1, 0x43000000, |v4|
; %bb.2766:
	s_or_b32 exec_lo, exec_lo, s6
                                        ; implicit-def: $vgpr5
.LBB33_2767:
	s_and_not1_saveexec_b32 s3, s3
; %bb.2768:
	v_mov_b32_e32 v1, 0x7f
	v_cmp_lt_u32_e32 vcc_lo, 0x7f800000, v5
	s_delay_alu instid0(VALU_DEP_2)
	v_cndmask_b32_e32 v1, 0x7c, v1, vcc_lo
; %bb.2769:
	s_or_b32 exec_lo, exec_lo, s3
	v_lshrrev_b32_e32 v5, 24, v4
	s_delay_alu instid0(VALU_DEP_1)
	v_and_or_b32 v1, 0x80, v5, v1
	global_store_b8 v[2:3], v1, off
.LBB33_2770:
	s_mov_b32 s3, 0
	s_mov_b32 s6, -1
.LBB33_2771:
	s_and_not1_b32 vcc_lo, exec_lo, s3
	s_mov_b32 s3, 0
	s_cbranch_vccnz .LBB33_2778
; %bb.2772:
	s_cmp_gt_i32 s2, 14
	s_mov_b32 s3, -1
	s_cbranch_scc0 .LBB33_2776
; %bb.2773:
	s_cmp_eq_u32 s2, 15
	s_mov_b32 s0, -1
	s_cbranch_scc0 .LBB33_2775
; %bb.2774:
	s_wait_xcnt 0x0
	v_bfe_u32 v1, v4, 16, 1
	v_cmp_o_f32_e32 vcc_lo, v4, v4
	s_mov_b32 s0, 0
	s_mov_b32 s6, -1
	s_delay_alu instid0(VALU_DEP_2) | instskip(NEXT) | instid1(VALU_DEP_1)
	v_add3_u32 v1, v4, v1, 0x7fff
	v_lshrrev_b32_e32 v1, 16, v1
	s_delay_alu instid0(VALU_DEP_1)
	v_cndmask_b32_e32 v1, 0x7fc0, v1, vcc_lo
	global_store_b16 v[2:3], v1, off
.LBB33_2775:
	s_mov_b32 s3, 0
.LBB33_2776:
	s_delay_alu instid0(SALU_CYCLE_1)
	s_and_b32 vcc_lo, exec_lo, s3
	s_mov_b32 s3, 0
	s_cbranch_vccz .LBB33_2778
; %bb.2777:
	s_cmp_lg_u32 s2, 11
	s_mov_b32 s3, -1
	s_cselect_b32 s0, -1, 0
.LBB33_2778:
	s_delay_alu instid0(SALU_CYCLE_1)
	s_and_b32 vcc_lo, exec_lo, s0
	s_cbranch_vccnz .LBB33_3069
; %bb.2779:
	s_and_not1_b32 vcc_lo, exec_lo, s3
	s_cbranch_vccnz .LBB33_2781
.LBB33_2780:
	v_cmp_neq_f32_e32 vcc_lo, 0, v4
	s_mov_b32 s6, -1
	s_wait_xcnt 0x0
	v_cndmask_b32_e64 v1, 0, 1, vcc_lo
	global_store_b8 v[2:3], v1, off
.LBB33_2781:
.LBB33_2782:
	s_and_not1_b32 vcc_lo, exec_lo, s6
	s_cbranch_vccz .LBB33_2822
	s_branch .LBB33_3016
.LBB33_2783:
	s_and_b32 vcc_lo, exec_lo, s0
	s_cbranch_vccz .LBB33_2782
; %bb.2784:
	s_and_b32 s0, 0xffff, s16
	s_mov_b32 s2, -1
	s_cmp_lt_i32 s0, 5
	s_cbranch_scc1 .LBB33_2805
; %bb.2785:
	s_cmp_lt_i32 s0, 8
	s_cbranch_scc1 .LBB33_2795
; %bb.2786:
	;; [unrolled: 3-line block ×3, first 2 shown]
	s_cmp_gt_i32 s0, 9
	s_cbranch_scc0 .LBB33_2789
; %bb.2788:
	s_wait_xcnt 0x0
	v_cvt_f64_f32_e32 v[6:7], v4
	v_mov_b32_e32 v8, 0
	s_mov_b32 s2, 0
	s_delay_alu instid0(VALU_DEP_1)
	v_mov_b32_e32 v9, v8
	global_store_b128 v[2:3], v[6:9], off
.LBB33_2789:
	s_and_not1_b32 vcc_lo, exec_lo, s2
	s_cbranch_vccnz .LBB33_2791
; %bb.2790:
	s_wait_xcnt 0x0
	v_mov_b32_e32 v5, 0
	global_store_b64 v[2:3], v[4:5], off
.LBB33_2791:
	s_mov_b32 s2, 0
.LBB33_2792:
	s_delay_alu instid0(SALU_CYCLE_1)
	s_and_not1_b32 vcc_lo, exec_lo, s2
	s_cbranch_vccnz .LBB33_2794
; %bb.2793:
	s_wait_xcnt 0x0
	v_cvt_f16_f32_e32 v1, v4
	s_delay_alu instid0(VALU_DEP_1)
	v_and_b32_e32 v1, 0xffff, v1
	global_store_b32 v[2:3], v1, off
.LBB33_2794:
	s_mov_b32 s2, 0
.LBB33_2795:
	s_delay_alu instid0(SALU_CYCLE_1)
	s_and_not1_b32 vcc_lo, exec_lo, s2
	s_cbranch_vccnz .LBB33_2804
; %bb.2796:
	s_cmp_lt_i32 s0, 6
	s_mov_b32 s2, -1
	s_cbranch_scc1 .LBB33_2802
; %bb.2797:
	s_cmp_gt_i32 s0, 6
	s_cbranch_scc0 .LBB33_2799
; %bb.2798:
	s_wait_xcnt 0x0
	v_cvt_f64_f32_e32 v[6:7], v4
	s_mov_b32 s2, 0
	global_store_b64 v[2:3], v[6:7], off
.LBB33_2799:
	s_and_not1_b32 vcc_lo, exec_lo, s2
	s_cbranch_vccnz .LBB33_2801
; %bb.2800:
	global_store_b32 v[2:3], v4, off
.LBB33_2801:
	s_mov_b32 s2, 0
.LBB33_2802:
	s_delay_alu instid0(SALU_CYCLE_1)
	s_and_not1_b32 vcc_lo, exec_lo, s2
	s_cbranch_vccnz .LBB33_2804
; %bb.2803:
	s_wait_xcnt 0x0
	v_cvt_f16_f32_e32 v1, v4
	global_store_b16 v[2:3], v1, off
.LBB33_2804:
	s_mov_b32 s2, 0
.LBB33_2805:
	s_delay_alu instid0(SALU_CYCLE_1)
	s_and_not1_b32 vcc_lo, exec_lo, s2
	s_cbranch_vccnz .LBB33_2821
; %bb.2806:
	s_cmp_lt_i32 s0, 2
	s_mov_b32 s2, -1
	s_cbranch_scc1 .LBB33_2816
; %bb.2807:
	s_cmp_lt_i32 s0, 3
	s_cbranch_scc1 .LBB33_2813
; %bb.2808:
	s_cmp_gt_i32 s0, 3
	s_cbranch_scc0 .LBB33_2810
; %bb.2809:
	s_wait_xcnt 0x0
	v_trunc_f32_e32 v1, v4
	s_mov_b32 s2, 0
	s_delay_alu instid0(VALU_DEP_1) | instskip(SKIP_1) | instid1(VALU_DEP_2)
	v_mul_f32_e64 v5, 0x2f800000, |v1|
	v_ashrrev_i32_e32 v6, 31, v1
	v_floor_f32_e32 v5, v5
	s_delay_alu instid0(VALU_DEP_1) | instskip(SKIP_1) | instid1(VALU_DEP_2)
	v_fma_f32 v7, 0xcf800000, v5, |v1|
	v_cvt_u32_f32_e32 v1, v5
	v_cvt_u32_f32_e32 v5, v7
	s_delay_alu instid0(VALU_DEP_2) | instskip(NEXT) | instid1(VALU_DEP_2)
	v_dual_mov_b32 v7, v6 :: v_dual_bitop2_b32 v9, v1, v6 bitop3:0x14
	v_xor_b32_e32 v8, v5, v6
	s_delay_alu instid0(VALU_DEP_1)
	v_sub_nc_u64_e32 v[6:7], v[8:9], v[6:7]
	global_store_b64 v[2:3], v[6:7], off
.LBB33_2810:
	s_and_not1_b32 vcc_lo, exec_lo, s2
	s_cbranch_vccnz .LBB33_2812
; %bb.2811:
	s_wait_xcnt 0x0
	v_cvt_i32_f32_e32 v1, v4
	global_store_b32 v[2:3], v1, off
.LBB33_2812:
	s_mov_b32 s2, 0
.LBB33_2813:
	s_delay_alu instid0(SALU_CYCLE_1)
	s_and_not1_b32 vcc_lo, exec_lo, s2
	s_cbranch_vccnz .LBB33_2815
; %bb.2814:
	s_wait_xcnt 0x0
	v_cvt_i32_f32_e32 v1, v4
	global_store_b16 v[2:3], v1, off
.LBB33_2815:
	s_mov_b32 s2, 0
.LBB33_2816:
	s_delay_alu instid0(SALU_CYCLE_1)
	s_and_not1_b32 vcc_lo, exec_lo, s2
	s_cbranch_vccnz .LBB33_2821
; %bb.2817:
	s_cmp_gt_i32 s0, 0
	s_mov_b32 s0, -1
	s_cbranch_scc0 .LBB33_2819
; %bb.2818:
	s_wait_xcnt 0x0
	v_cvt_i32_f32_e32 v1, v4
	s_mov_b32 s0, 0
	global_store_b8 v[2:3], v1, off
.LBB33_2819:
	s_and_not1_b32 vcc_lo, exec_lo, s0
	s_cbranch_vccnz .LBB33_2821
; %bb.2820:
	s_wait_xcnt 0x0
	v_trunc_f32_e32 v1, v4
	s_delay_alu instid0(VALU_DEP_1) | instskip(NEXT) | instid1(VALU_DEP_1)
	v_mul_f32_e64 v4, 0x2f800000, |v1|
	v_floor_f32_e32 v4, v4
	s_delay_alu instid0(VALU_DEP_1) | instskip(SKIP_1) | instid1(VALU_DEP_2)
	v_fma_f32 v4, 0xcf800000, v4, |v1|
	v_ashrrev_i32_e32 v1, 31, v1
	v_cvt_u32_f32_e32 v4, v4
	s_delay_alu instid0(VALU_DEP_1) | instskip(NEXT) | instid1(VALU_DEP_1)
	v_xor_b32_e32 v4, v4, v1
	v_sub_nc_u32_e32 v1, v4, v1
	global_store_b8 v[2:3], v1, off
.LBB33_2821:
.LBB33_2822:
	s_wait_xcnt 0x0
	v_dual_add_nc_u32 v0, s1, v0 :: v_dual_mul_f32 v4, v10, v13
	v_cmp_lt_f32_e32 vcc_lo, 0, v10
	s_mov_b32 s6, 0
	s_cmp_lt_i32 s16, 11
	s_delay_alu instid0(VALU_DEP_2) | instskip(SKIP_2) | instid1(VALU_DEP_2)
	v_ashrrev_i32_e32 v1, 31, v0
	s_mov_b32 s0, -1
	v_cndmask_b32_e32 v4, v4, v10, vcc_lo
	v_add_nc_u64_e32 v[2:3], s[4:5], v[0:1]
	s_cbranch_scc1 .LBB33_2977
; %bb.2823:
	s_and_b32 s2, 0xffff, s16
	s_mov_b32 s7, -1
	s_mov_b32 s3, 0
	s_cmp_gt_i32 s2, 25
	s_mov_b32 s0, 0
	s_cbranch_scc0 .LBB33_2856
; %bb.2824:
	s_cmp_gt_i32 s2, 28
	s_cbranch_scc0 .LBB33_2839
; %bb.2825:
	s_cmp_gt_i32 s2, 43
	s_cbranch_scc0 .LBB33_2835
; %bb.2826:
	s_cmp_gt_i32 s2, 45
	s_cbranch_scc0 .LBB33_2829
; %bb.2827:
	s_mov_b32 s0, -1
	s_mov_b32 s7, 0
	s_cmp_eq_u32 s2, 46
	s_cbranch_scc0 .LBB33_2829
; %bb.2828:
	v_bfe_u32 v1, v4, 16, 1
	v_cmp_o_f32_e32 vcc_lo, v4, v4
	s_mov_b32 s0, 0
	s_mov_b32 s6, -1
	s_delay_alu instid0(VALU_DEP_2) | instskip(NEXT) | instid1(VALU_DEP_1)
	v_add3_u32 v1, v4, v1, 0x7fff
	v_lshrrev_b32_e32 v1, 16, v1
	s_delay_alu instid0(VALU_DEP_1)
	v_cndmask_b32_e32 v1, 0x7fc0, v1, vcc_lo
	global_store_b32 v[2:3], v1, off
.LBB33_2829:
	s_and_b32 vcc_lo, exec_lo, s7
	s_cbranch_vccz .LBB33_2834
; %bb.2830:
	s_cmp_eq_u32 s2, 44
	s_mov_b32 s0, -1
	s_cbranch_scc0 .LBB33_2834
; %bb.2831:
	v_bfe_u32 v5, v4, 23, 8
	s_wait_xcnt 0x0
	v_mov_b32_e32 v1, 0xff
	s_mov_b32 s6, exec_lo
	s_delay_alu instid0(VALU_DEP_2)
	v_cmpx_ne_u32_e32 0xff, v5
	s_cbranch_execz .LBB33_2833
; %bb.2832:
	v_and_b32_e32 v1, 0x400000, v4
	v_and_or_b32 v5, 0x3fffff, v4, v5
	s_delay_alu instid0(VALU_DEP_2) | instskip(NEXT) | instid1(VALU_DEP_2)
	v_cmp_ne_u32_e32 vcc_lo, 0, v1
	v_cmp_ne_u32_e64 s0, 0, v5
	v_lshrrev_b32_e32 v1, 23, v4
	s_and_b32 s0, vcc_lo, s0
	s_delay_alu instid0(SALU_CYCLE_1) | instskip(NEXT) | instid1(VALU_DEP_1)
	v_cndmask_b32_e64 v5, 0, 1, s0
	v_add_nc_u32_e32 v1, v1, v5
.LBB33_2833:
	s_or_b32 exec_lo, exec_lo, s6
	s_mov_b32 s0, 0
	s_mov_b32 s6, -1
	global_store_b8 v[2:3], v1, off
.LBB33_2834:
	s_mov_b32 s7, 0
.LBB33_2835:
	s_delay_alu instid0(SALU_CYCLE_1)
	s_and_b32 vcc_lo, exec_lo, s7
	s_cbranch_vccz .LBB33_2838
; %bb.2836:
	s_cmp_eq_u32 s2, 29
	s_mov_b32 s0, -1
	s_cbranch_scc0 .LBB33_2838
; %bb.2837:
	s_wait_xcnt 0x0
	v_trunc_f32_e32 v1, v4
	s_mov_b32 s0, 0
	s_mov_b32 s6, -1
	s_delay_alu instid0(VALU_DEP_1) | instskip(NEXT) | instid1(VALU_DEP_1)
	v_mul_f32_e32 v5, 0x2f800000, v1
	v_floor_f32_e32 v5, v5
	s_delay_alu instid0(VALU_DEP_1) | instskip(SKIP_1) | instid1(VALU_DEP_2)
	v_fmamk_f32 v1, v5, 0xcf800000, v1
	v_cvt_u32_f32_e32 v7, v5
	v_cvt_u32_f32_e32 v6, v1
	global_store_b64 v[2:3], v[6:7], off
.LBB33_2838:
	s_mov_b32 s7, 0
.LBB33_2839:
	s_delay_alu instid0(SALU_CYCLE_1)
	s_and_b32 vcc_lo, exec_lo, s7
	s_cbranch_vccz .LBB33_2855
; %bb.2840:
	s_cmp_lt_i32 s2, 27
	s_mov_b32 s6, -1
	s_cbranch_scc1 .LBB33_2846
; %bb.2841:
	s_wait_xcnt 0x0
	v_cvt_u32_f32_e32 v1, v4
	s_cmp_gt_i32 s2, 27
	s_cbranch_scc0 .LBB33_2843
; %bb.2842:
	s_mov_b32 s6, 0
	global_store_b32 v[2:3], v1, off
.LBB33_2843:
	s_and_not1_b32 vcc_lo, exec_lo, s6
	s_cbranch_vccnz .LBB33_2845
; %bb.2844:
	global_store_b16 v[2:3], v1, off
.LBB33_2845:
	s_mov_b32 s6, 0
.LBB33_2846:
	s_delay_alu instid0(SALU_CYCLE_1)
	s_and_not1_b32 vcc_lo, exec_lo, s6
	s_cbranch_vccnz .LBB33_2854
; %bb.2847:
	s_wait_xcnt 0x0
	v_and_b32_e32 v1, 0x7fffffff, v4
	v_mov_b32_e32 v5, 0x80
	s_mov_b32 s6, exec_lo
	s_delay_alu instid0(VALU_DEP_2)
	v_cmpx_gt_u32_e32 0x43800000, v1
	s_cbranch_execz .LBB33_2853
; %bb.2848:
	v_cmp_lt_u32_e32 vcc_lo, 0x3bffffff, v1
	s_mov_b32 s7, 0
                                        ; implicit-def: $vgpr1
	s_and_saveexec_b32 s8, vcc_lo
	s_delay_alu instid0(SALU_CYCLE_1)
	s_xor_b32 s8, exec_lo, s8
	s_cbranch_execz .LBB33_3072
; %bb.2849:
	v_bfe_u32 v1, v4, 20, 1
	s_mov_b32 s7, exec_lo
	s_delay_alu instid0(VALU_DEP_1) | instskip(NEXT) | instid1(VALU_DEP_1)
	v_add3_u32 v1, v4, v1, 0x487ffff
	v_lshrrev_b32_e32 v1, 20, v1
	s_and_not1_saveexec_b32 s8, s8
	s_cbranch_execnz .LBB33_3073
.LBB33_2850:
	s_or_b32 exec_lo, exec_lo, s8
	v_mov_b32_e32 v5, 0
	s_and_saveexec_b32 s8, s7
.LBB33_2851:
	v_lshrrev_b32_e32 v5, 24, v4
	s_delay_alu instid0(VALU_DEP_1)
	v_and_or_b32 v5, 0x80, v5, v1
.LBB33_2852:
	s_or_b32 exec_lo, exec_lo, s8
.LBB33_2853:
	s_delay_alu instid0(SALU_CYCLE_1)
	s_or_b32 exec_lo, exec_lo, s6
	global_store_b8 v[2:3], v5, off
.LBB33_2854:
	s_mov_b32 s6, -1
.LBB33_2855:
	s_mov_b32 s7, 0
.LBB33_2856:
	s_delay_alu instid0(SALU_CYCLE_1)
	s_and_b32 vcc_lo, exec_lo, s7
	s_cbranch_vccz .LBB33_2896
; %bb.2857:
	s_cmp_gt_i32 s2, 22
	s_mov_b32 s3, -1
	s_cbranch_scc0 .LBB33_2889
; %bb.2858:
	s_cmp_lt_i32 s2, 24
	s_cbranch_scc1 .LBB33_2878
; %bb.2859:
	s_cmp_gt_i32 s2, 24
	s_cbranch_scc0 .LBB33_2867
; %bb.2860:
	s_wait_xcnt 0x0
	v_and_b32_e32 v1, 0x7fffffff, v4
	v_mov_b32_e32 v5, 0x80
	s_mov_b32 s3, exec_lo
	s_delay_alu instid0(VALU_DEP_2)
	v_cmpx_gt_u32_e32 0x47800000, v1
	s_cbranch_execz .LBB33_2866
; %bb.2861:
	v_cmp_lt_u32_e32 vcc_lo, 0x37ffffff, v1
	s_mov_b32 s6, 0
                                        ; implicit-def: $vgpr1
	s_and_saveexec_b32 s7, vcc_lo
	s_delay_alu instid0(SALU_CYCLE_1)
	s_xor_b32 s7, exec_lo, s7
	s_cbranch_execz .LBB33_3075
; %bb.2862:
	v_bfe_u32 v1, v4, 21, 1
	s_mov_b32 s6, exec_lo
	s_delay_alu instid0(VALU_DEP_1) | instskip(NEXT) | instid1(VALU_DEP_1)
	v_add3_u32 v1, v4, v1, 0x88fffff
	v_lshrrev_b32_e32 v1, 21, v1
	s_and_not1_saveexec_b32 s7, s7
	s_cbranch_execnz .LBB33_3076
.LBB33_2863:
	s_or_b32 exec_lo, exec_lo, s7
	v_mov_b32_e32 v5, 0
	s_and_saveexec_b32 s7, s6
.LBB33_2864:
	v_lshrrev_b32_e32 v5, 24, v4
	s_delay_alu instid0(VALU_DEP_1)
	v_and_or_b32 v5, 0x80, v5, v1
.LBB33_2865:
	s_or_b32 exec_lo, exec_lo, s7
.LBB33_2866:
	s_delay_alu instid0(SALU_CYCLE_1)
	s_or_b32 exec_lo, exec_lo, s3
	s_mov_b32 s3, 0
	global_store_b8 v[2:3], v5, off
.LBB33_2867:
	s_and_b32 vcc_lo, exec_lo, s3
	s_cbranch_vccz .LBB33_2877
; %bb.2868:
	s_wait_xcnt 0x0
	v_and_b32_e32 v5, 0x7fffffff, v4
	s_mov_b32 s3, exec_lo
                                        ; implicit-def: $vgpr1
	s_delay_alu instid0(VALU_DEP_1)
	v_cmpx_gt_u32_e32 0x43f00000, v5
	s_xor_b32 s3, exec_lo, s3
	s_cbranch_execz .LBB33_2874
; %bb.2869:
	s_mov_b32 s6, exec_lo
                                        ; implicit-def: $vgpr1
	v_cmpx_lt_u32_e32 0x3c7fffff, v5
	s_xor_b32 s6, exec_lo, s6
; %bb.2870:
	v_bfe_u32 v1, v4, 20, 1
	s_delay_alu instid0(VALU_DEP_1) | instskip(NEXT) | instid1(VALU_DEP_1)
	v_add3_u32 v1, v4, v1, 0x407ffff
	v_and_b32_e32 v5, 0xff00000, v1
	v_lshrrev_b32_e32 v1, 20, v1
	s_delay_alu instid0(VALU_DEP_2) | instskip(NEXT) | instid1(VALU_DEP_2)
	v_cmp_ne_u32_e32 vcc_lo, 0x7f00000, v5
	v_cndmask_b32_e32 v1, 0x7e, v1, vcc_lo
; %bb.2871:
	s_and_not1_saveexec_b32 s6, s6
; %bb.2872:
	v_add_f32_e64 v1, 0x46800000, |v4|
; %bb.2873:
	s_or_b32 exec_lo, exec_lo, s6
                                        ; implicit-def: $vgpr5
.LBB33_2874:
	s_and_not1_saveexec_b32 s3, s3
; %bb.2875:
	v_mov_b32_e32 v1, 0x7f
	v_cmp_lt_u32_e32 vcc_lo, 0x7f800000, v5
	s_delay_alu instid0(VALU_DEP_2)
	v_cndmask_b32_e32 v1, 0x7e, v1, vcc_lo
; %bb.2876:
	s_or_b32 exec_lo, exec_lo, s3
	v_lshrrev_b32_e32 v5, 24, v4
	s_delay_alu instid0(VALU_DEP_1)
	v_and_or_b32 v1, 0x80, v5, v1
	global_store_b8 v[2:3], v1, off
.LBB33_2877:
	s_mov_b32 s3, 0
.LBB33_2878:
	s_delay_alu instid0(SALU_CYCLE_1)
	s_and_not1_b32 vcc_lo, exec_lo, s3
	s_cbranch_vccnz .LBB33_2888
; %bb.2879:
	s_wait_xcnt 0x0
	v_and_b32_e32 v5, 0x7fffffff, v4
	s_mov_b32 s3, exec_lo
                                        ; implicit-def: $vgpr1
	s_delay_alu instid0(VALU_DEP_1)
	v_cmpx_gt_u32_e32 0x47800000, v5
	s_xor_b32 s3, exec_lo, s3
	s_cbranch_execz .LBB33_2885
; %bb.2880:
	s_mov_b32 s6, exec_lo
                                        ; implicit-def: $vgpr1
	v_cmpx_lt_u32_e32 0x387fffff, v5
	s_xor_b32 s6, exec_lo, s6
; %bb.2881:
	v_bfe_u32 v1, v4, 21, 1
	s_delay_alu instid0(VALU_DEP_1) | instskip(NEXT) | instid1(VALU_DEP_1)
	v_add3_u32 v1, v4, v1, 0x80fffff
	v_lshrrev_b32_e32 v1, 21, v1
; %bb.2882:
	s_and_not1_saveexec_b32 s6, s6
; %bb.2883:
	v_add_f32_e64 v1, 0x43000000, |v4|
; %bb.2884:
	s_or_b32 exec_lo, exec_lo, s6
                                        ; implicit-def: $vgpr5
.LBB33_2885:
	s_and_not1_saveexec_b32 s3, s3
; %bb.2886:
	v_mov_b32_e32 v1, 0x7f
	v_cmp_lt_u32_e32 vcc_lo, 0x7f800000, v5
	s_delay_alu instid0(VALU_DEP_2)
	v_cndmask_b32_e32 v1, 0x7c, v1, vcc_lo
; %bb.2887:
	s_or_b32 exec_lo, exec_lo, s3
	v_lshrrev_b32_e32 v5, 24, v4
	s_delay_alu instid0(VALU_DEP_1)
	v_and_or_b32 v1, 0x80, v5, v1
	global_store_b8 v[2:3], v1, off
.LBB33_2888:
	s_mov_b32 s3, 0
	s_mov_b32 s6, -1
.LBB33_2889:
	s_and_not1_b32 vcc_lo, exec_lo, s3
	s_mov_b32 s3, 0
	s_cbranch_vccnz .LBB33_2896
; %bb.2890:
	s_cmp_gt_i32 s2, 14
	s_mov_b32 s3, -1
	s_cbranch_scc0 .LBB33_2894
; %bb.2891:
	s_cmp_eq_u32 s2, 15
	s_mov_b32 s0, -1
	s_cbranch_scc0 .LBB33_2893
; %bb.2892:
	s_wait_xcnt 0x0
	v_bfe_u32 v1, v4, 16, 1
	v_cmp_o_f32_e32 vcc_lo, v4, v4
	s_mov_b32 s0, 0
	s_mov_b32 s6, -1
	s_delay_alu instid0(VALU_DEP_2) | instskip(NEXT) | instid1(VALU_DEP_1)
	v_add3_u32 v1, v4, v1, 0x7fff
	v_lshrrev_b32_e32 v1, 16, v1
	s_delay_alu instid0(VALU_DEP_1)
	v_cndmask_b32_e32 v1, 0x7fc0, v1, vcc_lo
	global_store_b16 v[2:3], v1, off
.LBB33_2893:
	s_mov_b32 s3, 0
.LBB33_2894:
	s_delay_alu instid0(SALU_CYCLE_1)
	s_and_b32 vcc_lo, exec_lo, s3
	s_mov_b32 s3, 0
	s_cbranch_vccz .LBB33_2896
; %bb.2895:
	s_cmp_lg_u32 s2, 11
	s_mov_b32 s3, -1
	s_cselect_b32 s0, -1, 0
.LBB33_2896:
	s_delay_alu instid0(SALU_CYCLE_1)
	s_and_b32 vcc_lo, exec_lo, s0
	s_cbranch_vccnz .LBB33_3074
; %bb.2897:
	s_and_not1_b32 vcc_lo, exec_lo, s3
	s_cbranch_vccnz .LBB33_2899
.LBB33_2898:
	v_cmp_neq_f32_e32 vcc_lo, 0, v4
	s_mov_b32 s6, -1
	s_wait_xcnt 0x0
	v_cndmask_b32_e64 v1, 0, 1, vcc_lo
	global_store_b8 v[2:3], v1, off
.LBB33_2899:
.LBB33_2900:
	s_and_not1_b32 vcc_lo, exec_lo, s6
	s_cbranch_vccnz .LBB33_3016
.LBB33_2901:
	s_wait_xcnt 0x0
	v_dual_add_nc_u32 v0, s1, v0 :: v_dual_mul_f32 v2, v12, v14
	v_cmp_lt_f32_e32 vcc_lo, 0, v12
	s_mov_b32 s2, 0
	s_cmp_lt_i32 s16, 11
	s_delay_alu instid0(VALU_DEP_2) | instskip(SKIP_2) | instid1(VALU_DEP_2)
	v_ashrrev_i32_e32 v1, 31, v0
	s_mov_b32 s0, -1
	v_cndmask_b32_e32 v2, v2, v12, vcc_lo
	v_add_nc_u64_e32 v[0:1], s[4:5], v[0:1]
	s_cbranch_scc1 .LBB33_3017
; %bb.2902:
	s_and_b32 s1, 0xffff, s16
	s_mov_b32 s3, -1
	s_cmp_gt_i32 s1, 25
	s_mov_b32 s0, 0
	s_cbranch_scc0 .LBB33_2935
; %bb.2903:
	s_cmp_gt_i32 s1, 28
	s_cbranch_scc0 .LBB33_2919
; %bb.2904:
	s_cmp_gt_i32 s1, 43
	;; [unrolled: 3-line block ×3, first 2 shown]
	s_cbranch_scc0 .LBB33_2909
; %bb.2906:
	s_cmp_eq_u32 s1, 46
	s_mov_b32 s0, -1
	s_cbranch_scc0 .LBB33_2908
; %bb.2907:
	v_bfe_u32 v3, v2, 16, 1
	v_cmp_o_f32_e32 vcc_lo, v2, v2
	s_mov_b32 s0, 0
	s_delay_alu instid0(VALU_DEP_2) | instskip(NEXT) | instid1(VALU_DEP_1)
	v_add3_u32 v3, v2, v3, 0x7fff
	v_lshrrev_b32_e32 v3, 16, v3
	s_delay_alu instid0(VALU_DEP_1)
	v_cndmask_b32_e32 v3, 0x7fc0, v3, vcc_lo
	global_store_b32 v[0:1], v3, off
.LBB33_2908:
	s_mov_b32 s3, 0
.LBB33_2909:
	s_delay_alu instid0(SALU_CYCLE_1)
	s_and_b32 vcc_lo, exec_lo, s3
	s_cbranch_vccz .LBB33_2914
; %bb.2910:
	s_cmp_eq_u32 s1, 44
	s_mov_b32 s0, -1
	s_cbranch_scc0 .LBB33_2914
; %bb.2911:
	v_bfe_u32 v4, v2, 23, 8
	s_wait_xcnt 0x0
	v_mov_b32_e32 v3, 0xff
	s_mov_b32 s3, exec_lo
	s_delay_alu instid0(VALU_DEP_2)
	v_cmpx_ne_u32_e32 0xff, v4
	s_cbranch_execz .LBB33_2913
; %bb.2912:
	v_and_b32_e32 v3, 0x400000, v2
	v_and_or_b32 v4, 0x3fffff, v2, v4
	s_delay_alu instid0(VALU_DEP_2) | instskip(NEXT) | instid1(VALU_DEP_2)
	v_cmp_ne_u32_e32 vcc_lo, 0, v3
	v_cmp_ne_u32_e64 s0, 0, v4
	v_lshrrev_b32_e32 v3, 23, v2
	s_and_b32 s0, vcc_lo, s0
	s_delay_alu instid0(SALU_CYCLE_1) | instskip(NEXT) | instid1(VALU_DEP_1)
	v_cndmask_b32_e64 v4, 0, 1, s0
	v_add_nc_u32_e32 v3, v3, v4
.LBB33_2913:
	s_or_b32 exec_lo, exec_lo, s3
	s_mov_b32 s0, 0
	global_store_b8 v[0:1], v3, off
.LBB33_2914:
	s_mov_b32 s3, 0
.LBB33_2915:
	s_delay_alu instid0(SALU_CYCLE_1)
	s_and_b32 vcc_lo, exec_lo, s3
	s_cbranch_vccz .LBB33_2918
; %bb.2916:
	s_cmp_eq_u32 s1, 29
	s_mov_b32 s0, -1
	s_cbranch_scc0 .LBB33_2918
; %bb.2917:
	s_wait_xcnt 0x0
	v_trunc_f32_e32 v3, v2
	s_mov_b32 s0, 0
	s_delay_alu instid0(VALU_DEP_1) | instskip(NEXT) | instid1(VALU_DEP_1)
	v_mul_f32_e32 v4, 0x2f800000, v3
	v_floor_f32_e32 v4, v4
	s_delay_alu instid0(VALU_DEP_1) | instskip(SKIP_1) | instid1(VALU_DEP_2)
	v_fmamk_f32 v3, v4, 0xcf800000, v3
	v_cvt_u32_f32_e32 v5, v4
	v_cvt_u32_f32_e32 v4, v3
	global_store_b64 v[0:1], v[4:5], off
.LBB33_2918:
	s_mov_b32 s3, 0
.LBB33_2919:
	s_delay_alu instid0(SALU_CYCLE_1)
	s_and_b32 vcc_lo, exec_lo, s3
	s_cbranch_vccz .LBB33_2934
; %bb.2920:
	s_cmp_lt_i32 s1, 27
	s_mov_b32 s3, -1
	s_cbranch_scc1 .LBB33_2926
; %bb.2921:
	s_wait_xcnt 0x0
	v_cvt_u32_f32_e32 v3, v2
	s_cmp_gt_i32 s1, 27
	s_cbranch_scc0 .LBB33_2923
; %bb.2922:
	s_mov_b32 s3, 0
	global_store_b32 v[0:1], v3, off
.LBB33_2923:
	s_and_not1_b32 vcc_lo, exec_lo, s3
	s_cbranch_vccnz .LBB33_2925
; %bb.2924:
	global_store_b16 v[0:1], v3, off
.LBB33_2925:
	s_mov_b32 s3, 0
.LBB33_2926:
	s_delay_alu instid0(SALU_CYCLE_1)
	s_and_not1_b32 vcc_lo, exec_lo, s3
	s_cbranch_vccnz .LBB33_2934
; %bb.2927:
	s_wait_xcnt 0x0
	v_and_b32_e32 v3, 0x7fffffff, v2
	v_mov_b32_e32 v4, 0x80
	s_mov_b32 s3, exec_lo
	s_delay_alu instid0(VALU_DEP_2)
	v_cmpx_gt_u32_e32 0x43800000, v3
	s_cbranch_execz .LBB33_2933
; %bb.2928:
	v_cmp_lt_u32_e32 vcc_lo, 0x3bffffff, v3
	s_mov_b32 s4, 0
                                        ; implicit-def: $vgpr3
	s_and_saveexec_b32 s5, vcc_lo
	s_delay_alu instid0(SALU_CYCLE_1)
	s_xor_b32 s5, exec_lo, s5
	s_cbranch_execz .LBB33_3077
; %bb.2929:
	v_bfe_u32 v3, v2, 20, 1
	s_mov_b32 s4, exec_lo
	s_delay_alu instid0(VALU_DEP_1) | instskip(NEXT) | instid1(VALU_DEP_1)
	v_add3_u32 v3, v2, v3, 0x487ffff
	v_lshrrev_b32_e32 v3, 20, v3
	s_and_not1_saveexec_b32 s5, s5
	s_cbranch_execnz .LBB33_3078
.LBB33_2930:
	s_or_b32 exec_lo, exec_lo, s5
	v_mov_b32_e32 v4, 0
	s_and_saveexec_b32 s5, s4
.LBB33_2931:
	v_lshrrev_b32_e32 v4, 24, v2
	s_delay_alu instid0(VALU_DEP_1)
	v_and_or_b32 v4, 0x80, v4, v3
.LBB33_2932:
	s_or_b32 exec_lo, exec_lo, s5
.LBB33_2933:
	s_delay_alu instid0(SALU_CYCLE_1)
	s_or_b32 exec_lo, exec_lo, s3
	global_store_b8 v[0:1], v4, off
.LBB33_2934:
	s_mov_b32 s3, 0
.LBB33_2935:
	s_delay_alu instid0(SALU_CYCLE_1)
	s_and_b32 vcc_lo, exec_lo, s3
	s_cbranch_vccz .LBB33_2975
; %bb.2936:
	s_cmp_gt_i32 s1, 22
	s_mov_b32 s2, -1
	s_cbranch_scc0 .LBB33_2968
; %bb.2937:
	s_cmp_lt_i32 s1, 24
	s_cbranch_scc1 .LBB33_2957
; %bb.2938:
	s_cmp_gt_i32 s1, 24
	s_cbranch_scc0 .LBB33_2946
; %bb.2939:
	s_wait_xcnt 0x0
	v_and_b32_e32 v3, 0x7fffffff, v2
	v_mov_b32_e32 v4, 0x80
	s_mov_b32 s2, exec_lo
	s_delay_alu instid0(VALU_DEP_2)
	v_cmpx_gt_u32_e32 0x47800000, v3
	s_cbranch_execz .LBB33_2945
; %bb.2940:
	v_cmp_lt_u32_e32 vcc_lo, 0x37ffffff, v3
	s_mov_b32 s3, 0
                                        ; implicit-def: $vgpr3
	s_and_saveexec_b32 s4, vcc_lo
	s_delay_alu instid0(SALU_CYCLE_1)
	s_xor_b32 s4, exec_lo, s4
	s_cbranch_execz .LBB33_3080
; %bb.2941:
	v_bfe_u32 v3, v2, 21, 1
	s_mov_b32 s3, exec_lo
	s_delay_alu instid0(VALU_DEP_1) | instskip(NEXT) | instid1(VALU_DEP_1)
	v_add3_u32 v3, v2, v3, 0x88fffff
	v_lshrrev_b32_e32 v3, 21, v3
	s_and_not1_saveexec_b32 s4, s4
	s_cbranch_execnz .LBB33_3081
.LBB33_2942:
	s_or_b32 exec_lo, exec_lo, s4
	v_mov_b32_e32 v4, 0
	s_and_saveexec_b32 s4, s3
.LBB33_2943:
	v_lshrrev_b32_e32 v4, 24, v2
	s_delay_alu instid0(VALU_DEP_1)
	v_and_or_b32 v4, 0x80, v4, v3
.LBB33_2944:
	s_or_b32 exec_lo, exec_lo, s4
.LBB33_2945:
	s_delay_alu instid0(SALU_CYCLE_1)
	s_or_b32 exec_lo, exec_lo, s2
	s_mov_b32 s2, 0
	global_store_b8 v[0:1], v4, off
.LBB33_2946:
	s_and_b32 vcc_lo, exec_lo, s2
	s_cbranch_vccz .LBB33_2956
; %bb.2947:
	s_wait_xcnt 0x0
	v_and_b32_e32 v4, 0x7fffffff, v2
	s_mov_b32 s2, exec_lo
                                        ; implicit-def: $vgpr3
	s_delay_alu instid0(VALU_DEP_1)
	v_cmpx_gt_u32_e32 0x43f00000, v4
	s_xor_b32 s2, exec_lo, s2
	s_cbranch_execz .LBB33_2953
; %bb.2948:
	s_mov_b32 s3, exec_lo
                                        ; implicit-def: $vgpr3
	v_cmpx_lt_u32_e32 0x3c7fffff, v4
	s_xor_b32 s3, exec_lo, s3
; %bb.2949:
	v_bfe_u32 v3, v2, 20, 1
	s_delay_alu instid0(VALU_DEP_1) | instskip(NEXT) | instid1(VALU_DEP_1)
	v_add3_u32 v3, v2, v3, 0x407ffff
	v_and_b32_e32 v4, 0xff00000, v3
	v_lshrrev_b32_e32 v3, 20, v3
	s_delay_alu instid0(VALU_DEP_2) | instskip(NEXT) | instid1(VALU_DEP_2)
	v_cmp_ne_u32_e32 vcc_lo, 0x7f00000, v4
	v_cndmask_b32_e32 v3, 0x7e, v3, vcc_lo
; %bb.2950:
	s_and_not1_saveexec_b32 s3, s3
; %bb.2951:
	v_add_f32_e64 v3, 0x46800000, |v2|
; %bb.2952:
	s_or_b32 exec_lo, exec_lo, s3
                                        ; implicit-def: $vgpr4
.LBB33_2953:
	s_and_not1_saveexec_b32 s2, s2
; %bb.2954:
	v_mov_b32_e32 v3, 0x7f
	v_cmp_lt_u32_e32 vcc_lo, 0x7f800000, v4
	s_delay_alu instid0(VALU_DEP_2)
	v_cndmask_b32_e32 v3, 0x7e, v3, vcc_lo
; %bb.2955:
	s_or_b32 exec_lo, exec_lo, s2
	v_lshrrev_b32_e32 v4, 24, v2
	s_delay_alu instid0(VALU_DEP_1)
	v_and_or_b32 v3, 0x80, v4, v3
	global_store_b8 v[0:1], v3, off
.LBB33_2956:
	s_mov_b32 s2, 0
.LBB33_2957:
	s_delay_alu instid0(SALU_CYCLE_1)
	s_and_not1_b32 vcc_lo, exec_lo, s2
	s_cbranch_vccnz .LBB33_2967
; %bb.2958:
	s_wait_xcnt 0x0
	v_and_b32_e32 v4, 0x7fffffff, v2
	s_mov_b32 s2, exec_lo
                                        ; implicit-def: $vgpr3
	s_delay_alu instid0(VALU_DEP_1)
	v_cmpx_gt_u32_e32 0x47800000, v4
	s_xor_b32 s2, exec_lo, s2
	s_cbranch_execz .LBB33_2964
; %bb.2959:
	s_mov_b32 s3, exec_lo
                                        ; implicit-def: $vgpr3
	v_cmpx_lt_u32_e32 0x387fffff, v4
	s_xor_b32 s3, exec_lo, s3
; %bb.2960:
	v_bfe_u32 v3, v2, 21, 1
	s_delay_alu instid0(VALU_DEP_1) | instskip(NEXT) | instid1(VALU_DEP_1)
	v_add3_u32 v3, v2, v3, 0x80fffff
	v_lshrrev_b32_e32 v3, 21, v3
; %bb.2961:
	s_and_not1_saveexec_b32 s3, s3
; %bb.2962:
	v_add_f32_e64 v3, 0x43000000, |v2|
; %bb.2963:
	s_or_b32 exec_lo, exec_lo, s3
                                        ; implicit-def: $vgpr4
.LBB33_2964:
	s_and_not1_saveexec_b32 s2, s2
; %bb.2965:
	v_mov_b32_e32 v3, 0x7f
	v_cmp_lt_u32_e32 vcc_lo, 0x7f800000, v4
	s_delay_alu instid0(VALU_DEP_2)
	v_cndmask_b32_e32 v3, 0x7c, v3, vcc_lo
; %bb.2966:
	s_or_b32 exec_lo, exec_lo, s2
	v_lshrrev_b32_e32 v4, 24, v2
	s_delay_alu instid0(VALU_DEP_1)
	v_and_or_b32 v3, 0x80, v4, v3
	global_store_b8 v[0:1], v3, off
.LBB33_2967:
	s_mov_b32 s2, 0
.LBB33_2968:
	s_delay_alu instid0(SALU_CYCLE_1)
	s_and_not1_b32 vcc_lo, exec_lo, s2
	s_mov_b32 s2, 0
	s_cbranch_vccnz .LBB33_2975
; %bb.2969:
	s_cmp_gt_i32 s1, 14
	s_mov_b32 s2, -1
	s_cbranch_scc0 .LBB33_2973
; %bb.2970:
	s_cmp_eq_u32 s1, 15
	s_mov_b32 s0, -1
	s_cbranch_scc0 .LBB33_2972
; %bb.2971:
	s_wait_xcnt 0x0
	v_bfe_u32 v3, v2, 16, 1
	v_cmp_o_f32_e32 vcc_lo, v2, v2
	s_mov_b32 s0, 0
	s_delay_alu instid0(VALU_DEP_2) | instskip(NEXT) | instid1(VALU_DEP_1)
	v_add3_u32 v3, v2, v3, 0x7fff
	v_lshrrev_b32_e32 v3, 16, v3
	s_delay_alu instid0(VALU_DEP_1)
	v_cndmask_b32_e32 v3, 0x7fc0, v3, vcc_lo
	global_store_b16 v[0:1], v3, off
.LBB33_2972:
	s_mov_b32 s2, 0
.LBB33_2973:
	s_delay_alu instid0(SALU_CYCLE_1)
	s_and_b32 vcc_lo, exec_lo, s2
	s_mov_b32 s2, 0
	s_cbranch_vccz .LBB33_2975
; %bb.2974:
	s_cmp_lg_u32 s1, 11
	s_mov_b32 s2, -1
	s_cselect_b32 s0, -1, 0
.LBB33_2975:
	s_delay_alu instid0(SALU_CYCLE_1)
	s_and_b32 vcc_lo, exec_lo, s0
	s_cbranch_vccnz .LBB33_3079
.LBB33_2976:
	s_mov_b32 s0, 0
	s_branch .LBB33_3017
.LBB33_2977:
	s_and_b32 vcc_lo, exec_lo, s0
	s_cbranch_vccz .LBB33_2900
; %bb.2978:
	s_and_b32 s0, 0xffff, s16
	s_mov_b32 s2, -1
	s_cmp_lt_i32 s0, 5
	s_cbranch_scc1 .LBB33_2999
; %bb.2979:
	s_cmp_lt_i32 s0, 8
	s_cbranch_scc1 .LBB33_2989
; %bb.2980:
	;; [unrolled: 3-line block ×3, first 2 shown]
	s_cmp_gt_i32 s0, 9
	s_cbranch_scc0 .LBB33_2983
; %bb.2982:
	s_wait_xcnt 0x0
	v_cvt_f64_f32_e32 v[6:7], v4
	v_mov_b32_e32 v8, 0
	s_mov_b32 s2, 0
	s_delay_alu instid0(VALU_DEP_1)
	v_mov_b32_e32 v9, v8
	global_store_b128 v[2:3], v[6:9], off
.LBB33_2983:
	s_and_not1_b32 vcc_lo, exec_lo, s2
	s_cbranch_vccnz .LBB33_2985
; %bb.2984:
	s_wait_xcnt 0x0
	v_mov_b32_e32 v5, 0
	global_store_b64 v[2:3], v[4:5], off
.LBB33_2985:
	s_mov_b32 s2, 0
.LBB33_2986:
	s_delay_alu instid0(SALU_CYCLE_1)
	s_and_not1_b32 vcc_lo, exec_lo, s2
	s_cbranch_vccnz .LBB33_2988
; %bb.2987:
	s_wait_xcnt 0x0
	v_cvt_f16_f32_e32 v1, v4
	s_delay_alu instid0(VALU_DEP_1)
	v_and_b32_e32 v1, 0xffff, v1
	global_store_b32 v[2:3], v1, off
.LBB33_2988:
	s_mov_b32 s2, 0
.LBB33_2989:
	s_delay_alu instid0(SALU_CYCLE_1)
	s_and_not1_b32 vcc_lo, exec_lo, s2
	s_cbranch_vccnz .LBB33_2998
; %bb.2990:
	s_cmp_lt_i32 s0, 6
	s_mov_b32 s2, -1
	s_cbranch_scc1 .LBB33_2996
; %bb.2991:
	s_cmp_gt_i32 s0, 6
	s_cbranch_scc0 .LBB33_2993
; %bb.2992:
	s_wait_xcnt 0x0
	v_cvt_f64_f32_e32 v[6:7], v4
	s_mov_b32 s2, 0
	global_store_b64 v[2:3], v[6:7], off
.LBB33_2993:
	s_and_not1_b32 vcc_lo, exec_lo, s2
	s_cbranch_vccnz .LBB33_2995
; %bb.2994:
	global_store_b32 v[2:3], v4, off
.LBB33_2995:
	s_mov_b32 s2, 0
.LBB33_2996:
	s_delay_alu instid0(SALU_CYCLE_1)
	s_and_not1_b32 vcc_lo, exec_lo, s2
	s_cbranch_vccnz .LBB33_2998
; %bb.2997:
	s_wait_xcnt 0x0
	v_cvt_f16_f32_e32 v1, v4
	global_store_b16 v[2:3], v1, off
.LBB33_2998:
	s_mov_b32 s2, 0
.LBB33_2999:
	s_delay_alu instid0(SALU_CYCLE_1)
	s_and_not1_b32 vcc_lo, exec_lo, s2
	s_cbranch_vccnz .LBB33_3015
; %bb.3000:
	s_cmp_lt_i32 s0, 2
	s_mov_b32 s2, -1
	s_cbranch_scc1 .LBB33_3010
; %bb.3001:
	s_cmp_lt_i32 s0, 3
	s_cbranch_scc1 .LBB33_3007
; %bb.3002:
	s_cmp_gt_i32 s0, 3
	s_cbranch_scc0 .LBB33_3004
; %bb.3003:
	s_wait_xcnt 0x0
	v_trunc_f32_e32 v1, v4
	s_mov_b32 s2, 0
	s_delay_alu instid0(VALU_DEP_1) | instskip(SKIP_1) | instid1(VALU_DEP_2)
	v_mul_f32_e64 v5, 0x2f800000, |v1|
	v_ashrrev_i32_e32 v6, 31, v1
	v_floor_f32_e32 v5, v5
	s_delay_alu instid0(VALU_DEP_1) | instskip(SKIP_1) | instid1(VALU_DEP_2)
	v_fma_f32 v7, 0xcf800000, v5, |v1|
	v_cvt_u32_f32_e32 v1, v5
	v_cvt_u32_f32_e32 v5, v7
	s_delay_alu instid0(VALU_DEP_2) | instskip(NEXT) | instid1(VALU_DEP_2)
	v_dual_mov_b32 v7, v6 :: v_dual_bitop2_b32 v9, v1, v6 bitop3:0x14
	v_xor_b32_e32 v8, v5, v6
	s_delay_alu instid0(VALU_DEP_1)
	v_sub_nc_u64_e32 v[6:7], v[8:9], v[6:7]
	global_store_b64 v[2:3], v[6:7], off
.LBB33_3004:
	s_and_not1_b32 vcc_lo, exec_lo, s2
	s_cbranch_vccnz .LBB33_3006
; %bb.3005:
	s_wait_xcnt 0x0
	v_cvt_i32_f32_e32 v1, v4
	global_store_b32 v[2:3], v1, off
.LBB33_3006:
	s_mov_b32 s2, 0
.LBB33_3007:
	s_delay_alu instid0(SALU_CYCLE_1)
	s_and_not1_b32 vcc_lo, exec_lo, s2
	s_cbranch_vccnz .LBB33_3009
; %bb.3008:
	s_wait_xcnt 0x0
	v_cvt_i32_f32_e32 v1, v4
	global_store_b16 v[2:3], v1, off
.LBB33_3009:
	s_mov_b32 s2, 0
.LBB33_3010:
	s_delay_alu instid0(SALU_CYCLE_1)
	s_and_not1_b32 vcc_lo, exec_lo, s2
	s_cbranch_vccnz .LBB33_3015
; %bb.3011:
	s_cmp_gt_i32 s0, 0
	s_mov_b32 s0, -1
	s_cbranch_scc0 .LBB33_3013
; %bb.3012:
	s_wait_xcnt 0x0
	v_cvt_i32_f32_e32 v1, v4
	s_mov_b32 s0, 0
	global_store_b8 v[2:3], v1, off
.LBB33_3013:
	s_and_not1_b32 vcc_lo, exec_lo, s0
	s_cbranch_vccnz .LBB33_3015
; %bb.3014:
	s_wait_xcnt 0x0
	v_trunc_f32_e32 v1, v4
	s_delay_alu instid0(VALU_DEP_1) | instskip(NEXT) | instid1(VALU_DEP_1)
	v_mul_f32_e64 v4, 0x2f800000, |v1|
	v_floor_f32_e32 v4, v4
	s_delay_alu instid0(VALU_DEP_1) | instskip(SKIP_1) | instid1(VALU_DEP_2)
	v_fma_f32 v4, 0xcf800000, v4, |v1|
	v_ashrrev_i32_e32 v1, 31, v1
	v_cvt_u32_f32_e32 v4, v4
	s_delay_alu instid0(VALU_DEP_1) | instskip(NEXT) | instid1(VALU_DEP_1)
	v_xor_b32_e32 v4, v4, v1
	v_sub_nc_u32_e32 v1, v4, v1
	global_store_b8 v[2:3], v1, off
.LBB33_3015:
	s_branch .LBB33_2901
.LBB33_3016:
	s_mov_b32 s0, 0
	s_mov_b32 s2, 0
                                        ; implicit-def: $sgpr16
                                        ; implicit-def: $vgpr0_vgpr1
                                        ; implicit-def: $vgpr2
.LBB33_3017:
	s_and_not1_b32 s1, s15, exec_lo
	s_and_b32 s3, s12, exec_lo
	s_and_b32 s0, s0, exec_lo
	;; [unrolled: 1-line block ×3, first 2 shown]
	s_or_b32 s15, s1, s3
.LBB33_3018:
	s_wait_xcnt 0x0
	s_or_b32 exec_lo, exec_lo, s14
	s_and_saveexec_b32 s1, s15
	s_cbranch_execz .LBB33_3021
; %bb.3019:
	; divergent unreachable
	s_or_b32 exec_lo, exec_lo, s1
	s_and_saveexec_b32 s1, s12
	s_delay_alu instid0(SALU_CYCLE_1)
	s_xor_b32 s1, exec_lo, s1
	s_cbranch_execnz .LBB33_3022
.LBB33_3020:
	s_or_b32 exec_lo, exec_lo, s1
	s_and_saveexec_b32 s1, s0
	s_cbranch_execnz .LBB33_3023
	s_branch .LBB33_3060
.LBB33_3021:
	s_or_b32 exec_lo, exec_lo, s1
	s_and_saveexec_b32 s1, s12
	s_delay_alu instid0(SALU_CYCLE_1)
	s_xor_b32 s1, exec_lo, s1
	s_cbranch_execz .LBB33_3020
.LBB33_3022:
	s_wait_loadcnt 0x0
	v_cmp_neq_f32_e32 vcc_lo, 0, v2
	v_cndmask_b32_e64 v3, 0, 1, vcc_lo
	global_store_b8 v[0:1], v3, off
	s_wait_xcnt 0x0
	s_or_b32 exec_lo, exec_lo, s1
	s_and_saveexec_b32 s1, s0
	s_cbranch_execz .LBB33_3060
.LBB33_3023:
	s_sext_i32_i16 s1, s16
	s_mov_b32 s0, -1
	s_cmp_lt_i32 s1, 5
	s_cbranch_scc1 .LBB33_3044
; %bb.3024:
	s_cmp_lt_i32 s1, 8
	s_cbranch_scc1 .LBB33_3034
; %bb.3025:
	;; [unrolled: 3-line block ×3, first 2 shown]
	s_cmp_gt_i32 s1, 9
	s_cbranch_scc0 .LBB33_3028
; %bb.3027:
	s_wait_loadcnt 0x0
	v_cvt_f64_f32_e32 v[4:5], v2
	v_mov_b32_e32 v6, 0
	s_mov_b32 s0, 0
	s_delay_alu instid0(VALU_DEP_1)
	v_mov_b32_e32 v7, v6
	global_store_b128 v[0:1], v[4:7], off
.LBB33_3028:
	s_and_not1_b32 vcc_lo, exec_lo, s0
	s_cbranch_vccnz .LBB33_3030
; %bb.3029:
	s_wait_loadcnt 0x0
	v_mov_b32_e32 v3, 0
	global_store_b64 v[0:1], v[2:3], off
.LBB33_3030:
	s_mov_b32 s0, 0
.LBB33_3031:
	s_delay_alu instid0(SALU_CYCLE_1)
	s_and_not1_b32 vcc_lo, exec_lo, s0
	s_cbranch_vccnz .LBB33_3033
; %bb.3032:
	s_wait_loadcnt 0x0
	v_cvt_f16_f32_e32 v3, v2
	s_delay_alu instid0(VALU_DEP_1)
	v_and_b32_e32 v3, 0xffff, v3
	global_store_b32 v[0:1], v3, off
.LBB33_3033:
	s_mov_b32 s0, 0
.LBB33_3034:
	s_delay_alu instid0(SALU_CYCLE_1)
	s_and_not1_b32 vcc_lo, exec_lo, s0
	s_cbranch_vccnz .LBB33_3043
; %bb.3035:
	s_sext_i32_i16 s1, s16
	s_mov_b32 s0, -1
	s_cmp_lt_i32 s1, 6
	s_cbranch_scc1 .LBB33_3041
; %bb.3036:
	s_cmp_gt_i32 s1, 6
	s_cbranch_scc0 .LBB33_3038
; %bb.3037:
	s_wait_loadcnt 0x0
	v_cvt_f64_f32_e32 v[4:5], v2
	s_mov_b32 s0, 0
	global_store_b64 v[0:1], v[4:5], off
.LBB33_3038:
	s_and_not1_b32 vcc_lo, exec_lo, s0
	s_cbranch_vccnz .LBB33_3040
; %bb.3039:
	s_wait_loadcnt 0x0
	global_store_b32 v[0:1], v2, off
.LBB33_3040:
	s_mov_b32 s0, 0
.LBB33_3041:
	s_delay_alu instid0(SALU_CYCLE_1)
	s_and_not1_b32 vcc_lo, exec_lo, s0
	s_cbranch_vccnz .LBB33_3043
; %bb.3042:
	s_wait_loadcnt 0x0
	v_cvt_f16_f32_e32 v3, v2
	global_store_b16 v[0:1], v3, off
.LBB33_3043:
	s_mov_b32 s0, 0
.LBB33_3044:
	s_delay_alu instid0(SALU_CYCLE_1)
	s_and_not1_b32 vcc_lo, exec_lo, s0
	s_cbranch_vccnz .LBB33_3060
; %bb.3045:
	s_sext_i32_i16 s1, s16
	s_mov_b32 s0, -1
	s_cmp_lt_i32 s1, 2
	s_cbranch_scc1 .LBB33_3055
; %bb.3046:
	s_cmp_lt_i32 s1, 3
	s_cbranch_scc1 .LBB33_3052
; %bb.3047:
	s_cmp_gt_i32 s1, 3
	s_cbranch_scc0 .LBB33_3049
; %bb.3048:
	s_wait_loadcnt 0x0
	v_trunc_f32_e32 v3, v2
	s_mov_b32 s0, 0
	s_delay_alu instid0(VALU_DEP_1) | instskip(NEXT) | instid1(VALU_DEP_1)
	v_mul_f32_e64 v4, 0x2f800000, |v3|
	v_floor_f32_e32 v5, v4
	v_ashrrev_i32_e32 v4, 31, v3
	s_delay_alu instid0(VALU_DEP_2) | instskip(SKIP_1) | instid1(VALU_DEP_3)
	v_fma_f32 v6, 0xcf800000, v5, |v3|
	v_cvt_u32_f32_e32 v3, v5
	v_mov_b32_e32 v5, v4
	s_delay_alu instid0(VALU_DEP_3) | instskip(NEXT) | instid1(VALU_DEP_3)
	v_cvt_u32_f32_e32 v6, v6
	v_xor_b32_e32 v7, v3, v4
	s_delay_alu instid0(VALU_DEP_2) | instskip(NEXT) | instid1(VALU_DEP_1)
	v_xor_b32_e32 v6, v6, v4
	v_sub_nc_u64_e32 v[4:5], v[6:7], v[4:5]
	global_store_b64 v[0:1], v[4:5], off
.LBB33_3049:
	s_and_not1_b32 vcc_lo, exec_lo, s0
	s_cbranch_vccnz .LBB33_3051
; %bb.3050:
	s_wait_loadcnt 0x0
	v_cvt_i32_f32_e32 v3, v2
	global_store_b32 v[0:1], v3, off
.LBB33_3051:
	s_mov_b32 s0, 0
.LBB33_3052:
	s_delay_alu instid0(SALU_CYCLE_1)
	s_and_not1_b32 vcc_lo, exec_lo, s0
	s_cbranch_vccnz .LBB33_3054
; %bb.3053:
	s_wait_loadcnt 0x0
	v_cvt_i32_f32_e32 v3, v2
	global_store_b16 v[0:1], v3, off
.LBB33_3054:
	s_mov_b32 s0, 0
.LBB33_3055:
	s_delay_alu instid0(SALU_CYCLE_1)
	s_and_not1_b32 vcc_lo, exec_lo, s0
	s_cbranch_vccnz .LBB33_3060
; %bb.3056:
	s_sext_i32_i16 s0, s16
	s_delay_alu instid0(SALU_CYCLE_1)
	s_cmp_gt_i32 s0, 0
	s_mov_b32 s0, -1
	s_cbranch_scc0 .LBB33_3058
; %bb.3057:
	s_wait_loadcnt 0x0
	v_cvt_i32_f32_e32 v3, v2
	s_mov_b32 s0, 0
	global_store_b8 v[0:1], v3, off
.LBB33_3058:
	s_and_not1_b32 vcc_lo, exec_lo, s0
	s_cbranch_vccnz .LBB33_3060
; %bb.3059:
	s_wait_loadcnt 0x0
	v_trunc_f32_e32 v2, v2
	s_delay_alu instid0(VALU_DEP_1) | instskip(NEXT) | instid1(VALU_DEP_1)
	v_mul_f32_e64 v3, 0x2f800000, |v2|
	v_floor_f32_e32 v3, v3
	s_delay_alu instid0(VALU_DEP_1) | instskip(SKIP_1) | instid1(VALU_DEP_2)
	v_fma_f32 v3, 0xcf800000, v3, |v2|
	v_ashrrev_i32_e32 v2, 31, v2
	v_cvt_u32_f32_e32 v3, v3
	s_delay_alu instid0(VALU_DEP_1) | instskip(NEXT) | instid1(VALU_DEP_1)
	v_xor_b32_e32 v3, v3, v2
	v_sub_nc_u32_e32 v2, v3, v2
	global_store_b8 v[0:1], v2, off
	s_endpgm
.LBB33_3060:
	s_endpgm
.LBB33_3061:
	s_or_b32 s12, s12, exec_lo
	s_trap 2
	s_cbranch_execz .LBB33_2534
	s_branch .LBB33_2535
.LBB33_3062:
	s_and_not1_saveexec_b32 s7, s7
	s_cbranch_execz .LBB33_2614
.LBB33_3063:
	v_add_f32_e64 v1, 0x46000000, |v4|
	s_and_not1_b32 s6, s6, exec_lo
	s_delay_alu instid0(VALU_DEP_1) | instskip(NEXT) | instid1(VALU_DEP_1)
	v_and_b32_e32 v1, 0xff, v1
	v_cmp_ne_u32_e32 vcc_lo, 0, v1
	s_and_b32 s9, vcc_lo, exec_lo
	s_delay_alu instid0(SALU_CYCLE_1)
	s_or_b32 s6, s6, s9
	s_or_b32 exec_lo, exec_lo, s7
	v_mov_b32_e32 v5, 0
	s_and_saveexec_b32 s7, s6
	s_cbranch_execnz .LBB33_2615
	s_branch .LBB33_2616
.LBB33_3064:
	s_or_b32 s12, s12, exec_lo
	s_trap 2
	s_cbranch_execz .LBB33_2662
	s_branch .LBB33_2663
.LBB33_3065:
	s_and_not1_saveexec_b32 s6, s6
	s_cbranch_execz .LBB33_2627
.LBB33_3066:
	v_add_f32_e64 v1, 0x42800000, |v4|
	s_and_not1_b32 s3, s3, exec_lo
	s_delay_alu instid0(VALU_DEP_1) | instskip(NEXT) | instid1(VALU_DEP_1)
	v_and_b32_e32 v1, 0xff, v1
	v_cmp_ne_u32_e32 vcc_lo, 0, v1
	s_and_b32 s7, vcc_lo, exec_lo
	s_delay_alu instid0(SALU_CYCLE_1)
	s_or_b32 s3, s3, s7
	s_or_b32 exec_lo, exec_lo, s6
	v_mov_b32_e32 v5, 0
	s_and_saveexec_b32 s6, s3
	s_cbranch_execnz .LBB33_2628
	s_branch .LBB33_2629
.LBB33_3067:
	s_and_not1_saveexec_b32 s8, s8
	s_cbranch_execz .LBB33_2732
.LBB33_3068:
	v_add_f32_e64 v1, 0x46000000, |v4|
	s_and_not1_b32 s7, s7, exec_lo
	s_delay_alu instid0(VALU_DEP_1) | instskip(NEXT) | instid1(VALU_DEP_1)
	v_and_b32_e32 v1, 0xff, v1
	v_cmp_ne_u32_e32 vcc_lo, 0, v1
	s_and_b32 s9, vcc_lo, exec_lo
	s_delay_alu instid0(SALU_CYCLE_1)
	s_or_b32 s7, s7, s9
	s_or_b32 exec_lo, exec_lo, s8
	v_mov_b32_e32 v5, 0
	s_and_saveexec_b32 s8, s7
	s_cbranch_execnz .LBB33_2733
	s_branch .LBB33_2734
.LBB33_3069:
	s_or_b32 s12, s12, exec_lo
	s_trap 2
	s_cbranch_execz .LBB33_2780
	s_branch .LBB33_2781
.LBB33_3070:
	s_and_not1_saveexec_b32 s7, s7
	s_cbranch_execz .LBB33_2745
.LBB33_3071:
	v_add_f32_e64 v1, 0x42800000, |v4|
	s_and_not1_b32 s6, s6, exec_lo
	s_delay_alu instid0(VALU_DEP_1) | instskip(NEXT) | instid1(VALU_DEP_1)
	v_and_b32_e32 v1, 0xff, v1
	v_cmp_ne_u32_e32 vcc_lo, 0, v1
	s_and_b32 s8, vcc_lo, exec_lo
	s_delay_alu instid0(SALU_CYCLE_1)
	s_or_b32 s6, s6, s8
	s_or_b32 exec_lo, exec_lo, s7
	v_mov_b32_e32 v5, 0
	s_and_saveexec_b32 s7, s6
	s_cbranch_execnz .LBB33_2746
	s_branch .LBB33_2747
.LBB33_3072:
	s_and_not1_saveexec_b32 s8, s8
	s_cbranch_execz .LBB33_2850
.LBB33_3073:
	v_add_f32_e64 v1, 0x46000000, |v4|
	s_and_not1_b32 s7, s7, exec_lo
	s_delay_alu instid0(VALU_DEP_1) | instskip(NEXT) | instid1(VALU_DEP_1)
	v_and_b32_e32 v1, 0xff, v1
	v_cmp_ne_u32_e32 vcc_lo, 0, v1
	s_and_b32 s9, vcc_lo, exec_lo
	s_delay_alu instid0(SALU_CYCLE_1)
	s_or_b32 s7, s7, s9
	s_or_b32 exec_lo, exec_lo, s8
	v_mov_b32_e32 v5, 0
	s_and_saveexec_b32 s8, s7
	s_cbranch_execnz .LBB33_2851
	s_branch .LBB33_2852
.LBB33_3074:
	s_or_b32 s12, s12, exec_lo
	s_trap 2
	s_cbranch_execz .LBB33_2898
	s_branch .LBB33_2899
.LBB33_3075:
	s_and_not1_saveexec_b32 s7, s7
	s_cbranch_execz .LBB33_2863
.LBB33_3076:
	v_add_f32_e64 v1, 0x42800000, |v4|
	s_and_not1_b32 s6, s6, exec_lo
	s_delay_alu instid0(VALU_DEP_1) | instskip(NEXT) | instid1(VALU_DEP_1)
	v_and_b32_e32 v1, 0xff, v1
	v_cmp_ne_u32_e32 vcc_lo, 0, v1
	s_and_b32 s8, vcc_lo, exec_lo
	s_delay_alu instid0(SALU_CYCLE_1)
	s_or_b32 s6, s6, s8
	s_or_b32 exec_lo, exec_lo, s7
	v_mov_b32_e32 v5, 0
	s_and_saveexec_b32 s7, s6
	s_cbranch_execnz .LBB33_2864
	s_branch .LBB33_2865
.LBB33_3077:
	s_and_not1_saveexec_b32 s5, s5
	s_cbranch_execz .LBB33_2930
.LBB33_3078:
	v_add_f32_e64 v3, 0x46000000, |v2|
	s_and_not1_b32 s4, s4, exec_lo
	s_delay_alu instid0(VALU_DEP_1) | instskip(NEXT) | instid1(VALU_DEP_1)
	v_and_b32_e32 v3, 0xff, v3
	v_cmp_ne_u32_e32 vcc_lo, 0, v3
	s_and_b32 s6, vcc_lo, exec_lo
	s_delay_alu instid0(SALU_CYCLE_1)
	s_or_b32 s4, s4, s6
	s_or_b32 exec_lo, exec_lo, s5
	v_mov_b32_e32 v4, 0
	s_and_saveexec_b32 s5, s4
	s_cbranch_execnz .LBB33_2931
	s_branch .LBB33_2932
.LBB33_3079:
	s_mov_b32 s2, 0
	s_or_b32 s12, s12, exec_lo
	s_trap 2
	s_branch .LBB33_2976
.LBB33_3080:
	s_and_not1_saveexec_b32 s4, s4
	s_cbranch_execz .LBB33_2942
.LBB33_3081:
	v_add_f32_e64 v3, 0x42800000, |v2|
	s_and_not1_b32 s3, s3, exec_lo
	s_delay_alu instid0(VALU_DEP_1) | instskip(NEXT) | instid1(VALU_DEP_1)
	v_and_b32_e32 v3, 0xff, v3
	v_cmp_ne_u32_e32 vcc_lo, 0, v3
	s_and_b32 s5, vcc_lo, exec_lo
	s_delay_alu instid0(SALU_CYCLE_1)
	s_or_b32 s3, s3, s5
	s_or_b32 exec_lo, exec_lo, s4
	v_mov_b32_e32 v4, 0
	s_and_saveexec_b32 s4, s3
	s_cbranch_execnz .LBB33_2943
	s_branch .LBB33_2944
	.section	.rodata,"a",@progbits
	.p2align	6, 0x0
	.amdhsa_kernel _ZN2at6native32elementwise_kernel_manual_unrollILi128ELi4EZNS0_15gpu_kernel_implIZZZNS0_12prelu_kernelERNS_14TensorIteratorEENKUlvE_clEvENKUlvE0_clEvEUlffE_EEvRNS_18TensorIteratorBaseERKT_EUlibE_EEviT1_
		.amdhsa_group_segment_fixed_size 0
		.amdhsa_private_segment_fixed_size 0
		.amdhsa_kernarg_size 48
		.amdhsa_user_sgpr_count 2
		.amdhsa_user_sgpr_dispatch_ptr 0
		.amdhsa_user_sgpr_queue_ptr 0
		.amdhsa_user_sgpr_kernarg_segment_ptr 1
		.amdhsa_user_sgpr_dispatch_id 0
		.amdhsa_user_sgpr_kernarg_preload_length 0
		.amdhsa_user_sgpr_kernarg_preload_offset 0
		.amdhsa_user_sgpr_private_segment_size 0
		.amdhsa_wavefront_size32 1
		.amdhsa_uses_dynamic_stack 0
		.amdhsa_enable_private_segment 0
		.amdhsa_system_sgpr_workgroup_id_x 1
		.amdhsa_system_sgpr_workgroup_id_y 0
		.amdhsa_system_sgpr_workgroup_id_z 0
		.amdhsa_system_sgpr_workgroup_info 0
		.amdhsa_system_vgpr_workitem_id 0
		.amdhsa_next_free_vgpr 20
		.amdhsa_next_free_sgpr 35
		.amdhsa_named_barrier_count 0
		.amdhsa_reserve_vcc 1
		.amdhsa_float_round_mode_32 0
		.amdhsa_float_round_mode_16_64 0
		.amdhsa_float_denorm_mode_32 3
		.amdhsa_float_denorm_mode_16_64 3
		.amdhsa_fp16_overflow 0
		.amdhsa_memory_ordered 1
		.amdhsa_forward_progress 1
		.amdhsa_inst_pref_size 255
		.amdhsa_round_robin_scheduling 0
		.amdhsa_exception_fp_ieee_invalid_op 0
		.amdhsa_exception_fp_denorm_src 0
		.amdhsa_exception_fp_ieee_div_zero 0
		.amdhsa_exception_fp_ieee_overflow 0
		.amdhsa_exception_fp_ieee_underflow 0
		.amdhsa_exception_fp_ieee_inexact 0
		.amdhsa_exception_int_div_zero 0
	.end_amdhsa_kernel
	.section	.text._ZN2at6native32elementwise_kernel_manual_unrollILi128ELi4EZNS0_15gpu_kernel_implIZZZNS0_12prelu_kernelERNS_14TensorIteratorEENKUlvE_clEvENKUlvE0_clEvEUlffE_EEvRNS_18TensorIteratorBaseERKT_EUlibE_EEviT1_,"axG",@progbits,_ZN2at6native32elementwise_kernel_manual_unrollILi128ELi4EZNS0_15gpu_kernel_implIZZZNS0_12prelu_kernelERNS_14TensorIteratorEENKUlvE_clEvENKUlvE0_clEvEUlffE_EEvRNS_18TensorIteratorBaseERKT_EUlibE_EEviT1_,comdat
.Lfunc_end33:
	.size	_ZN2at6native32elementwise_kernel_manual_unrollILi128ELi4EZNS0_15gpu_kernel_implIZZZNS0_12prelu_kernelERNS_14TensorIteratorEENKUlvE_clEvENKUlvE0_clEvEUlffE_EEvRNS_18TensorIteratorBaseERKT_EUlibE_EEviT1_, .Lfunc_end33-_ZN2at6native32elementwise_kernel_manual_unrollILi128ELi4EZNS0_15gpu_kernel_implIZZZNS0_12prelu_kernelERNS_14TensorIteratorEENKUlvE_clEvENKUlvE0_clEvEUlffE_EEvRNS_18TensorIteratorBaseERKT_EUlibE_EEviT1_
                                        ; -- End function
	.set _ZN2at6native32elementwise_kernel_manual_unrollILi128ELi4EZNS0_15gpu_kernel_implIZZZNS0_12prelu_kernelERNS_14TensorIteratorEENKUlvE_clEvENKUlvE0_clEvEUlffE_EEvRNS_18TensorIteratorBaseERKT_EUlibE_EEviT1_.num_vgpr, 20
	.set _ZN2at6native32elementwise_kernel_manual_unrollILi128ELi4EZNS0_15gpu_kernel_implIZZZNS0_12prelu_kernelERNS_14TensorIteratorEENKUlvE_clEvENKUlvE0_clEvEUlffE_EEvRNS_18TensorIteratorBaseERKT_EUlibE_EEviT1_.num_agpr, 0
	.set _ZN2at6native32elementwise_kernel_manual_unrollILi128ELi4EZNS0_15gpu_kernel_implIZZZNS0_12prelu_kernelERNS_14TensorIteratorEENKUlvE_clEvENKUlvE0_clEvEUlffE_EEvRNS_18TensorIteratorBaseERKT_EUlibE_EEviT1_.numbered_sgpr, 35
	.set _ZN2at6native32elementwise_kernel_manual_unrollILi128ELi4EZNS0_15gpu_kernel_implIZZZNS0_12prelu_kernelERNS_14TensorIteratorEENKUlvE_clEvENKUlvE0_clEvEUlffE_EEvRNS_18TensorIteratorBaseERKT_EUlibE_EEviT1_.num_named_barrier, 0
	.set _ZN2at6native32elementwise_kernel_manual_unrollILi128ELi4EZNS0_15gpu_kernel_implIZZZNS0_12prelu_kernelERNS_14TensorIteratorEENKUlvE_clEvENKUlvE0_clEvEUlffE_EEvRNS_18TensorIteratorBaseERKT_EUlibE_EEviT1_.private_seg_size, 0
	.set _ZN2at6native32elementwise_kernel_manual_unrollILi128ELi4EZNS0_15gpu_kernel_implIZZZNS0_12prelu_kernelERNS_14TensorIteratorEENKUlvE_clEvENKUlvE0_clEvEUlffE_EEvRNS_18TensorIteratorBaseERKT_EUlibE_EEviT1_.uses_vcc, 1
	.set _ZN2at6native32elementwise_kernel_manual_unrollILi128ELi4EZNS0_15gpu_kernel_implIZZZNS0_12prelu_kernelERNS_14TensorIteratorEENKUlvE_clEvENKUlvE0_clEvEUlffE_EEvRNS_18TensorIteratorBaseERKT_EUlibE_EEviT1_.uses_flat_scratch, 0
	.set _ZN2at6native32elementwise_kernel_manual_unrollILi128ELi4EZNS0_15gpu_kernel_implIZZZNS0_12prelu_kernelERNS_14TensorIteratorEENKUlvE_clEvENKUlvE0_clEvEUlffE_EEvRNS_18TensorIteratorBaseERKT_EUlibE_EEviT1_.has_dyn_sized_stack, 0
	.set _ZN2at6native32elementwise_kernel_manual_unrollILi128ELi4EZNS0_15gpu_kernel_implIZZZNS0_12prelu_kernelERNS_14TensorIteratorEENKUlvE_clEvENKUlvE0_clEvEUlffE_EEvRNS_18TensorIteratorBaseERKT_EUlibE_EEviT1_.has_recursion, 0
	.set _ZN2at6native32elementwise_kernel_manual_unrollILi128ELi4EZNS0_15gpu_kernel_implIZZZNS0_12prelu_kernelERNS_14TensorIteratorEENKUlvE_clEvENKUlvE0_clEvEUlffE_EEvRNS_18TensorIteratorBaseERKT_EUlibE_EEviT1_.has_indirect_call, 0
	.section	.AMDGPU.csdata,"",@progbits
; Kernel info:
; codeLenInByte = 55856
; TotalNumSgprs: 37
; NumVgprs: 20
; ScratchSize: 0
; MemoryBound: 1
; FloatMode: 240
; IeeeMode: 1
; LDSByteSize: 0 bytes/workgroup (compile time only)
; SGPRBlocks: 0
; VGPRBlocks: 1
; NumSGPRsForWavesPerEU: 37
; NumVGPRsForWavesPerEU: 20
; NamedBarCnt: 0
; Occupancy: 16
; WaveLimiterHint : 0
; COMPUTE_PGM_RSRC2:SCRATCH_EN: 0
; COMPUTE_PGM_RSRC2:USER_SGPR: 2
; COMPUTE_PGM_RSRC2:TRAP_HANDLER: 0
; COMPUTE_PGM_RSRC2:TGID_X_EN: 1
; COMPUTE_PGM_RSRC2:TGID_Y_EN: 0
; COMPUTE_PGM_RSRC2:TGID_Z_EN: 0
; COMPUTE_PGM_RSRC2:TIDIG_COMP_CNT: 0
	.section	.text._ZN2at6native32elementwise_kernel_manual_unrollILi128ELi4EZNS0_12_GLOBAL__N_142type_specialized_broadcast_kernel_launcherILi0EE5applyIZZZNS0_12prelu_kernelERNS_14TensorIteratorEENKUlvE_clEvENKUlvE0_clEvEUlffE_St5arrayIPcLm3EESB_IN3c1010ScalarTypeELm3EE16OffsetCalculatorILi3EjLb0EEEEvlT_T0_T1_T2_EUlibE_EEviSL_,"axG",@progbits,_ZN2at6native32elementwise_kernel_manual_unrollILi128ELi4EZNS0_12_GLOBAL__N_142type_specialized_broadcast_kernel_launcherILi0EE5applyIZZZNS0_12prelu_kernelERNS_14TensorIteratorEENKUlvE_clEvENKUlvE0_clEvEUlffE_St5arrayIPcLm3EESB_IN3c1010ScalarTypeELm3EE16OffsetCalculatorILi3EjLb0EEEEvlT_T0_T1_T2_EUlibE_EEviSL_,comdat
	.globl	_ZN2at6native32elementwise_kernel_manual_unrollILi128ELi4EZNS0_12_GLOBAL__N_142type_specialized_broadcast_kernel_launcherILi0EE5applyIZZZNS0_12prelu_kernelERNS_14TensorIteratorEENKUlvE_clEvENKUlvE0_clEvEUlffE_St5arrayIPcLm3EESB_IN3c1010ScalarTypeELm3EE16OffsetCalculatorILi3EjLb0EEEEvlT_T0_T1_T2_EUlibE_EEviSL_ ; -- Begin function _ZN2at6native32elementwise_kernel_manual_unrollILi128ELi4EZNS0_12_GLOBAL__N_142type_specialized_broadcast_kernel_launcherILi0EE5applyIZZZNS0_12prelu_kernelERNS_14TensorIteratorEENKUlvE_clEvENKUlvE0_clEvEUlffE_St5arrayIPcLm3EESB_IN3c1010ScalarTypeELm3EE16OffsetCalculatorILi3EjLb0EEEEvlT_T0_T1_T2_EUlibE_EEviSL_
	.p2align	8
	.type	_ZN2at6native32elementwise_kernel_manual_unrollILi128ELi4EZNS0_12_GLOBAL__N_142type_specialized_broadcast_kernel_launcherILi0EE5applyIZZZNS0_12prelu_kernelERNS_14TensorIteratorEENKUlvE_clEvENKUlvE0_clEvEUlffE_St5arrayIPcLm3EESB_IN3c1010ScalarTypeELm3EE16OffsetCalculatorILi3EjLb0EEEEvlT_T0_T1_T2_EUlibE_EEviSL_,@function
_ZN2at6native32elementwise_kernel_manual_unrollILi128ELi4EZNS0_12_GLOBAL__N_142type_specialized_broadcast_kernel_launcherILi0EE5applyIZZZNS0_12prelu_kernelERNS_14TensorIteratorEENKUlvE_clEvENKUlvE0_clEvEUlffE_St5arrayIPcLm3EESB_IN3c1010ScalarTypeELm3EE16OffsetCalculatorILi3EjLb0EEEEvlT_T0_T1_T2_EUlibE_EEviSL_: ; @_ZN2at6native32elementwise_kernel_manual_unrollILi128ELi4EZNS0_12_GLOBAL__N_142type_specialized_broadcast_kernel_launcherILi0EE5applyIZZZNS0_12prelu_kernelERNS_14TensorIteratorEENKUlvE_clEvENKUlvE0_clEvEUlffE_St5arrayIPcLm3EESB_IN3c1010ScalarTypeELm3EE16OffsetCalculatorILi3EjLb0EEEEvlT_T0_T1_T2_EUlibE_EEviSL_
; %bb.0:
	s_clause 0x1
	s_load_b32 s26, s[0:1], 0x8
	s_load_b32 s33, s[0:1], 0x0
	s_bfe_u32 s2, ttmp6, 0x4000c
	s_and_b32 s3, ttmp6, 15
	s_add_co_i32 s2, s2, 1
	s_getreg_b32 s4, hwreg(HW_REG_IB_STS2, 6, 4)
	s_mul_i32 s2, ttmp9, s2
	s_add_nc_u64 s[12:13], s[0:1], 8
	s_add_co_i32 s3, s3, s2
	s_cmp_eq_u32 s4, 0
	s_mov_b32 s21, 0
	s_cselect_b32 s2, ttmp9, s3
	s_wait_xcnt 0x0
	s_mov_b32 s0, exec_lo
	v_lshl_or_b32 v0, s2, 9, v0
	s_delay_alu instid0(VALU_DEP_1) | instskip(SKIP_2) | instid1(SALU_CYCLE_1)
	v_or_b32_e32 v4, 0x180, v0
	s_wait_kmcnt 0x0
	s_add_co_i32 s27, s26, -1
	s_cmp_gt_u32 s27, 1
	s_cselect_b32 s28, -1, 0
	v_cmpx_le_i32_e64 s33, v4
	s_xor_b32 s29, exec_lo, s0
	s_cbranch_execz .LBB34_54
; %bb.1:
	s_clause 0x5
	s_load_b128 s[4:7], s[12:13], 0x4
	s_load_b64 s[16:17], s[12:13], 0x14
	s_load_b128 s[8:11], s[12:13], 0xc4
	s_load_b64 s[18:19], s[12:13], 0xd4
	s_load_b64 s[14:15], s[12:13], 0x198
	s_load_b128 s[0:3], s[12:13], 0x188
	s_cmp_lg_u32 s26, 0
	s_mov_b32 s23, s21
	s_cselect_b32 s34, -1, 0
	s_min_u32 s31, s27, 15
	s_cmp_gt_u32 s26, 1
	s_cselect_b32 s30, -1, 0
	s_wait_kmcnt 0x0
	s_mov_b32 s20, s5
	s_mov_b32 s22, s16
	s_mov_b32 s5, exec_lo
	v_cmpx_gt_i32_e64 s33, v0
	s_cbranch_execnz .LBB34_5
; %bb.2:
	s_or_b32 exec_lo, exec_lo, s5
	s_delay_alu instid0(SALU_CYCLE_1)
	s_mov_b32 s5, exec_lo
	v_cmpx_gt_i32_e64 s33, v0
	s_cbranch_execnz .LBB34_17
.LBB34_3:
	s_or_b32 exec_lo, exec_lo, s5
	s_delay_alu instid0(SALU_CYCLE_1)
	s_mov_b32 s5, exec_lo
	v_cmpx_gt_i32_e64 s33, v0
	s_cbranch_execnz .LBB34_29
.LBB34_4:
	s_or_b32 exec_lo, exec_lo, s5
	s_delay_alu instid0(SALU_CYCLE_1)
	s_mov_b32 s5, exec_lo
	v_cmpx_gt_i32_e64 s33, v0
	s_cbranch_execnz .LBB34_41
	s_branch .LBB34_53
.LBB34_5:
	s_and_not1_b32 vcc_lo, exec_lo, s28
	s_cbranch_vccnz .LBB34_11
; %bb.6:
	s_and_not1_b32 vcc_lo, exec_lo, s34
	s_cbranch_vccnz .LBB34_12
; %bb.7:
	v_dual_mov_b32 v4, 0 :: v_dual_mov_b32 v1, v0
	v_dual_mov_b32 v6, 0 :: v_dual_mov_b32 v5, 0
	s_add_co_i32 s16, s31, 1
	s_mov_b64 s[24:25], 0xffffffffffffffe8
	s_and_b32 s16, s16, 30
	s_add_nc_u64 s[24:25], s[12:13], s[24:25]
.LBB34_8:                               ; =>This Inner Loop Header: Depth=1
	s_clause 0x1
	s_load_b128 s[36:39], s[24:25], 0x1c
	s_load_b64 s[44:45], s[24:25], 0x2c
	s_add_co_i32 s16, s16, -2
	s_delay_alu instid0(SALU_CYCLE_1) | instskip(SKIP_2) | instid1(VALU_DEP_1)
	s_cmp_lg_u32 s16, 0
	s_wait_kmcnt 0x0
	v_mul_hi_u32 v2, s37, v1
	v_add_nc_u32_e32 v2, v1, v2
	s_delay_alu instid0(VALU_DEP_1) | instskip(NEXT) | instid1(VALU_DEP_1)
	v_lshrrev_b32_e32 v2, s38, v2
	v_mul_hi_u32 v3, s44, v2
	v_mul_lo_u32 v7, v2, s36
	s_clause 0x1
	s_load_b128 s[40:43], s[24:25], 0xdc
	s_load_b64 s[36:37], s[24:25], 0xec
	s_wait_xcnt 0x0
	s_add_nc_u64 s[24:25], s[24:25], 24
	s_delay_alu instid0(VALU_DEP_2) | instskip(NEXT) | instid1(VALU_DEP_2)
	v_add_nc_u32_e32 v3, v2, v3
	v_sub_nc_u32_e32 v7, v1, v7
	s_delay_alu instid0(VALU_DEP_2) | instskip(SKIP_1) | instid1(VALU_DEP_2)
	v_lshrrev_b32_e32 v1, s45, v3
	s_wait_kmcnt 0x0
	v_mad_u32 v4, v7, s40, v4
	s_delay_alu instid0(VALU_DEP_2) | instskip(SKIP_2) | instid1(VALU_DEP_3)
	v_mul_lo_u32 v3, v1, s39
	v_mad_u32 v5, v7, s42, v5
	v_mad_u32 v6, v7, s41, v6
	v_sub_nc_u32_e32 v2, v2, v3
	s_delay_alu instid0(VALU_DEP_1) | instskip(NEXT) | instid1(VALU_DEP_4)
	v_mad_u32 v4, v2, s43, v4
	v_mad_u32 v5, v2, s37, v5
	s_delay_alu instid0(VALU_DEP_4)
	v_mad_u32 v6, v2, s36, v6
	s_cbranch_scc1 .LBB34_8
; %bb.9:
	s_bitcmp1_b32 s31, 0
	s_cselect_b32 s16, -1, 0
	s_delay_alu instid0(SALU_CYCLE_1)
	s_and_b32 vcc_lo, exec_lo, s16
	s_cbranch_vccnz .LBB34_13
; %bb.10:
	s_clause 0x1
	s_load_b96 s[36:38], s[24:25], 0x1c
	s_load_b96 s[40:42], s[24:25], 0xdc
	s_wait_kmcnt 0x0
	v_mul_hi_u32 v2, s37, v1
	s_delay_alu instid0(VALU_DEP_1) | instskip(NEXT) | instid1(VALU_DEP_1)
	v_add_nc_u32_e32 v2, v1, v2
	v_lshrrev_b32_e32 v2, s38, v2
	s_delay_alu instid0(VALU_DEP_1) | instskip(NEXT) | instid1(VALU_DEP_1)
	v_mul_lo_u32 v2, v2, s36
	v_sub_nc_u32_e32 v1, v1, v2
	s_delay_alu instid0(VALU_DEP_1)
	v_mad_u32 v4, v1, s40, v4
	v_mad_u32 v6, v1, s41, v6
	;; [unrolled: 1-line block ×3, first 2 shown]
	s_cbranch_execz .LBB34_14
	s_branch .LBB34_16
.LBB34_11:
                                        ; implicit-def: $vgpr5
                                        ; implicit-def: $vgpr6
                                        ; implicit-def: $vgpr4
	s_branch .LBB34_14
.LBB34_12:
	v_dual_mov_b32 v5, 0 :: v_dual_mov_b32 v6, 0
	v_mov_b32_e32 v4, 0
.LBB34_13:
	s_cbranch_execnz .LBB34_16
.LBB34_14:
	v_mov_b32_e32 v1, 0
	s_and_not1_b32 vcc_lo, exec_lo, s30
	s_delay_alu instid0(VALU_DEP_1) | instskip(NEXT) | instid1(VALU_DEP_1)
	v_mul_u64_e32 v[2:3], s[20:21], v[0:1]
	v_add_nc_u32_e32 v2, v0, v3
	s_delay_alu instid0(VALU_DEP_1) | instskip(NEXT) | instid1(VALU_DEP_1)
	v_lshrrev_b32_e32 v2, s6, v2
	v_mul_lo_u32 v3, v2, s4
	s_delay_alu instid0(VALU_DEP_1) | instskip(NEXT) | instid1(VALU_DEP_1)
	v_sub_nc_u32_e32 v3, v0, v3
	v_mul_lo_u32 v4, v3, s8
	v_mul_lo_u32 v5, v3, s10
	;; [unrolled: 1-line block ×3, first 2 shown]
	s_cbranch_vccnz .LBB34_16
; %bb.15:
	v_mov_b32_e32 v3, v1
	s_delay_alu instid0(VALU_DEP_1) | instskip(NEXT) | instid1(VALU_DEP_1)
	v_mul_u64_e32 v[8:9], s[22:23], v[2:3]
	v_add_nc_u32_e32 v1, v2, v9
	s_delay_alu instid0(VALU_DEP_1) | instskip(NEXT) | instid1(VALU_DEP_1)
	v_lshrrev_b32_e32 v1, s17, v1
	v_mul_lo_u32 v1, v1, s7
	s_delay_alu instid0(VALU_DEP_1) | instskip(NEXT) | instid1(VALU_DEP_1)
	v_sub_nc_u32_e32 v1, v2, v1
	v_mad_u32 v4, v1, s11, v4
	v_mad_u32 v6, v1, s18, v6
	;; [unrolled: 1-line block ×3, first 2 shown]
.LBB34_16:
	global_load_u16 v1, v5, s[14:15]
	global_load_b32 v2, v6, s[2:3]
	v_add_nc_u32_e32 v0, 0x80, v0
	s_wait_loadcnt 0x1
	v_lshlrev_b32_e32 v1, 16, v1
	s_wait_loadcnt 0x0
	v_cmp_lt_f32_e32 vcc_lo, 0, v2
	s_delay_alu instid0(VALU_DEP_2) | instskip(NEXT) | instid1(VALU_DEP_1)
	v_mul_f32_e32 v1, v2, v1
	v_cndmask_b32_e32 v1, v1, v2, vcc_lo
	global_store_b32 v4, v1, s[0:1]
	s_wait_xcnt 0x0
	s_or_b32 exec_lo, exec_lo, s5
	s_delay_alu instid0(SALU_CYCLE_1)
	s_mov_b32 s5, exec_lo
	v_cmpx_gt_i32_e64 s33, v0
	s_cbranch_execz .LBB34_3
.LBB34_17:
	s_and_not1_b32 vcc_lo, exec_lo, s28
	s_cbranch_vccnz .LBB34_23
; %bb.18:
	s_and_not1_b32 vcc_lo, exec_lo, s34
	s_cbranch_vccnz .LBB34_24
; %bb.19:
	v_dual_mov_b32 v4, 0 :: v_dual_mov_b32 v1, v0
	v_dual_mov_b32 v6, 0 :: v_dual_mov_b32 v5, 0
	s_add_co_i32 s16, s31, 1
	s_mov_b64 s[24:25], 0xffffffffffffffe8
	s_and_b32 s16, s16, 30
	s_add_nc_u64 s[24:25], s[12:13], s[24:25]
.LBB34_20:                              ; =>This Inner Loop Header: Depth=1
	s_clause 0x1
	s_load_b128 s[36:39], s[24:25], 0x1c
	s_load_b64 s[44:45], s[24:25], 0x2c
	s_add_co_i32 s16, s16, -2
	s_delay_alu instid0(SALU_CYCLE_1) | instskip(SKIP_2) | instid1(VALU_DEP_1)
	s_cmp_eq_u32 s16, 0
	s_wait_kmcnt 0x0
	v_mul_hi_u32 v2, s37, v1
	v_add_nc_u32_e32 v2, v1, v2
	s_delay_alu instid0(VALU_DEP_1) | instskip(NEXT) | instid1(VALU_DEP_1)
	v_lshrrev_b32_e32 v2, s38, v2
	v_mul_hi_u32 v3, s44, v2
	v_mul_lo_u32 v7, v2, s36
	s_clause 0x1
	s_load_b128 s[40:43], s[24:25], 0xdc
	s_load_b64 s[36:37], s[24:25], 0xec
	s_wait_xcnt 0x0
	s_add_nc_u64 s[24:25], s[24:25], 24
	s_delay_alu instid0(VALU_DEP_2) | instskip(NEXT) | instid1(VALU_DEP_2)
	v_add_nc_u32_e32 v3, v2, v3
	v_sub_nc_u32_e32 v7, v1, v7
	s_delay_alu instid0(VALU_DEP_2) | instskip(SKIP_1) | instid1(VALU_DEP_2)
	v_lshrrev_b32_e32 v1, s45, v3
	s_wait_kmcnt 0x0
	v_mad_u32 v4, v7, s40, v4
	s_delay_alu instid0(VALU_DEP_2) | instskip(SKIP_2) | instid1(VALU_DEP_3)
	v_mul_lo_u32 v3, v1, s39
	v_mad_u32 v5, v7, s42, v5
	v_mad_u32 v6, v7, s41, v6
	v_sub_nc_u32_e32 v2, v2, v3
	s_delay_alu instid0(VALU_DEP_1) | instskip(NEXT) | instid1(VALU_DEP_4)
	v_mad_u32 v4, v2, s43, v4
	v_mad_u32 v5, v2, s37, v5
	s_delay_alu instid0(VALU_DEP_4)
	v_mad_u32 v6, v2, s36, v6
	s_cbranch_scc0 .LBB34_20
; %bb.21:
	s_bitcmp1_b32 s31, 0
	s_cselect_b32 s16, -1, 0
	s_delay_alu instid0(SALU_CYCLE_1)
	s_and_b32 vcc_lo, exec_lo, s16
	s_cbranch_vccnz .LBB34_25
; %bb.22:
	s_clause 0x1
	s_load_b96 s[36:38], s[24:25], 0x1c
	s_load_b96 s[40:42], s[24:25], 0xdc
	s_wait_kmcnt 0x0
	v_mul_hi_u32 v2, s37, v1
	s_delay_alu instid0(VALU_DEP_1) | instskip(NEXT) | instid1(VALU_DEP_1)
	v_add_nc_u32_e32 v2, v1, v2
	v_lshrrev_b32_e32 v2, s38, v2
	s_delay_alu instid0(VALU_DEP_1) | instskip(NEXT) | instid1(VALU_DEP_1)
	v_mul_lo_u32 v2, v2, s36
	v_sub_nc_u32_e32 v1, v1, v2
	s_delay_alu instid0(VALU_DEP_1)
	v_mad_u32 v4, v1, s40, v4
	v_mad_u32 v6, v1, s41, v6
	;; [unrolled: 1-line block ×3, first 2 shown]
	s_branch .LBB34_25
.LBB34_23:
                                        ; implicit-def: $vgpr5
                                        ; implicit-def: $vgpr6
                                        ; implicit-def: $vgpr4
	s_branch .LBB34_26
.LBB34_24:
	v_dual_mov_b32 v5, 0 :: v_dual_mov_b32 v6, 0
	v_mov_b32_e32 v4, 0
.LBB34_25:
	s_cbranch_execnz .LBB34_28
.LBB34_26:
	v_mov_b32_e32 v1, 0
	s_and_not1_b32 vcc_lo, exec_lo, s30
	s_delay_alu instid0(VALU_DEP_1) | instskip(NEXT) | instid1(VALU_DEP_1)
	v_mul_u64_e32 v[2:3], s[20:21], v[0:1]
	v_add_nc_u32_e32 v2, v0, v3
	s_delay_alu instid0(VALU_DEP_1) | instskip(NEXT) | instid1(VALU_DEP_1)
	v_lshrrev_b32_e32 v2, s6, v2
	v_mul_lo_u32 v3, v2, s4
	s_delay_alu instid0(VALU_DEP_1) | instskip(NEXT) | instid1(VALU_DEP_1)
	v_sub_nc_u32_e32 v3, v0, v3
	v_mul_lo_u32 v4, v3, s8
	v_mul_lo_u32 v5, v3, s10
	;; [unrolled: 1-line block ×3, first 2 shown]
	s_cbranch_vccnz .LBB34_28
; %bb.27:
	v_mov_b32_e32 v3, v1
	s_delay_alu instid0(VALU_DEP_1) | instskip(NEXT) | instid1(VALU_DEP_1)
	v_mul_u64_e32 v[8:9], s[22:23], v[2:3]
	v_add_nc_u32_e32 v1, v2, v9
	s_delay_alu instid0(VALU_DEP_1) | instskip(NEXT) | instid1(VALU_DEP_1)
	v_lshrrev_b32_e32 v1, s17, v1
	v_mul_lo_u32 v1, v1, s7
	s_delay_alu instid0(VALU_DEP_1) | instskip(NEXT) | instid1(VALU_DEP_1)
	v_sub_nc_u32_e32 v1, v2, v1
	v_mad_u32 v4, v1, s11, v4
	v_mad_u32 v6, v1, s18, v6
	;; [unrolled: 1-line block ×3, first 2 shown]
.LBB34_28:
	global_load_u16 v1, v5, s[14:15]
	global_load_b32 v2, v6, s[2:3]
	v_add_nc_u32_e32 v0, 0x80, v0
	s_wait_loadcnt 0x1
	v_lshlrev_b32_e32 v1, 16, v1
	s_wait_loadcnt 0x0
	v_cmp_lt_f32_e32 vcc_lo, 0, v2
	s_delay_alu instid0(VALU_DEP_2) | instskip(NEXT) | instid1(VALU_DEP_1)
	v_mul_f32_e32 v1, v2, v1
	v_cndmask_b32_e32 v1, v1, v2, vcc_lo
	global_store_b32 v4, v1, s[0:1]
	s_wait_xcnt 0x0
	s_or_b32 exec_lo, exec_lo, s5
	s_delay_alu instid0(SALU_CYCLE_1)
	s_mov_b32 s5, exec_lo
	v_cmpx_gt_i32_e64 s33, v0
	s_cbranch_execz .LBB34_4
.LBB34_29:
	s_and_not1_b32 vcc_lo, exec_lo, s28
	s_cbranch_vccnz .LBB34_35
; %bb.30:
	s_and_not1_b32 vcc_lo, exec_lo, s34
	s_cbranch_vccnz .LBB34_36
; %bb.31:
	v_dual_mov_b32 v4, 0 :: v_dual_mov_b32 v1, v0
	v_dual_mov_b32 v6, 0 :: v_dual_mov_b32 v5, 0
	s_add_co_i32 s16, s31, 1
	s_mov_b64 s[24:25], 0xffffffffffffffe8
	s_and_b32 s16, s16, 30
	s_add_nc_u64 s[24:25], s[12:13], s[24:25]
.LBB34_32:                              ; =>This Inner Loop Header: Depth=1
	s_clause 0x1
	s_load_b128 s[36:39], s[24:25], 0x1c
	s_load_b64 s[44:45], s[24:25], 0x2c
	s_add_co_i32 s16, s16, -2
	s_delay_alu instid0(SALU_CYCLE_1) | instskip(SKIP_2) | instid1(VALU_DEP_1)
	s_cmp_eq_u32 s16, 0
	s_wait_kmcnt 0x0
	v_mul_hi_u32 v2, s37, v1
	v_add_nc_u32_e32 v2, v1, v2
	s_delay_alu instid0(VALU_DEP_1) | instskip(NEXT) | instid1(VALU_DEP_1)
	v_lshrrev_b32_e32 v2, s38, v2
	v_mul_hi_u32 v3, s44, v2
	v_mul_lo_u32 v7, v2, s36
	s_clause 0x1
	s_load_b128 s[40:43], s[24:25], 0xdc
	s_load_b64 s[36:37], s[24:25], 0xec
	s_wait_xcnt 0x0
	s_add_nc_u64 s[24:25], s[24:25], 24
	s_delay_alu instid0(VALU_DEP_2) | instskip(NEXT) | instid1(VALU_DEP_2)
	v_add_nc_u32_e32 v3, v2, v3
	v_sub_nc_u32_e32 v7, v1, v7
	s_delay_alu instid0(VALU_DEP_2) | instskip(SKIP_1) | instid1(VALU_DEP_2)
	v_lshrrev_b32_e32 v1, s45, v3
	s_wait_kmcnt 0x0
	v_mad_u32 v4, v7, s40, v4
	s_delay_alu instid0(VALU_DEP_2) | instskip(SKIP_2) | instid1(VALU_DEP_3)
	v_mul_lo_u32 v3, v1, s39
	v_mad_u32 v5, v7, s42, v5
	v_mad_u32 v6, v7, s41, v6
	v_sub_nc_u32_e32 v2, v2, v3
	s_delay_alu instid0(VALU_DEP_1) | instskip(NEXT) | instid1(VALU_DEP_4)
	v_mad_u32 v4, v2, s43, v4
	v_mad_u32 v5, v2, s37, v5
	s_delay_alu instid0(VALU_DEP_4)
	v_mad_u32 v6, v2, s36, v6
	s_cbranch_scc0 .LBB34_32
; %bb.33:
	s_bitcmp1_b32 s31, 0
	s_cselect_b32 s16, -1, 0
	s_delay_alu instid0(SALU_CYCLE_1)
	s_and_b32 vcc_lo, exec_lo, s16
	s_cbranch_vccnz .LBB34_37
; %bb.34:
	s_clause 0x1
	s_load_b96 s[36:38], s[24:25], 0x1c
	s_load_b96 s[40:42], s[24:25], 0xdc
	s_wait_kmcnt 0x0
	v_mul_hi_u32 v2, s37, v1
	s_delay_alu instid0(VALU_DEP_1) | instskip(NEXT) | instid1(VALU_DEP_1)
	v_add_nc_u32_e32 v2, v1, v2
	v_lshrrev_b32_e32 v2, s38, v2
	s_delay_alu instid0(VALU_DEP_1) | instskip(NEXT) | instid1(VALU_DEP_1)
	v_mul_lo_u32 v2, v2, s36
	v_sub_nc_u32_e32 v1, v1, v2
	s_delay_alu instid0(VALU_DEP_1)
	v_mad_u32 v4, v1, s40, v4
	v_mad_u32 v6, v1, s41, v6
	v_mad_u32 v5, v1, s42, v5
	s_branch .LBB34_37
.LBB34_35:
                                        ; implicit-def: $vgpr5
                                        ; implicit-def: $vgpr6
                                        ; implicit-def: $vgpr4
	s_branch .LBB34_38
.LBB34_36:
	v_dual_mov_b32 v5, 0 :: v_dual_mov_b32 v6, 0
	v_mov_b32_e32 v4, 0
.LBB34_37:
	s_cbranch_execnz .LBB34_40
.LBB34_38:
	v_mov_b32_e32 v1, 0
	s_and_not1_b32 vcc_lo, exec_lo, s30
	s_delay_alu instid0(VALU_DEP_1) | instskip(NEXT) | instid1(VALU_DEP_1)
	v_mul_u64_e32 v[2:3], s[20:21], v[0:1]
	v_add_nc_u32_e32 v2, v0, v3
	s_delay_alu instid0(VALU_DEP_1) | instskip(NEXT) | instid1(VALU_DEP_1)
	v_lshrrev_b32_e32 v2, s6, v2
	v_mul_lo_u32 v3, v2, s4
	s_delay_alu instid0(VALU_DEP_1) | instskip(NEXT) | instid1(VALU_DEP_1)
	v_sub_nc_u32_e32 v3, v0, v3
	v_mul_lo_u32 v4, v3, s8
	v_mul_lo_u32 v5, v3, s10
	;; [unrolled: 1-line block ×3, first 2 shown]
	s_cbranch_vccnz .LBB34_40
; %bb.39:
	v_mov_b32_e32 v3, v1
	s_delay_alu instid0(VALU_DEP_1) | instskip(NEXT) | instid1(VALU_DEP_1)
	v_mul_u64_e32 v[8:9], s[22:23], v[2:3]
	v_add_nc_u32_e32 v1, v2, v9
	s_delay_alu instid0(VALU_DEP_1) | instskip(NEXT) | instid1(VALU_DEP_1)
	v_lshrrev_b32_e32 v1, s17, v1
	v_mul_lo_u32 v1, v1, s7
	s_delay_alu instid0(VALU_DEP_1) | instskip(NEXT) | instid1(VALU_DEP_1)
	v_sub_nc_u32_e32 v1, v2, v1
	v_mad_u32 v4, v1, s11, v4
	v_mad_u32 v6, v1, s18, v6
	;; [unrolled: 1-line block ×3, first 2 shown]
.LBB34_40:
	global_load_u16 v1, v5, s[14:15]
	global_load_b32 v2, v6, s[2:3]
	v_add_nc_u32_e32 v0, 0x80, v0
	s_wait_loadcnt 0x1
	v_lshlrev_b32_e32 v1, 16, v1
	s_wait_loadcnt 0x0
	v_cmp_lt_f32_e32 vcc_lo, 0, v2
	s_delay_alu instid0(VALU_DEP_2) | instskip(NEXT) | instid1(VALU_DEP_1)
	v_mul_f32_e32 v1, v2, v1
	v_cndmask_b32_e32 v1, v1, v2, vcc_lo
	global_store_b32 v4, v1, s[0:1]
	s_wait_xcnt 0x0
	s_or_b32 exec_lo, exec_lo, s5
	s_delay_alu instid0(SALU_CYCLE_1)
	s_mov_b32 s5, exec_lo
	v_cmpx_gt_i32_e64 s33, v0
	s_cbranch_execz .LBB34_53
.LBB34_41:
	s_and_not1_b32 vcc_lo, exec_lo, s28
	s_cbranch_vccnz .LBB34_47
; %bb.42:
	s_and_not1_b32 vcc_lo, exec_lo, s34
	s_cbranch_vccnz .LBB34_48
; %bb.43:
	v_dual_mov_b32 v4, 0 :: v_dual_mov_b32 v1, v0
	v_dual_mov_b32 v6, 0 :: v_dual_mov_b32 v5, 0
	s_add_co_i32 s16, s31, 1
	s_mov_b64 s[24:25], 0xffffffffffffffe8
	s_and_b32 s16, s16, 30
	s_add_nc_u64 s[24:25], s[12:13], s[24:25]
.LBB34_44:                              ; =>This Inner Loop Header: Depth=1
	s_clause 0x1
	s_load_b128 s[36:39], s[24:25], 0x1c
	s_load_b64 s[34:35], s[24:25], 0x2c
	s_add_co_i32 s16, s16, -2
	s_delay_alu instid0(SALU_CYCLE_1) | instskip(SKIP_2) | instid1(VALU_DEP_1)
	s_cmp_eq_u32 s16, 0
	s_wait_kmcnt 0x0
	v_mul_hi_u32 v2, s37, v1
	v_add_nc_u32_e32 v2, v1, v2
	s_delay_alu instid0(VALU_DEP_1) | instskip(NEXT) | instid1(VALU_DEP_1)
	v_lshrrev_b32_e32 v2, s38, v2
	v_mul_hi_u32 v3, s34, v2
	v_mul_lo_u32 v7, v2, s36
	s_clause 0x1
	s_load_b128 s[40:43], s[24:25], 0xdc
	s_load_b64 s[36:37], s[24:25], 0xec
	s_wait_xcnt 0x0
	s_add_nc_u64 s[24:25], s[24:25], 24
	s_delay_alu instid0(VALU_DEP_2) | instskip(NEXT) | instid1(VALU_DEP_2)
	v_add_nc_u32_e32 v3, v2, v3
	v_sub_nc_u32_e32 v7, v1, v7
	s_delay_alu instid0(VALU_DEP_2) | instskip(SKIP_1) | instid1(VALU_DEP_2)
	v_lshrrev_b32_e32 v1, s35, v3
	s_wait_kmcnt 0x0
	v_mad_u32 v4, v7, s40, v4
	s_delay_alu instid0(VALU_DEP_2) | instskip(SKIP_2) | instid1(VALU_DEP_3)
	v_mul_lo_u32 v3, v1, s39
	v_mad_u32 v5, v7, s42, v5
	v_mad_u32 v6, v7, s41, v6
	v_sub_nc_u32_e32 v2, v2, v3
	s_delay_alu instid0(VALU_DEP_1) | instskip(NEXT) | instid1(VALU_DEP_4)
	v_mad_u32 v4, v2, s43, v4
	v_mad_u32 v5, v2, s37, v5
	s_delay_alu instid0(VALU_DEP_4)
	v_mad_u32 v6, v2, s36, v6
	s_cbranch_scc0 .LBB34_44
; %bb.45:
	s_bitcmp1_b32 s31, 0
	s_cselect_b32 s16, -1, 0
	s_delay_alu instid0(SALU_CYCLE_1)
	s_and_b32 vcc_lo, exec_lo, s16
	s_cbranch_vccnz .LBB34_49
; %bb.46:
	s_clause 0x1
	s_load_b96 s[36:38], s[24:25], 0x1c
	s_load_b96 s[40:42], s[24:25], 0xdc
	s_wait_kmcnt 0x0
	v_mul_hi_u32 v2, s37, v1
	s_delay_alu instid0(VALU_DEP_1) | instskip(NEXT) | instid1(VALU_DEP_1)
	v_add_nc_u32_e32 v2, v1, v2
	v_lshrrev_b32_e32 v2, s38, v2
	s_delay_alu instid0(VALU_DEP_1) | instskip(NEXT) | instid1(VALU_DEP_1)
	v_mul_lo_u32 v2, v2, s36
	v_sub_nc_u32_e32 v1, v1, v2
	s_delay_alu instid0(VALU_DEP_1)
	v_mad_u32 v4, v1, s40, v4
	v_mad_u32 v6, v1, s41, v6
	;; [unrolled: 1-line block ×3, first 2 shown]
	s_branch .LBB34_49
.LBB34_47:
                                        ; implicit-def: $vgpr5
                                        ; implicit-def: $vgpr6
                                        ; implicit-def: $vgpr4
	s_branch .LBB34_50
.LBB34_48:
	v_dual_mov_b32 v5, 0 :: v_dual_mov_b32 v6, 0
	v_mov_b32_e32 v4, 0
.LBB34_49:
	s_cbranch_execnz .LBB34_52
.LBB34_50:
	v_mov_b32_e32 v1, 0
	s_and_not1_b32 vcc_lo, exec_lo, s30
	s_delay_alu instid0(VALU_DEP_1) | instskip(NEXT) | instid1(VALU_DEP_1)
	v_mul_u64_e32 v[2:3], s[20:21], v[0:1]
	v_add_nc_u32_e32 v2, v0, v3
	s_delay_alu instid0(VALU_DEP_1) | instskip(NEXT) | instid1(VALU_DEP_1)
	v_lshrrev_b32_e32 v2, s6, v2
	v_mul_lo_u32 v3, v2, s4
	s_delay_alu instid0(VALU_DEP_1) | instskip(NEXT) | instid1(VALU_DEP_1)
	v_sub_nc_u32_e32 v0, v0, v3
	v_mul_lo_u32 v4, v0, s8
	v_mul_lo_u32 v5, v0, s10
	;; [unrolled: 1-line block ×3, first 2 shown]
	s_cbranch_vccnz .LBB34_52
; %bb.51:
	v_mov_b32_e32 v3, v1
	s_delay_alu instid0(VALU_DEP_1) | instskip(NEXT) | instid1(VALU_DEP_1)
	v_mul_u64_e32 v[0:1], s[22:23], v[2:3]
	v_add_nc_u32_e32 v0, v2, v1
	s_delay_alu instid0(VALU_DEP_1) | instskip(NEXT) | instid1(VALU_DEP_1)
	v_lshrrev_b32_e32 v0, s17, v0
	v_mul_lo_u32 v0, v0, s7
	s_delay_alu instid0(VALU_DEP_1) | instskip(NEXT) | instid1(VALU_DEP_1)
	v_sub_nc_u32_e32 v0, v2, v0
	v_mad_u32 v4, v0, s11, v4
	v_mad_u32 v6, v0, s18, v6
	v_mad_u32 v5, v0, s19, v5
.LBB34_52:
	global_load_u16 v0, v5, s[14:15]
	global_load_b32 v1, v6, s[2:3]
	s_wait_loadcnt 0x1
	v_lshlrev_b32_e32 v0, 16, v0
	s_wait_loadcnt 0x0
	v_cmp_lt_f32_e32 vcc_lo, 0, v1
	s_delay_alu instid0(VALU_DEP_2) | instskip(NEXT) | instid1(VALU_DEP_1)
	v_mul_f32_e32 v0, v1, v0
	v_cndmask_b32_e32 v0, v0, v1, vcc_lo
	global_store_b32 v4, v0, s[0:1]
.LBB34_53:
	s_wait_xcnt 0x0
	s_or_b32 exec_lo, exec_lo, s5
                                        ; implicit-def: $vgpr4
                                        ; implicit-def: $vgpr0
.LBB34_54:
	s_and_not1_saveexec_b32 s0, s29
	s_cbranch_execz .LBB34_61
; %bb.55:
	v_cndmask_b32_e64 v6, 0, 1, s28
	s_and_not1_b32 vcc_lo, exec_lo, s28
	s_cbranch_vccnz .LBB34_62
; %bb.56:
	s_cmp_lg_u32 s26, 0
	s_mov_b32 s2, 0
	s_cbranch_scc0 .LBB34_66
; %bb.57:
	s_min_u32 s3, s27, 15
	v_dual_mov_b32 v1, 0 :: v_dual_mov_b32 v5, v0
	v_dual_mov_b32 v2, 0 :: v_dual_mov_b32 v3, 0
	s_add_co_i32 s4, s3, 1
	s_mov_b64 s[0:1], 0xffffffffffffffe8
	s_and_b32 s4, s4, 30
	s_add_nc_u64 s[0:1], s[12:13], s[0:1]
.LBB34_58:                              ; =>This Inner Loop Header: Depth=1
	s_clause 0x1
	s_load_b128 s[8:11], s[0:1], 0x1c
	s_load_b64 s[6:7], s[0:1], 0x2c
	s_add_co_i32 s4, s4, -2
	s_delay_alu instid0(SALU_CYCLE_1) | instskip(SKIP_2) | instid1(VALU_DEP_1)
	s_cmp_lg_u32 s4, 0
	s_wait_kmcnt 0x0
	v_mul_hi_u32 v7, s9, v5
	v_add_nc_u32_e32 v7, v5, v7
	s_delay_alu instid0(VALU_DEP_1) | instskip(NEXT) | instid1(VALU_DEP_1)
	v_lshrrev_b32_e32 v7, s10, v7
	v_mul_hi_u32 v8, s6, v7
	v_mul_lo_u32 v9, v7, s8
	s_clause 0x1
	s_load_b128 s[16:19], s[0:1], 0xdc
	s_load_b64 s[8:9], s[0:1], 0xec
	s_wait_xcnt 0x0
	s_add_nc_u64 s[0:1], s[0:1], 24
	s_delay_alu instid0(VALU_DEP_1) | instskip(NEXT) | instid1(VALU_DEP_1)
	v_dual_add_nc_u32 v8, v7, v8 :: v_dual_sub_nc_u32 v9, v5, v9
	v_lshrrev_b32_e32 v5, s7, v8
	s_wait_kmcnt 0x0
	s_delay_alu instid0(VALU_DEP_2) | instskip(NEXT) | instid1(VALU_DEP_2)
	v_mad_u32 v1, v9, s16, v1
	v_mul_lo_u32 v8, v5, s11
	v_mad_u32 v3, v9, s18, v3
	v_mad_u32 v2, v9, s17, v2
	s_delay_alu instid0(VALU_DEP_3) | instskip(NEXT) | instid1(VALU_DEP_1)
	v_sub_nc_u32_e32 v7, v7, v8
	v_mad_u32 v1, v7, s19, v1
	s_delay_alu instid0(VALU_DEP_4) | instskip(NEXT) | instid1(VALU_DEP_4)
	v_mad_u32 v3, v7, s9, v3
	v_mad_u32 v2, v7, s8, v2
	s_cbranch_scc1 .LBB34_58
; %bb.59:
	s_bitcmp1_b32 s3, 0
	s_cselect_b32 s3, -1, 0
	s_delay_alu instid0(SALU_CYCLE_1)
	s_and_b32 vcc_lo, exec_lo, s3
	s_cbranch_vccnz .LBB34_63
; %bb.60:
	s_clause 0x1
	s_load_b96 s[4:6], s[0:1], 0x1c
	s_load_b96 s[8:10], s[0:1], 0xdc
	s_wait_kmcnt 0x0
	v_mul_hi_u32 v7, s5, v5
	s_delay_alu instid0(VALU_DEP_1) | instskip(NEXT) | instid1(VALU_DEP_1)
	v_add_nc_u32_e32 v7, v5, v7
	v_lshrrev_b32_e32 v7, s6, v7
	s_delay_alu instid0(VALU_DEP_1) | instskip(NEXT) | instid1(VALU_DEP_1)
	v_mul_lo_u32 v7, v7, s4
	v_sub_nc_u32_e32 v5, v5, v7
	s_delay_alu instid0(VALU_DEP_1)
	v_mad_u32 v1, v5, s8, v1
	v_mad_u32 v2, v5, s9, v2
	;; [unrolled: 1-line block ×3, first 2 shown]
	s_and_not1_b32 vcc_lo, exec_lo, s2
	s_cbranch_vccz .LBB34_64
	s_branch .LBB34_67
.LBB34_61:
	s_endpgm
.LBB34_62:
	s_mov_b32 s2, -1
                                        ; implicit-def: $vgpr3
                                        ; implicit-def: $vgpr2
                                        ; implicit-def: $vgpr1
.LBB34_63:
	s_delay_alu instid0(SALU_CYCLE_1)
	s_and_not1_b32 vcc_lo, exec_lo, s2
	s_cbranch_vccnz .LBB34_67
.LBB34_64:
	s_clause 0x1
	s_load_b96 s[0:2], s[12:13], 0x4
	s_load_b96 s[4:6], s[12:13], 0xc4
	s_cmp_lt_u32 s26, 2
	s_wait_kmcnt 0x0
	v_mul_hi_u32 v1, s1, v0
	s_delay_alu instid0(VALU_DEP_1) | instskip(NEXT) | instid1(VALU_DEP_1)
	v_add_nc_u32_e32 v1, v0, v1
	v_lshrrev_b32_e32 v5, s2, v1
	s_delay_alu instid0(VALU_DEP_1) | instskip(NEXT) | instid1(VALU_DEP_1)
	v_mul_lo_u32 v1, v5, s0
	v_sub_nc_u32_e32 v2, v0, v1
	s_delay_alu instid0(VALU_DEP_1)
	v_mul_lo_u32 v1, v2, s4
	v_mul_lo_u32 v3, v2, s6
	;; [unrolled: 1-line block ×3, first 2 shown]
	s_cbranch_scc1 .LBB34_67
; %bb.65:
	s_clause 0x1
	s_load_b96 s[0:2], s[12:13], 0x10
	s_load_b96 s[4:6], s[12:13], 0xd0
	s_wait_kmcnt 0x0
	v_mul_hi_u32 v7, s1, v5
	s_delay_alu instid0(VALU_DEP_1) | instskip(NEXT) | instid1(VALU_DEP_1)
	v_add_nc_u32_e32 v7, v5, v7
	v_lshrrev_b32_e32 v7, s2, v7
	s_delay_alu instid0(VALU_DEP_1) | instskip(NEXT) | instid1(VALU_DEP_1)
	v_mul_lo_u32 v7, v7, s0
	v_sub_nc_u32_e32 v5, v5, v7
	s_delay_alu instid0(VALU_DEP_1)
	v_mad_u32 v1, v5, s4, v1
	v_mad_u32 v2, v5, s5, v2
	;; [unrolled: 1-line block ×3, first 2 shown]
	s_branch .LBB34_67
.LBB34_66:
	v_dual_mov_b32 v3, 0 :: v_dual_mov_b32 v2, 0
	v_mov_b32_e32 v1, 0
	s_and_not1_b32 vcc_lo, exec_lo, s2
	s_cbranch_vccz .LBB34_64
.LBB34_67:
	v_cmp_ne_u32_e32 vcc_lo, 1, v6
	v_add_nc_u32_e32 v9, 0x80, v0
	s_cbranch_vccnz .LBB34_73
; %bb.68:
	s_cmp_lg_u32 s26, 0
	s_mov_b32 s2, 0
	s_cbranch_scc0 .LBB34_77
; %bb.69:
	s_min_u32 s3, s27, 15
	v_dual_mov_b32 v5, 0 :: v_dual_mov_b32 v10, v9
	v_dual_mov_b32 v8, 0 :: v_dual_mov_b32 v7, 0
	s_add_co_i32 s4, s3, 1
	s_mov_b64 s[0:1], 0xffffffffffffffe8
	s_and_b32 s4, s4, 30
	s_add_nc_u64 s[0:1], s[12:13], s[0:1]
.LBB34_70:                              ; =>This Inner Loop Header: Depth=1
	s_clause 0x1
	s_load_b128 s[8:11], s[0:1], 0x1c
	s_load_b64 s[6:7], s[0:1], 0x2c
	s_add_co_i32 s4, s4, -2
	s_delay_alu instid0(SALU_CYCLE_1) | instskip(SKIP_2) | instid1(VALU_DEP_1)
	s_cmp_lg_u32 s4, 0
	s_wait_kmcnt 0x0
	v_mul_hi_u32 v11, s9, v10
	v_add_nc_u32_e32 v11, v10, v11
	s_delay_alu instid0(VALU_DEP_1) | instskip(NEXT) | instid1(VALU_DEP_1)
	v_lshrrev_b32_e32 v11, s10, v11
	v_mul_hi_u32 v12, s6, v11
	v_mul_lo_u32 v13, v11, s8
	s_clause 0x1
	s_load_b128 s[16:19], s[0:1], 0xdc
	s_load_b64 s[8:9], s[0:1], 0xec
	s_wait_xcnt 0x0
	s_add_nc_u64 s[0:1], s[0:1], 24
	s_delay_alu instid0(VALU_DEP_1) | instskip(NEXT) | instid1(VALU_DEP_1)
	v_dual_add_nc_u32 v12, v11, v12 :: v_dual_sub_nc_u32 v13, v10, v13
	v_lshrrev_b32_e32 v10, s7, v12
	s_wait_kmcnt 0x0
	s_delay_alu instid0(VALU_DEP_2) | instskip(NEXT) | instid1(VALU_DEP_2)
	v_mad_u32 v5, v13, s16, v5
	v_mul_lo_u32 v12, v10, s11
	v_mad_u32 v7, v13, s18, v7
	v_mad_u32 v8, v13, s17, v8
	s_delay_alu instid0(VALU_DEP_3) | instskip(NEXT) | instid1(VALU_DEP_1)
	v_sub_nc_u32_e32 v11, v11, v12
	v_mad_u32 v5, v11, s19, v5
	s_delay_alu instid0(VALU_DEP_4) | instskip(NEXT) | instid1(VALU_DEP_4)
	v_mad_u32 v7, v11, s9, v7
	v_mad_u32 v8, v11, s8, v8
	s_cbranch_scc1 .LBB34_70
; %bb.71:
	s_bitcmp1_b32 s3, 0
	s_cselect_b32 s3, -1, 0
	s_delay_alu instid0(SALU_CYCLE_1)
	s_and_b32 vcc_lo, exec_lo, s3
	s_cbranch_vccnz .LBB34_74
; %bb.72:
	s_clause 0x1
	s_load_b96 s[4:6], s[0:1], 0x1c
	s_load_b96 s[8:10], s[0:1], 0xdc
	s_wait_kmcnt 0x0
	v_mul_hi_u32 v11, s5, v10
	s_delay_alu instid0(VALU_DEP_1) | instskip(NEXT) | instid1(VALU_DEP_1)
	v_add_nc_u32_e32 v11, v10, v11
	v_lshrrev_b32_e32 v11, s6, v11
	s_delay_alu instid0(VALU_DEP_1) | instskip(NEXT) | instid1(VALU_DEP_1)
	v_mul_lo_u32 v11, v11, s4
	v_sub_nc_u32_e32 v10, v10, v11
	s_delay_alu instid0(VALU_DEP_1)
	v_mad_u32 v5, v10, s8, v5
	v_mad_u32 v8, v10, s9, v8
	v_mad_u32 v7, v10, s10, v7
	s_and_not1_b32 vcc_lo, exec_lo, s2
	s_cbranch_vccz .LBB34_75
	s_branch .LBB34_78
.LBB34_73:
	s_mov_b32 s2, -1
                                        ; implicit-def: $vgpr7
                                        ; implicit-def: $vgpr8
                                        ; implicit-def: $vgpr5
.LBB34_74:
	s_delay_alu instid0(SALU_CYCLE_1)
	s_and_not1_b32 vcc_lo, exec_lo, s2
	s_cbranch_vccnz .LBB34_78
.LBB34_75:
	s_clause 0x1
	s_load_b96 s[0:2], s[12:13], 0x4
	s_load_b96 s[4:6], s[12:13], 0xc4
	s_cmp_lt_u32 s26, 2
	s_wait_kmcnt 0x0
	v_mul_hi_u32 v5, s1, v9
	s_delay_alu instid0(VALU_DEP_1) | instskip(NEXT) | instid1(VALU_DEP_1)
	v_add_nc_u32_e32 v5, v9, v5
	v_lshrrev_b32_e32 v10, s2, v5
	s_delay_alu instid0(VALU_DEP_1) | instskip(NEXT) | instid1(VALU_DEP_1)
	v_mul_lo_u32 v5, v10, s0
	v_sub_nc_u32_e32 v8, v9, v5
	s_delay_alu instid0(VALU_DEP_1)
	v_mul_lo_u32 v5, v8, s4
	v_mul_lo_u32 v7, v8, s6
	v_mul_lo_u32 v8, v8, s5
	s_cbranch_scc1 .LBB34_78
; %bb.76:
	s_clause 0x1
	s_load_b96 s[0:2], s[12:13], 0x10
	s_load_b96 s[4:6], s[12:13], 0xd0
	s_wait_kmcnt 0x0
	v_mul_hi_u32 v9, s1, v10
	s_delay_alu instid0(VALU_DEP_1) | instskip(NEXT) | instid1(VALU_DEP_1)
	v_add_nc_u32_e32 v9, v10, v9
	v_lshrrev_b32_e32 v9, s2, v9
	s_delay_alu instid0(VALU_DEP_1) | instskip(NEXT) | instid1(VALU_DEP_1)
	v_mul_lo_u32 v9, v9, s0
	v_sub_nc_u32_e32 v9, v10, v9
	s_delay_alu instid0(VALU_DEP_1)
	v_mad_u32 v5, v9, s4, v5
	v_mad_u32 v8, v9, s5, v8
	;; [unrolled: 1-line block ×3, first 2 shown]
	s_branch .LBB34_78
.LBB34_77:
	v_dual_mov_b32 v7, 0 :: v_dual_mov_b32 v8, 0
	v_mov_b32_e32 v5, 0
	s_and_not1_b32 vcc_lo, exec_lo, s2
	s_cbranch_vccz .LBB34_75
.LBB34_78:
	v_cmp_ne_u32_e32 vcc_lo, 1, v6
	v_add_nc_u32_e32 v11, 0x100, v0
	s_cbranch_vccnz .LBB34_84
; %bb.79:
	s_cmp_lg_u32 s26, 0
	s_mov_b32 s2, 0
	s_cbranch_scc0 .LBB34_88
; %bb.80:
	s_min_u32 s3, s27, 15
	v_dual_mov_b32 v0, 0 :: v_dual_mov_b32 v12, v11
	v_dual_mov_b32 v10, 0 :: v_dual_mov_b32 v9, 0
	s_add_co_i32 s4, s3, 1
	s_mov_b64 s[0:1], 0xffffffffffffffe8
	s_and_b32 s4, s4, 30
	s_add_nc_u64 s[0:1], s[12:13], s[0:1]
.LBB34_81:                              ; =>This Inner Loop Header: Depth=1
	s_clause 0x1
	s_load_b128 s[8:11], s[0:1], 0x1c
	s_load_b64 s[6:7], s[0:1], 0x2c
	s_add_co_i32 s4, s4, -2
	s_delay_alu instid0(SALU_CYCLE_1) | instskip(SKIP_2) | instid1(VALU_DEP_1)
	s_cmp_lg_u32 s4, 0
	s_wait_kmcnt 0x0
	v_mul_hi_u32 v13, s9, v12
	v_add_nc_u32_e32 v13, v12, v13
	s_delay_alu instid0(VALU_DEP_1) | instskip(NEXT) | instid1(VALU_DEP_1)
	v_lshrrev_b32_e32 v13, s10, v13
	v_mul_hi_u32 v14, s6, v13
	v_mul_lo_u32 v15, v13, s8
	s_clause 0x1
	s_load_b128 s[16:19], s[0:1], 0xdc
	s_load_b64 s[8:9], s[0:1], 0xec
	s_wait_xcnt 0x0
	s_add_nc_u64 s[0:1], s[0:1], 24
	s_delay_alu instid0(VALU_DEP_1) | instskip(NEXT) | instid1(VALU_DEP_1)
	v_dual_add_nc_u32 v14, v13, v14 :: v_dual_sub_nc_u32 v15, v12, v15
	v_lshrrev_b32_e32 v12, s7, v14
	s_wait_kmcnt 0x0
	s_delay_alu instid0(VALU_DEP_2) | instskip(NEXT) | instid1(VALU_DEP_2)
	v_mad_u32 v0, v15, s16, v0
	v_mul_lo_u32 v14, v12, s11
	v_mad_u32 v9, v15, s18, v9
	v_mad_u32 v10, v15, s17, v10
	s_delay_alu instid0(VALU_DEP_3) | instskip(NEXT) | instid1(VALU_DEP_1)
	v_sub_nc_u32_e32 v13, v13, v14
	v_mad_u32 v0, v13, s19, v0
	s_delay_alu instid0(VALU_DEP_4) | instskip(NEXT) | instid1(VALU_DEP_4)
	v_mad_u32 v9, v13, s9, v9
	v_mad_u32 v10, v13, s8, v10
	s_cbranch_scc1 .LBB34_81
; %bb.82:
	s_bitcmp1_b32 s3, 0
	s_cselect_b32 s3, -1, 0
	s_delay_alu instid0(SALU_CYCLE_1)
	s_and_b32 vcc_lo, exec_lo, s3
	s_cbranch_vccnz .LBB34_85
; %bb.83:
	s_clause 0x1
	s_load_b96 s[4:6], s[0:1], 0x1c
	s_load_b96 s[8:10], s[0:1], 0xdc
	s_wait_kmcnt 0x0
	v_mul_hi_u32 v13, s5, v12
	s_delay_alu instid0(VALU_DEP_1) | instskip(NEXT) | instid1(VALU_DEP_1)
	v_add_nc_u32_e32 v13, v12, v13
	v_lshrrev_b32_e32 v13, s6, v13
	s_delay_alu instid0(VALU_DEP_1) | instskip(NEXT) | instid1(VALU_DEP_1)
	v_mul_lo_u32 v13, v13, s4
	v_sub_nc_u32_e32 v12, v12, v13
	s_delay_alu instid0(VALU_DEP_1)
	v_mad_u32 v0, v12, s8, v0
	v_mad_u32 v10, v12, s9, v10
	;; [unrolled: 1-line block ×3, first 2 shown]
	s_and_not1_b32 vcc_lo, exec_lo, s2
	s_cbranch_vccz .LBB34_86
	s_branch .LBB34_89
.LBB34_84:
	s_mov_b32 s2, -1
                                        ; implicit-def: $vgpr9
                                        ; implicit-def: $vgpr10
                                        ; implicit-def: $vgpr0
.LBB34_85:
	s_delay_alu instid0(SALU_CYCLE_1)
	s_and_not1_b32 vcc_lo, exec_lo, s2
	s_cbranch_vccnz .LBB34_89
.LBB34_86:
	s_clause 0x1
	s_load_b96 s[0:2], s[12:13], 0x4
	s_load_b96 s[4:6], s[12:13], 0xc4
	s_cmp_lt_u32 s26, 2
	s_wait_kmcnt 0x0
	v_mul_hi_u32 v0, s1, v11
	s_delay_alu instid0(VALU_DEP_1) | instskip(NEXT) | instid1(VALU_DEP_1)
	v_add_nc_u32_e32 v0, v11, v0
	v_lshrrev_b32_e32 v12, s2, v0
	s_delay_alu instid0(VALU_DEP_1) | instskip(NEXT) | instid1(VALU_DEP_1)
	v_mul_lo_u32 v0, v12, s0
	v_sub_nc_u32_e32 v10, v11, v0
	s_delay_alu instid0(VALU_DEP_1)
	v_mul_lo_u32 v0, v10, s4
	v_mul_lo_u32 v9, v10, s6
	;; [unrolled: 1-line block ×3, first 2 shown]
	s_cbranch_scc1 .LBB34_89
; %bb.87:
	s_clause 0x1
	s_load_b96 s[0:2], s[12:13], 0x10
	s_load_b96 s[4:6], s[12:13], 0xd0
	s_wait_kmcnt 0x0
	v_mul_hi_u32 v11, s1, v12
	s_delay_alu instid0(VALU_DEP_1) | instskip(NEXT) | instid1(VALU_DEP_1)
	v_add_nc_u32_e32 v11, v12, v11
	v_lshrrev_b32_e32 v11, s2, v11
	s_delay_alu instid0(VALU_DEP_1) | instskip(NEXT) | instid1(VALU_DEP_1)
	v_mul_lo_u32 v11, v11, s0
	v_sub_nc_u32_e32 v11, v12, v11
	s_delay_alu instid0(VALU_DEP_1)
	v_mad_u32 v0, v11, s4, v0
	v_mad_u32 v10, v11, s5, v10
	;; [unrolled: 1-line block ×3, first 2 shown]
	s_branch .LBB34_89
.LBB34_88:
	v_dual_mov_b32 v9, 0 :: v_dual_mov_b32 v10, 0
	v_mov_b32_e32 v0, 0
	s_and_not1_b32 vcc_lo, exec_lo, s2
	s_cbranch_vccz .LBB34_86
.LBB34_89:
	v_cmp_ne_u32_e32 vcc_lo, 1, v6
	s_cbranch_vccnz .LBB34_95
; %bb.90:
	s_cmp_lg_u32 s26, 0
	s_mov_b32 s2, 0
	s_cbranch_scc0 .LBB34_99
; %bb.91:
	s_min_u32 s3, s27, 15
	v_dual_mov_b32 v6, 0 :: v_dual_mov_b32 v13, v4
	v_dual_mov_b32 v11, 0 :: v_dual_mov_b32 v12, 0
	s_add_co_i32 s4, s3, 1
	s_mov_b64 s[0:1], 0xffffffffffffffe8
	s_and_b32 s4, s4, 30
	s_add_nc_u64 s[0:1], s[12:13], s[0:1]
.LBB34_92:                              ; =>This Inner Loop Header: Depth=1
	s_clause 0x1
	s_load_b128 s[8:11], s[0:1], 0x1c
	s_load_b64 s[6:7], s[0:1], 0x2c
	s_add_co_i32 s4, s4, -2
	s_delay_alu instid0(SALU_CYCLE_1) | instskip(SKIP_2) | instid1(VALU_DEP_1)
	s_cmp_lg_u32 s4, 0
	s_wait_kmcnt 0x0
	v_mul_hi_u32 v14, s9, v13
	v_add_nc_u32_e32 v14, v13, v14
	s_delay_alu instid0(VALU_DEP_1) | instskip(NEXT) | instid1(VALU_DEP_1)
	v_lshrrev_b32_e32 v14, s10, v14
	v_mul_hi_u32 v15, s6, v14
	v_mul_lo_u32 v16, v14, s8
	s_clause 0x1
	s_load_b128 s[16:19], s[0:1], 0xdc
	s_load_b64 s[8:9], s[0:1], 0xec
	s_wait_xcnt 0x0
	s_add_nc_u64 s[0:1], s[0:1], 24
	s_delay_alu instid0(VALU_DEP_1) | instskip(NEXT) | instid1(VALU_DEP_1)
	v_dual_add_nc_u32 v15, v14, v15 :: v_dual_sub_nc_u32 v16, v13, v16
	v_lshrrev_b32_e32 v13, s7, v15
	s_wait_kmcnt 0x0
	s_delay_alu instid0(VALU_DEP_2) | instskip(NEXT) | instid1(VALU_DEP_2)
	v_mad_u32 v6, v16, s16, v6
	v_mul_lo_u32 v15, v13, s11
	v_mad_u32 v12, v16, s18, v12
	v_mad_u32 v11, v16, s17, v11
	s_delay_alu instid0(VALU_DEP_3) | instskip(NEXT) | instid1(VALU_DEP_1)
	v_sub_nc_u32_e32 v14, v14, v15
	v_mad_u32 v6, v14, s19, v6
	s_delay_alu instid0(VALU_DEP_4) | instskip(NEXT) | instid1(VALU_DEP_4)
	v_mad_u32 v12, v14, s9, v12
	v_mad_u32 v11, v14, s8, v11
	s_cbranch_scc1 .LBB34_92
; %bb.93:
	s_bitcmp1_b32 s3, 0
	s_cselect_b32 s3, -1, 0
	s_delay_alu instid0(SALU_CYCLE_1)
	s_and_b32 vcc_lo, exec_lo, s3
	s_cbranch_vccnz .LBB34_96
; %bb.94:
	s_clause 0x1
	s_load_b96 s[4:6], s[0:1], 0x1c
	s_load_b96 s[8:10], s[0:1], 0xdc
	s_wait_kmcnt 0x0
	v_mul_hi_u32 v14, s5, v13
	s_delay_alu instid0(VALU_DEP_1) | instskip(NEXT) | instid1(VALU_DEP_1)
	v_add_nc_u32_e32 v14, v13, v14
	v_lshrrev_b32_e32 v14, s6, v14
	s_delay_alu instid0(VALU_DEP_1) | instskip(NEXT) | instid1(VALU_DEP_1)
	v_mul_lo_u32 v14, v14, s4
	v_sub_nc_u32_e32 v13, v13, v14
	s_delay_alu instid0(VALU_DEP_1)
	v_mad_u32 v6, v13, s8, v6
	v_mad_u32 v11, v13, s9, v11
	v_mad_u32 v12, v13, s10, v12
	s_and_not1_b32 vcc_lo, exec_lo, s2
	s_cbranch_vccz .LBB34_97
	s_branch .LBB34_100
.LBB34_95:
	s_mov_b32 s2, -1
                                        ; implicit-def: $vgpr12
                                        ; implicit-def: $vgpr11
                                        ; implicit-def: $vgpr6
.LBB34_96:
	s_delay_alu instid0(SALU_CYCLE_1)
	s_and_not1_b32 vcc_lo, exec_lo, s2
	s_cbranch_vccnz .LBB34_100
.LBB34_97:
	s_clause 0x1
	s_load_b96 s[0:2], s[12:13], 0x4
	s_load_b96 s[4:6], s[12:13], 0xc4
	s_cmp_lt_u32 s26, 2
	s_wait_kmcnt 0x0
	v_mul_hi_u32 v6, s1, v4
	s_delay_alu instid0(VALU_DEP_1) | instskip(NEXT) | instid1(VALU_DEP_1)
	v_add_nc_u32_e32 v6, v4, v6
	v_lshrrev_b32_e32 v13, s2, v6
	s_delay_alu instid0(VALU_DEP_1) | instskip(NEXT) | instid1(VALU_DEP_1)
	v_mul_lo_u32 v6, v13, s0
	v_sub_nc_u32_e32 v4, v4, v6
	s_delay_alu instid0(VALU_DEP_1)
	v_mul_lo_u32 v6, v4, s4
	v_mul_lo_u32 v12, v4, s6
	;; [unrolled: 1-line block ×3, first 2 shown]
	s_cbranch_scc1 .LBB34_100
; %bb.98:
	s_clause 0x1
	s_load_b96 s[0:2], s[12:13], 0x10
	s_load_b96 s[4:6], s[12:13], 0xd0
	s_wait_kmcnt 0x0
	v_mul_hi_u32 v4, s1, v13
	s_delay_alu instid0(VALU_DEP_1) | instskip(NEXT) | instid1(VALU_DEP_1)
	v_add_nc_u32_e32 v4, v13, v4
	v_lshrrev_b32_e32 v4, s2, v4
	s_delay_alu instid0(VALU_DEP_1) | instskip(NEXT) | instid1(VALU_DEP_1)
	v_mul_lo_u32 v4, v4, s0
	v_sub_nc_u32_e32 v4, v13, v4
	s_delay_alu instid0(VALU_DEP_1)
	v_mad_u32 v6, v4, s4, v6
	v_mad_u32 v11, v4, s5, v11
	;; [unrolled: 1-line block ×3, first 2 shown]
	s_branch .LBB34_100
.LBB34_99:
	v_dual_mov_b32 v12, 0 :: v_dual_mov_b32 v11, 0
	v_mov_b32_e32 v6, 0
	s_and_not1_b32 vcc_lo, exec_lo, s2
	s_cbranch_vccz .LBB34_97
.LBB34_100:
	s_clause 0x1
	s_load_b64 s[4:5], s[12:13], 0x198
	s_load_b128 s[0:3], s[12:13], 0x188
	s_wait_kmcnt 0x0
	s_clause 0x3
	global_load_u16 v4, v3, s[4:5]
	global_load_u16 v13, v7, s[4:5]
	;; [unrolled: 1-line block ×4, first 2 shown]
	s_clause 0x3
	global_load_b32 v16, v2, s[2:3]
	global_load_b32 v17, v8, s[2:3]
	;; [unrolled: 1-line block ×4, first 2 shown]
	s_wait_loadcnt 0x6
	s_wait_xcnt 0x3
	v_dual_lshlrev_b32 v2, 16, v4 :: v_dual_lshlrev_b32 v3, 16, v13
	s_wait_loadcnt 0x4
	v_dual_lshlrev_b32 v4, 16, v14 :: v_dual_lshlrev_b32 v7, 16, v15
	s_wait_loadcnt 0x3
	v_cmp_lt_f32_e32 vcc_lo, 0, v16
	s_wait_loadcnt 0x2
	v_dual_mul_f32 v2, v16, v2 :: v_dual_mul_f32 v3, v17, v3
	s_wait_loadcnt 0x0
	v_dual_mul_f32 v4, v18, v4 :: v_dual_mul_f32 v7, v19, v7
	s_delay_alu instid0(VALU_DEP_2)
	v_cndmask_b32_e32 v2, v2, v16, vcc_lo
	v_cmp_lt_f32_e32 vcc_lo, 0, v17
	v_cndmask_b32_e32 v3, v3, v17, vcc_lo
	v_cmp_lt_f32_e32 vcc_lo, 0, v18
	;; [unrolled: 2-line block ×3, first 2 shown]
	v_cndmask_b32_e32 v7, v7, v19, vcc_lo
	s_clause 0x3
	global_store_b32 v1, v2, s[0:1]
	global_store_b32 v5, v3, s[0:1]
	global_store_b32 v0, v4, s[0:1]
	global_store_b32 v6, v7, s[0:1]
	s_endpgm
	.section	.rodata,"a",@progbits
	.p2align	6, 0x0
	.amdhsa_kernel _ZN2at6native32elementwise_kernel_manual_unrollILi128ELi4EZNS0_12_GLOBAL__N_142type_specialized_broadcast_kernel_launcherILi0EE5applyIZZZNS0_12prelu_kernelERNS_14TensorIteratorEENKUlvE_clEvENKUlvE0_clEvEUlffE_St5arrayIPcLm3EESB_IN3c1010ScalarTypeELm3EE16OffsetCalculatorILi3EjLb0EEEEvlT_T0_T1_T2_EUlibE_EEviSL_
		.amdhsa_group_segment_fixed_size 0
		.amdhsa_private_segment_fixed_size 0
		.amdhsa_kernarg_size 432
		.amdhsa_user_sgpr_count 2
		.amdhsa_user_sgpr_dispatch_ptr 0
		.amdhsa_user_sgpr_queue_ptr 0
		.amdhsa_user_sgpr_kernarg_segment_ptr 1
		.amdhsa_user_sgpr_dispatch_id 0
		.amdhsa_user_sgpr_kernarg_preload_length 0
		.amdhsa_user_sgpr_kernarg_preload_offset 0
		.amdhsa_user_sgpr_private_segment_size 0
		.amdhsa_wavefront_size32 1
		.amdhsa_uses_dynamic_stack 0
		.amdhsa_enable_private_segment 0
		.amdhsa_system_sgpr_workgroup_id_x 1
		.amdhsa_system_sgpr_workgroup_id_y 0
		.amdhsa_system_sgpr_workgroup_id_z 0
		.amdhsa_system_sgpr_workgroup_info 0
		.amdhsa_system_vgpr_workitem_id 0
		.amdhsa_next_free_vgpr 20
		.amdhsa_next_free_sgpr 46
		.amdhsa_named_barrier_count 0
		.amdhsa_reserve_vcc 1
		.amdhsa_float_round_mode_32 0
		.amdhsa_float_round_mode_16_64 0
		.amdhsa_float_denorm_mode_32 3
		.amdhsa_float_denorm_mode_16_64 3
		.amdhsa_fp16_overflow 0
		.amdhsa_memory_ordered 1
		.amdhsa_forward_progress 1
		.amdhsa_inst_pref_size 43
		.amdhsa_round_robin_scheduling 0
		.amdhsa_exception_fp_ieee_invalid_op 0
		.amdhsa_exception_fp_denorm_src 0
		.amdhsa_exception_fp_ieee_div_zero 0
		.amdhsa_exception_fp_ieee_overflow 0
		.amdhsa_exception_fp_ieee_underflow 0
		.amdhsa_exception_fp_ieee_inexact 0
		.amdhsa_exception_int_div_zero 0
	.end_amdhsa_kernel
	.section	.text._ZN2at6native32elementwise_kernel_manual_unrollILi128ELi4EZNS0_12_GLOBAL__N_142type_specialized_broadcast_kernel_launcherILi0EE5applyIZZZNS0_12prelu_kernelERNS_14TensorIteratorEENKUlvE_clEvENKUlvE0_clEvEUlffE_St5arrayIPcLm3EESB_IN3c1010ScalarTypeELm3EE16OffsetCalculatorILi3EjLb0EEEEvlT_T0_T1_T2_EUlibE_EEviSL_,"axG",@progbits,_ZN2at6native32elementwise_kernel_manual_unrollILi128ELi4EZNS0_12_GLOBAL__N_142type_specialized_broadcast_kernel_launcherILi0EE5applyIZZZNS0_12prelu_kernelERNS_14TensorIteratorEENKUlvE_clEvENKUlvE0_clEvEUlffE_St5arrayIPcLm3EESB_IN3c1010ScalarTypeELm3EE16OffsetCalculatorILi3EjLb0EEEEvlT_T0_T1_T2_EUlibE_EEviSL_,comdat
.Lfunc_end34:
	.size	_ZN2at6native32elementwise_kernel_manual_unrollILi128ELi4EZNS0_12_GLOBAL__N_142type_specialized_broadcast_kernel_launcherILi0EE5applyIZZZNS0_12prelu_kernelERNS_14TensorIteratorEENKUlvE_clEvENKUlvE0_clEvEUlffE_St5arrayIPcLm3EESB_IN3c1010ScalarTypeELm3EE16OffsetCalculatorILi3EjLb0EEEEvlT_T0_T1_T2_EUlibE_EEviSL_, .Lfunc_end34-_ZN2at6native32elementwise_kernel_manual_unrollILi128ELi4EZNS0_12_GLOBAL__N_142type_specialized_broadcast_kernel_launcherILi0EE5applyIZZZNS0_12prelu_kernelERNS_14TensorIteratorEENKUlvE_clEvENKUlvE0_clEvEUlffE_St5arrayIPcLm3EESB_IN3c1010ScalarTypeELm3EE16OffsetCalculatorILi3EjLb0EEEEvlT_T0_T1_T2_EUlibE_EEviSL_
                                        ; -- End function
	.set _ZN2at6native32elementwise_kernel_manual_unrollILi128ELi4EZNS0_12_GLOBAL__N_142type_specialized_broadcast_kernel_launcherILi0EE5applyIZZZNS0_12prelu_kernelERNS_14TensorIteratorEENKUlvE_clEvENKUlvE0_clEvEUlffE_St5arrayIPcLm3EESB_IN3c1010ScalarTypeELm3EE16OffsetCalculatorILi3EjLb0EEEEvlT_T0_T1_T2_EUlibE_EEviSL_.num_vgpr, 20
	.set _ZN2at6native32elementwise_kernel_manual_unrollILi128ELi4EZNS0_12_GLOBAL__N_142type_specialized_broadcast_kernel_launcherILi0EE5applyIZZZNS0_12prelu_kernelERNS_14TensorIteratorEENKUlvE_clEvENKUlvE0_clEvEUlffE_St5arrayIPcLm3EESB_IN3c1010ScalarTypeELm3EE16OffsetCalculatorILi3EjLb0EEEEvlT_T0_T1_T2_EUlibE_EEviSL_.num_agpr, 0
	.set _ZN2at6native32elementwise_kernel_manual_unrollILi128ELi4EZNS0_12_GLOBAL__N_142type_specialized_broadcast_kernel_launcherILi0EE5applyIZZZNS0_12prelu_kernelERNS_14TensorIteratorEENKUlvE_clEvENKUlvE0_clEvEUlffE_St5arrayIPcLm3EESB_IN3c1010ScalarTypeELm3EE16OffsetCalculatorILi3EjLb0EEEEvlT_T0_T1_T2_EUlibE_EEviSL_.numbered_sgpr, 46
	.set _ZN2at6native32elementwise_kernel_manual_unrollILi128ELi4EZNS0_12_GLOBAL__N_142type_specialized_broadcast_kernel_launcherILi0EE5applyIZZZNS0_12prelu_kernelERNS_14TensorIteratorEENKUlvE_clEvENKUlvE0_clEvEUlffE_St5arrayIPcLm3EESB_IN3c1010ScalarTypeELm3EE16OffsetCalculatorILi3EjLb0EEEEvlT_T0_T1_T2_EUlibE_EEviSL_.num_named_barrier, 0
	.set _ZN2at6native32elementwise_kernel_manual_unrollILi128ELi4EZNS0_12_GLOBAL__N_142type_specialized_broadcast_kernel_launcherILi0EE5applyIZZZNS0_12prelu_kernelERNS_14TensorIteratorEENKUlvE_clEvENKUlvE0_clEvEUlffE_St5arrayIPcLm3EESB_IN3c1010ScalarTypeELm3EE16OffsetCalculatorILi3EjLb0EEEEvlT_T0_T1_T2_EUlibE_EEviSL_.private_seg_size, 0
	.set _ZN2at6native32elementwise_kernel_manual_unrollILi128ELi4EZNS0_12_GLOBAL__N_142type_specialized_broadcast_kernel_launcherILi0EE5applyIZZZNS0_12prelu_kernelERNS_14TensorIteratorEENKUlvE_clEvENKUlvE0_clEvEUlffE_St5arrayIPcLm3EESB_IN3c1010ScalarTypeELm3EE16OffsetCalculatorILi3EjLb0EEEEvlT_T0_T1_T2_EUlibE_EEviSL_.uses_vcc, 1
	.set _ZN2at6native32elementwise_kernel_manual_unrollILi128ELi4EZNS0_12_GLOBAL__N_142type_specialized_broadcast_kernel_launcherILi0EE5applyIZZZNS0_12prelu_kernelERNS_14TensorIteratorEENKUlvE_clEvENKUlvE0_clEvEUlffE_St5arrayIPcLm3EESB_IN3c1010ScalarTypeELm3EE16OffsetCalculatorILi3EjLb0EEEEvlT_T0_T1_T2_EUlibE_EEviSL_.uses_flat_scratch, 0
	.set _ZN2at6native32elementwise_kernel_manual_unrollILi128ELi4EZNS0_12_GLOBAL__N_142type_specialized_broadcast_kernel_launcherILi0EE5applyIZZZNS0_12prelu_kernelERNS_14TensorIteratorEENKUlvE_clEvENKUlvE0_clEvEUlffE_St5arrayIPcLm3EESB_IN3c1010ScalarTypeELm3EE16OffsetCalculatorILi3EjLb0EEEEvlT_T0_T1_T2_EUlibE_EEviSL_.has_dyn_sized_stack, 0
	.set _ZN2at6native32elementwise_kernel_manual_unrollILi128ELi4EZNS0_12_GLOBAL__N_142type_specialized_broadcast_kernel_launcherILi0EE5applyIZZZNS0_12prelu_kernelERNS_14TensorIteratorEENKUlvE_clEvENKUlvE0_clEvEUlffE_St5arrayIPcLm3EESB_IN3c1010ScalarTypeELm3EE16OffsetCalculatorILi3EjLb0EEEEvlT_T0_T1_T2_EUlibE_EEviSL_.has_recursion, 0
	.set _ZN2at6native32elementwise_kernel_manual_unrollILi128ELi4EZNS0_12_GLOBAL__N_142type_specialized_broadcast_kernel_launcherILi0EE5applyIZZZNS0_12prelu_kernelERNS_14TensorIteratorEENKUlvE_clEvENKUlvE0_clEvEUlffE_St5arrayIPcLm3EESB_IN3c1010ScalarTypeELm3EE16OffsetCalculatorILi3EjLb0EEEEvlT_T0_T1_T2_EUlibE_EEviSL_.has_indirect_call, 0
	.section	.AMDGPU.csdata,"",@progbits
; Kernel info:
; codeLenInByte = 5504
; TotalNumSgprs: 48
; NumVgprs: 20
; ScratchSize: 0
; MemoryBound: 0
; FloatMode: 240
; IeeeMode: 1
; LDSByteSize: 0 bytes/workgroup (compile time only)
; SGPRBlocks: 0
; VGPRBlocks: 1
; NumSGPRsForWavesPerEU: 48
; NumVGPRsForWavesPerEU: 20
; NamedBarCnt: 0
; Occupancy: 16
; WaveLimiterHint : 1
; COMPUTE_PGM_RSRC2:SCRATCH_EN: 0
; COMPUTE_PGM_RSRC2:USER_SGPR: 2
; COMPUTE_PGM_RSRC2:TRAP_HANDLER: 0
; COMPUTE_PGM_RSRC2:TGID_X_EN: 1
; COMPUTE_PGM_RSRC2:TGID_Y_EN: 0
; COMPUTE_PGM_RSRC2:TGID_Z_EN: 0
; COMPUTE_PGM_RSRC2:TIDIG_COMP_CNT: 0
	.section	.text._ZN2at6native32elementwise_kernel_manual_unrollILi128ELi4EZNS0_12_GLOBAL__N_142type_specialized_broadcast_kernel_launcherILi1EE5applyIZZZNS0_12prelu_kernelERNS_14TensorIteratorEENKUlvE_clEvENKUlvE0_clEvEUlffE_St5arrayIPcLm3EESB_IN3c1010ScalarTypeELm3EE16OffsetCalculatorILi3EjLb0EEEEvlT_T0_T1_T2_EUlibE_EEviSL_,"axG",@progbits,_ZN2at6native32elementwise_kernel_manual_unrollILi128ELi4EZNS0_12_GLOBAL__N_142type_specialized_broadcast_kernel_launcherILi1EE5applyIZZZNS0_12prelu_kernelERNS_14TensorIteratorEENKUlvE_clEvENKUlvE0_clEvEUlffE_St5arrayIPcLm3EESB_IN3c1010ScalarTypeELm3EE16OffsetCalculatorILi3EjLb0EEEEvlT_T0_T1_T2_EUlibE_EEviSL_,comdat
	.globl	_ZN2at6native32elementwise_kernel_manual_unrollILi128ELi4EZNS0_12_GLOBAL__N_142type_specialized_broadcast_kernel_launcherILi1EE5applyIZZZNS0_12prelu_kernelERNS_14TensorIteratorEENKUlvE_clEvENKUlvE0_clEvEUlffE_St5arrayIPcLm3EESB_IN3c1010ScalarTypeELm3EE16OffsetCalculatorILi3EjLb0EEEEvlT_T0_T1_T2_EUlibE_EEviSL_ ; -- Begin function _ZN2at6native32elementwise_kernel_manual_unrollILi128ELi4EZNS0_12_GLOBAL__N_142type_specialized_broadcast_kernel_launcherILi1EE5applyIZZZNS0_12prelu_kernelERNS_14TensorIteratorEENKUlvE_clEvENKUlvE0_clEvEUlffE_St5arrayIPcLm3EESB_IN3c1010ScalarTypeELm3EE16OffsetCalculatorILi3EjLb0EEEEvlT_T0_T1_T2_EUlibE_EEviSL_
	.p2align	8
	.type	_ZN2at6native32elementwise_kernel_manual_unrollILi128ELi4EZNS0_12_GLOBAL__N_142type_specialized_broadcast_kernel_launcherILi1EE5applyIZZZNS0_12prelu_kernelERNS_14TensorIteratorEENKUlvE_clEvENKUlvE0_clEvEUlffE_St5arrayIPcLm3EESB_IN3c1010ScalarTypeELm3EE16OffsetCalculatorILi3EjLb0EEEEvlT_T0_T1_T2_EUlibE_EEviSL_,@function
_ZN2at6native32elementwise_kernel_manual_unrollILi128ELi4EZNS0_12_GLOBAL__N_142type_specialized_broadcast_kernel_launcherILi1EE5applyIZZZNS0_12prelu_kernelERNS_14TensorIteratorEENKUlvE_clEvENKUlvE0_clEvEUlffE_St5arrayIPcLm3EESB_IN3c1010ScalarTypeELm3EE16OffsetCalculatorILi3EjLb0EEEEvlT_T0_T1_T2_EUlibE_EEviSL_: ; @_ZN2at6native32elementwise_kernel_manual_unrollILi128ELi4EZNS0_12_GLOBAL__N_142type_specialized_broadcast_kernel_launcherILi1EE5applyIZZZNS0_12prelu_kernelERNS_14TensorIteratorEENKUlvE_clEvENKUlvE0_clEvEUlffE_St5arrayIPcLm3EESB_IN3c1010ScalarTypeELm3EE16OffsetCalculatorILi3EjLb0EEEEvlT_T0_T1_T2_EUlibE_EEviSL_
; %bb.0:
	s_clause 0x1
	s_load_b32 s26, s[0:1], 0x8
	s_load_b32 s33, s[0:1], 0x0
	s_bfe_u32 s2, ttmp6, 0x4000c
	s_and_b32 s3, ttmp6, 15
	s_add_co_i32 s2, s2, 1
	s_getreg_b32 s4, hwreg(HW_REG_IB_STS2, 6, 4)
	s_mul_i32 s2, ttmp9, s2
	s_add_nc_u64 s[12:13], s[0:1], 8
	s_add_co_i32 s3, s3, s2
	s_cmp_eq_u32 s4, 0
	s_mov_b32 s21, 0
	s_cselect_b32 s2, ttmp9, s3
	s_wait_xcnt 0x0
	s_mov_b32 s0, exec_lo
	v_lshl_or_b32 v0, s2, 9, v0
	s_delay_alu instid0(VALU_DEP_1) | instskip(SKIP_2) | instid1(SALU_CYCLE_1)
	v_or_b32_e32 v4, 0x180, v0
	s_wait_kmcnt 0x0
	s_add_co_i32 s27, s26, -1
	s_cmp_gt_u32 s27, 1
	s_cselect_b32 s28, -1, 0
	v_cmpx_le_i32_e64 s33, v4
	s_xor_b32 s29, exec_lo, s0
	s_cbranch_execz .LBB35_54
; %bb.1:
	s_clause 0x5
	s_load_b128 s[4:7], s[12:13], 0x4
	s_load_b64 s[16:17], s[12:13], 0x14
	s_load_b128 s[8:11], s[12:13], 0xc4
	s_load_b64 s[18:19], s[12:13], 0xd4
	s_load_b64 s[14:15], s[12:13], 0x198
	s_load_b128 s[0:3], s[12:13], 0x188
	s_cmp_lg_u32 s26, 0
	s_mov_b32 s23, s21
	s_cselect_b32 s34, -1, 0
	s_min_u32 s31, s27, 15
	s_cmp_gt_u32 s26, 1
	s_cselect_b32 s30, -1, 0
	s_wait_kmcnt 0x0
	s_mov_b32 s20, s5
	s_mov_b32 s22, s16
	s_mov_b32 s5, exec_lo
	v_cmpx_gt_i32_e64 s33, v0
	s_cbranch_execnz .LBB35_5
; %bb.2:
	s_or_b32 exec_lo, exec_lo, s5
	s_delay_alu instid0(SALU_CYCLE_1)
	s_mov_b32 s5, exec_lo
	v_cmpx_gt_i32_e64 s33, v0
	s_cbranch_execnz .LBB35_17
.LBB35_3:
	s_or_b32 exec_lo, exec_lo, s5
	s_delay_alu instid0(SALU_CYCLE_1)
	s_mov_b32 s5, exec_lo
	v_cmpx_gt_i32_e64 s33, v0
	s_cbranch_execnz .LBB35_29
.LBB35_4:
	s_or_b32 exec_lo, exec_lo, s5
	s_delay_alu instid0(SALU_CYCLE_1)
	s_mov_b32 s5, exec_lo
	v_cmpx_gt_i32_e64 s33, v0
	s_cbranch_execnz .LBB35_41
	s_branch .LBB35_53
.LBB35_5:
	s_and_not1_b32 vcc_lo, exec_lo, s28
	s_cbranch_vccnz .LBB35_11
; %bb.6:
	s_and_not1_b32 vcc_lo, exec_lo, s34
	s_cbranch_vccnz .LBB35_12
; %bb.7:
	v_dual_mov_b32 v4, 0 :: v_dual_mov_b32 v1, v0
	v_dual_mov_b32 v6, 0 :: v_dual_mov_b32 v5, 0
	s_add_co_i32 s16, s31, 1
	s_mov_b64 s[24:25], 0xffffffffffffffe8
	s_and_b32 s16, s16, 30
	s_add_nc_u64 s[24:25], s[12:13], s[24:25]
.LBB35_8:                               ; =>This Inner Loop Header: Depth=1
	s_clause 0x1
	s_load_b128 s[36:39], s[24:25], 0x1c
	s_load_b64 s[44:45], s[24:25], 0x2c
	s_add_co_i32 s16, s16, -2
	s_delay_alu instid0(SALU_CYCLE_1) | instskip(SKIP_2) | instid1(VALU_DEP_1)
	s_cmp_lg_u32 s16, 0
	s_wait_kmcnt 0x0
	v_mul_hi_u32 v2, s37, v1
	v_add_nc_u32_e32 v2, v1, v2
	s_delay_alu instid0(VALU_DEP_1) | instskip(NEXT) | instid1(VALU_DEP_1)
	v_lshrrev_b32_e32 v2, s38, v2
	v_mul_hi_u32 v3, s44, v2
	v_mul_lo_u32 v7, v2, s36
	s_clause 0x1
	s_load_b128 s[40:43], s[24:25], 0xdc
	s_load_b64 s[36:37], s[24:25], 0xec
	s_wait_xcnt 0x0
	s_add_nc_u64 s[24:25], s[24:25], 24
	s_delay_alu instid0(VALU_DEP_2) | instskip(NEXT) | instid1(VALU_DEP_2)
	v_add_nc_u32_e32 v3, v2, v3
	v_sub_nc_u32_e32 v7, v1, v7
	s_delay_alu instid0(VALU_DEP_2) | instskip(SKIP_1) | instid1(VALU_DEP_2)
	v_lshrrev_b32_e32 v1, s45, v3
	s_wait_kmcnt 0x0
	v_mad_u32 v4, v7, s40, v4
	s_delay_alu instid0(VALU_DEP_2) | instskip(SKIP_2) | instid1(VALU_DEP_3)
	v_mul_lo_u32 v3, v1, s39
	v_mad_u32 v5, v7, s42, v5
	v_mad_u32 v6, v7, s41, v6
	v_sub_nc_u32_e32 v2, v2, v3
	s_delay_alu instid0(VALU_DEP_1) | instskip(NEXT) | instid1(VALU_DEP_4)
	v_mad_u32 v4, v2, s43, v4
	v_mad_u32 v5, v2, s37, v5
	s_delay_alu instid0(VALU_DEP_4)
	v_mad_u32 v6, v2, s36, v6
	s_cbranch_scc1 .LBB35_8
; %bb.9:
	s_bitcmp1_b32 s31, 0
	s_cselect_b32 s16, -1, 0
	s_delay_alu instid0(SALU_CYCLE_1)
	s_and_b32 vcc_lo, exec_lo, s16
	s_cbranch_vccnz .LBB35_13
; %bb.10:
	s_clause 0x1
	s_load_b96 s[36:38], s[24:25], 0x1c
	s_load_b96 s[40:42], s[24:25], 0xdc
	s_wait_kmcnt 0x0
	v_mul_hi_u32 v2, s37, v1
	s_delay_alu instid0(VALU_DEP_1) | instskip(NEXT) | instid1(VALU_DEP_1)
	v_add_nc_u32_e32 v2, v1, v2
	v_lshrrev_b32_e32 v2, s38, v2
	s_delay_alu instid0(VALU_DEP_1) | instskip(NEXT) | instid1(VALU_DEP_1)
	v_mul_lo_u32 v2, v2, s36
	v_sub_nc_u32_e32 v1, v1, v2
	s_delay_alu instid0(VALU_DEP_1)
	v_mad_u32 v4, v1, s40, v4
	v_mad_u32 v6, v1, s41, v6
	;; [unrolled: 1-line block ×3, first 2 shown]
	s_cbranch_execz .LBB35_14
	s_branch .LBB35_16
.LBB35_11:
                                        ; implicit-def: $vgpr5
                                        ; implicit-def: $vgpr6
                                        ; implicit-def: $vgpr4
	s_branch .LBB35_14
.LBB35_12:
	v_dual_mov_b32 v5, 0 :: v_dual_mov_b32 v6, 0
	v_mov_b32_e32 v4, 0
.LBB35_13:
	s_cbranch_execnz .LBB35_16
.LBB35_14:
	v_mov_b32_e32 v1, 0
	s_and_not1_b32 vcc_lo, exec_lo, s30
	s_delay_alu instid0(VALU_DEP_1) | instskip(NEXT) | instid1(VALU_DEP_1)
	v_mul_u64_e32 v[2:3], s[20:21], v[0:1]
	v_add_nc_u32_e32 v2, v0, v3
	s_delay_alu instid0(VALU_DEP_1) | instskip(NEXT) | instid1(VALU_DEP_1)
	v_lshrrev_b32_e32 v2, s6, v2
	v_mul_lo_u32 v3, v2, s4
	s_delay_alu instid0(VALU_DEP_1) | instskip(NEXT) | instid1(VALU_DEP_1)
	v_sub_nc_u32_e32 v3, v0, v3
	v_mul_lo_u32 v4, v3, s8
	v_mul_lo_u32 v5, v3, s10
	;; [unrolled: 1-line block ×3, first 2 shown]
	s_cbranch_vccnz .LBB35_16
; %bb.15:
	v_mov_b32_e32 v3, v1
	s_delay_alu instid0(VALU_DEP_1) | instskip(NEXT) | instid1(VALU_DEP_1)
	v_mul_u64_e32 v[8:9], s[22:23], v[2:3]
	v_add_nc_u32_e32 v1, v2, v9
	s_delay_alu instid0(VALU_DEP_1) | instskip(NEXT) | instid1(VALU_DEP_1)
	v_lshrrev_b32_e32 v1, s17, v1
	v_mul_lo_u32 v1, v1, s7
	s_delay_alu instid0(VALU_DEP_1) | instskip(NEXT) | instid1(VALU_DEP_1)
	v_sub_nc_u32_e32 v1, v2, v1
	v_mad_u32 v4, v1, s11, v4
	v_mad_u32 v6, v1, s18, v6
	;; [unrolled: 1-line block ×3, first 2 shown]
.LBB35_16:
	global_load_u16 v1, v6, s[2:3]
	global_load_b32 v2, v5, s[14:15]
	v_add_nc_u32_e32 v0, 0x80, v0
	s_wait_loadcnt 0x1
	v_lshlrev_b32_e32 v1, 16, v1
	s_wait_loadcnt 0x0
	s_delay_alu instid0(VALU_DEP_1) | instskip(SKIP_1) | instid1(VALU_DEP_2)
	v_mul_f32_e32 v2, v2, v1
	v_cmp_lt_f32_e32 vcc_lo, 0, v1
	v_cndmask_b32_e32 v1, v2, v1, vcc_lo
	global_store_b32 v4, v1, s[0:1]
	s_wait_xcnt 0x0
	s_or_b32 exec_lo, exec_lo, s5
	s_delay_alu instid0(SALU_CYCLE_1)
	s_mov_b32 s5, exec_lo
	v_cmpx_gt_i32_e64 s33, v0
	s_cbranch_execz .LBB35_3
.LBB35_17:
	s_and_not1_b32 vcc_lo, exec_lo, s28
	s_cbranch_vccnz .LBB35_23
; %bb.18:
	s_and_not1_b32 vcc_lo, exec_lo, s34
	s_cbranch_vccnz .LBB35_24
; %bb.19:
	v_dual_mov_b32 v4, 0 :: v_dual_mov_b32 v1, v0
	v_dual_mov_b32 v6, 0 :: v_dual_mov_b32 v5, 0
	s_add_co_i32 s16, s31, 1
	s_mov_b64 s[24:25], 0xffffffffffffffe8
	s_and_b32 s16, s16, 30
	s_add_nc_u64 s[24:25], s[12:13], s[24:25]
.LBB35_20:                              ; =>This Inner Loop Header: Depth=1
	s_clause 0x1
	s_load_b128 s[36:39], s[24:25], 0x1c
	s_load_b64 s[44:45], s[24:25], 0x2c
	s_add_co_i32 s16, s16, -2
	s_delay_alu instid0(SALU_CYCLE_1) | instskip(SKIP_2) | instid1(VALU_DEP_1)
	s_cmp_eq_u32 s16, 0
	s_wait_kmcnt 0x0
	v_mul_hi_u32 v2, s37, v1
	v_add_nc_u32_e32 v2, v1, v2
	s_delay_alu instid0(VALU_DEP_1) | instskip(NEXT) | instid1(VALU_DEP_1)
	v_lshrrev_b32_e32 v2, s38, v2
	v_mul_hi_u32 v3, s44, v2
	v_mul_lo_u32 v7, v2, s36
	s_clause 0x1
	s_load_b128 s[40:43], s[24:25], 0xdc
	s_load_b64 s[36:37], s[24:25], 0xec
	s_wait_xcnt 0x0
	s_add_nc_u64 s[24:25], s[24:25], 24
	s_delay_alu instid0(VALU_DEP_2) | instskip(NEXT) | instid1(VALU_DEP_2)
	v_add_nc_u32_e32 v3, v2, v3
	v_sub_nc_u32_e32 v7, v1, v7
	s_delay_alu instid0(VALU_DEP_2) | instskip(SKIP_1) | instid1(VALU_DEP_2)
	v_lshrrev_b32_e32 v1, s45, v3
	s_wait_kmcnt 0x0
	v_mad_u32 v4, v7, s40, v4
	s_delay_alu instid0(VALU_DEP_2) | instskip(SKIP_2) | instid1(VALU_DEP_3)
	v_mul_lo_u32 v3, v1, s39
	v_mad_u32 v5, v7, s42, v5
	v_mad_u32 v6, v7, s41, v6
	v_sub_nc_u32_e32 v2, v2, v3
	s_delay_alu instid0(VALU_DEP_1) | instskip(NEXT) | instid1(VALU_DEP_4)
	v_mad_u32 v4, v2, s43, v4
	v_mad_u32 v5, v2, s37, v5
	s_delay_alu instid0(VALU_DEP_4)
	v_mad_u32 v6, v2, s36, v6
	s_cbranch_scc0 .LBB35_20
; %bb.21:
	s_bitcmp1_b32 s31, 0
	s_cselect_b32 s16, -1, 0
	s_delay_alu instid0(SALU_CYCLE_1)
	s_and_b32 vcc_lo, exec_lo, s16
	s_cbranch_vccnz .LBB35_25
; %bb.22:
	s_clause 0x1
	s_load_b96 s[36:38], s[24:25], 0x1c
	s_load_b96 s[40:42], s[24:25], 0xdc
	s_wait_kmcnt 0x0
	v_mul_hi_u32 v2, s37, v1
	s_delay_alu instid0(VALU_DEP_1) | instskip(NEXT) | instid1(VALU_DEP_1)
	v_add_nc_u32_e32 v2, v1, v2
	v_lshrrev_b32_e32 v2, s38, v2
	s_delay_alu instid0(VALU_DEP_1) | instskip(NEXT) | instid1(VALU_DEP_1)
	v_mul_lo_u32 v2, v2, s36
	v_sub_nc_u32_e32 v1, v1, v2
	s_delay_alu instid0(VALU_DEP_1)
	v_mad_u32 v4, v1, s40, v4
	v_mad_u32 v6, v1, s41, v6
	;; [unrolled: 1-line block ×3, first 2 shown]
	s_branch .LBB35_25
.LBB35_23:
                                        ; implicit-def: $vgpr5
                                        ; implicit-def: $vgpr6
                                        ; implicit-def: $vgpr4
	s_branch .LBB35_26
.LBB35_24:
	v_dual_mov_b32 v5, 0 :: v_dual_mov_b32 v6, 0
	v_mov_b32_e32 v4, 0
.LBB35_25:
	s_cbranch_execnz .LBB35_28
.LBB35_26:
	v_mov_b32_e32 v1, 0
	s_and_not1_b32 vcc_lo, exec_lo, s30
	s_delay_alu instid0(VALU_DEP_1) | instskip(NEXT) | instid1(VALU_DEP_1)
	v_mul_u64_e32 v[2:3], s[20:21], v[0:1]
	v_add_nc_u32_e32 v2, v0, v3
	s_delay_alu instid0(VALU_DEP_1) | instskip(NEXT) | instid1(VALU_DEP_1)
	v_lshrrev_b32_e32 v2, s6, v2
	v_mul_lo_u32 v3, v2, s4
	s_delay_alu instid0(VALU_DEP_1) | instskip(NEXT) | instid1(VALU_DEP_1)
	v_sub_nc_u32_e32 v3, v0, v3
	v_mul_lo_u32 v4, v3, s8
	v_mul_lo_u32 v5, v3, s10
	;; [unrolled: 1-line block ×3, first 2 shown]
	s_cbranch_vccnz .LBB35_28
; %bb.27:
	v_mov_b32_e32 v3, v1
	s_delay_alu instid0(VALU_DEP_1) | instskip(NEXT) | instid1(VALU_DEP_1)
	v_mul_u64_e32 v[8:9], s[22:23], v[2:3]
	v_add_nc_u32_e32 v1, v2, v9
	s_delay_alu instid0(VALU_DEP_1) | instskip(NEXT) | instid1(VALU_DEP_1)
	v_lshrrev_b32_e32 v1, s17, v1
	v_mul_lo_u32 v1, v1, s7
	s_delay_alu instid0(VALU_DEP_1) | instskip(NEXT) | instid1(VALU_DEP_1)
	v_sub_nc_u32_e32 v1, v2, v1
	v_mad_u32 v4, v1, s11, v4
	v_mad_u32 v6, v1, s18, v6
	;; [unrolled: 1-line block ×3, first 2 shown]
.LBB35_28:
	global_load_u16 v1, v6, s[2:3]
	global_load_b32 v2, v5, s[14:15]
	v_add_nc_u32_e32 v0, 0x80, v0
	s_wait_loadcnt 0x1
	v_lshlrev_b32_e32 v1, 16, v1
	s_wait_loadcnt 0x0
	s_delay_alu instid0(VALU_DEP_1) | instskip(SKIP_1) | instid1(VALU_DEP_2)
	v_mul_f32_e32 v2, v2, v1
	v_cmp_lt_f32_e32 vcc_lo, 0, v1
	v_cndmask_b32_e32 v1, v2, v1, vcc_lo
	global_store_b32 v4, v1, s[0:1]
	s_wait_xcnt 0x0
	s_or_b32 exec_lo, exec_lo, s5
	s_delay_alu instid0(SALU_CYCLE_1)
	s_mov_b32 s5, exec_lo
	v_cmpx_gt_i32_e64 s33, v0
	s_cbranch_execz .LBB35_4
.LBB35_29:
	s_and_not1_b32 vcc_lo, exec_lo, s28
	s_cbranch_vccnz .LBB35_35
; %bb.30:
	s_and_not1_b32 vcc_lo, exec_lo, s34
	s_cbranch_vccnz .LBB35_36
; %bb.31:
	v_dual_mov_b32 v4, 0 :: v_dual_mov_b32 v1, v0
	v_dual_mov_b32 v6, 0 :: v_dual_mov_b32 v5, 0
	s_add_co_i32 s16, s31, 1
	s_mov_b64 s[24:25], 0xffffffffffffffe8
	s_and_b32 s16, s16, 30
	s_add_nc_u64 s[24:25], s[12:13], s[24:25]
.LBB35_32:                              ; =>This Inner Loop Header: Depth=1
	s_clause 0x1
	s_load_b128 s[36:39], s[24:25], 0x1c
	s_load_b64 s[44:45], s[24:25], 0x2c
	s_add_co_i32 s16, s16, -2
	s_delay_alu instid0(SALU_CYCLE_1) | instskip(SKIP_2) | instid1(VALU_DEP_1)
	s_cmp_eq_u32 s16, 0
	s_wait_kmcnt 0x0
	v_mul_hi_u32 v2, s37, v1
	v_add_nc_u32_e32 v2, v1, v2
	s_delay_alu instid0(VALU_DEP_1) | instskip(NEXT) | instid1(VALU_DEP_1)
	v_lshrrev_b32_e32 v2, s38, v2
	v_mul_hi_u32 v3, s44, v2
	v_mul_lo_u32 v7, v2, s36
	s_clause 0x1
	s_load_b128 s[40:43], s[24:25], 0xdc
	s_load_b64 s[36:37], s[24:25], 0xec
	s_wait_xcnt 0x0
	s_add_nc_u64 s[24:25], s[24:25], 24
	s_delay_alu instid0(VALU_DEP_2) | instskip(NEXT) | instid1(VALU_DEP_2)
	v_add_nc_u32_e32 v3, v2, v3
	v_sub_nc_u32_e32 v7, v1, v7
	s_delay_alu instid0(VALU_DEP_2) | instskip(SKIP_1) | instid1(VALU_DEP_2)
	v_lshrrev_b32_e32 v1, s45, v3
	s_wait_kmcnt 0x0
	v_mad_u32 v4, v7, s40, v4
	s_delay_alu instid0(VALU_DEP_2) | instskip(SKIP_2) | instid1(VALU_DEP_3)
	v_mul_lo_u32 v3, v1, s39
	v_mad_u32 v5, v7, s42, v5
	v_mad_u32 v6, v7, s41, v6
	v_sub_nc_u32_e32 v2, v2, v3
	s_delay_alu instid0(VALU_DEP_1) | instskip(NEXT) | instid1(VALU_DEP_4)
	v_mad_u32 v4, v2, s43, v4
	v_mad_u32 v5, v2, s37, v5
	s_delay_alu instid0(VALU_DEP_4)
	v_mad_u32 v6, v2, s36, v6
	s_cbranch_scc0 .LBB35_32
; %bb.33:
	s_bitcmp1_b32 s31, 0
	s_cselect_b32 s16, -1, 0
	s_delay_alu instid0(SALU_CYCLE_1)
	s_and_b32 vcc_lo, exec_lo, s16
	s_cbranch_vccnz .LBB35_37
; %bb.34:
	s_clause 0x1
	s_load_b96 s[36:38], s[24:25], 0x1c
	s_load_b96 s[40:42], s[24:25], 0xdc
	s_wait_kmcnt 0x0
	v_mul_hi_u32 v2, s37, v1
	s_delay_alu instid0(VALU_DEP_1) | instskip(NEXT) | instid1(VALU_DEP_1)
	v_add_nc_u32_e32 v2, v1, v2
	v_lshrrev_b32_e32 v2, s38, v2
	s_delay_alu instid0(VALU_DEP_1) | instskip(NEXT) | instid1(VALU_DEP_1)
	v_mul_lo_u32 v2, v2, s36
	v_sub_nc_u32_e32 v1, v1, v2
	s_delay_alu instid0(VALU_DEP_1)
	v_mad_u32 v4, v1, s40, v4
	v_mad_u32 v6, v1, s41, v6
	;; [unrolled: 1-line block ×3, first 2 shown]
	s_branch .LBB35_37
.LBB35_35:
                                        ; implicit-def: $vgpr5
                                        ; implicit-def: $vgpr6
                                        ; implicit-def: $vgpr4
	s_branch .LBB35_38
.LBB35_36:
	v_dual_mov_b32 v5, 0 :: v_dual_mov_b32 v6, 0
	v_mov_b32_e32 v4, 0
.LBB35_37:
	s_cbranch_execnz .LBB35_40
.LBB35_38:
	v_mov_b32_e32 v1, 0
	s_and_not1_b32 vcc_lo, exec_lo, s30
	s_delay_alu instid0(VALU_DEP_1) | instskip(NEXT) | instid1(VALU_DEP_1)
	v_mul_u64_e32 v[2:3], s[20:21], v[0:1]
	v_add_nc_u32_e32 v2, v0, v3
	s_delay_alu instid0(VALU_DEP_1) | instskip(NEXT) | instid1(VALU_DEP_1)
	v_lshrrev_b32_e32 v2, s6, v2
	v_mul_lo_u32 v3, v2, s4
	s_delay_alu instid0(VALU_DEP_1) | instskip(NEXT) | instid1(VALU_DEP_1)
	v_sub_nc_u32_e32 v3, v0, v3
	v_mul_lo_u32 v4, v3, s8
	v_mul_lo_u32 v5, v3, s10
	v_mul_lo_u32 v6, v3, s9
	s_cbranch_vccnz .LBB35_40
; %bb.39:
	v_mov_b32_e32 v3, v1
	s_delay_alu instid0(VALU_DEP_1) | instskip(NEXT) | instid1(VALU_DEP_1)
	v_mul_u64_e32 v[8:9], s[22:23], v[2:3]
	v_add_nc_u32_e32 v1, v2, v9
	s_delay_alu instid0(VALU_DEP_1) | instskip(NEXT) | instid1(VALU_DEP_1)
	v_lshrrev_b32_e32 v1, s17, v1
	v_mul_lo_u32 v1, v1, s7
	s_delay_alu instid0(VALU_DEP_1) | instskip(NEXT) | instid1(VALU_DEP_1)
	v_sub_nc_u32_e32 v1, v2, v1
	v_mad_u32 v4, v1, s11, v4
	v_mad_u32 v6, v1, s18, v6
	;; [unrolled: 1-line block ×3, first 2 shown]
.LBB35_40:
	global_load_u16 v1, v6, s[2:3]
	global_load_b32 v2, v5, s[14:15]
	v_add_nc_u32_e32 v0, 0x80, v0
	s_wait_loadcnt 0x1
	v_lshlrev_b32_e32 v1, 16, v1
	s_wait_loadcnt 0x0
	s_delay_alu instid0(VALU_DEP_1) | instskip(SKIP_1) | instid1(VALU_DEP_2)
	v_mul_f32_e32 v2, v2, v1
	v_cmp_lt_f32_e32 vcc_lo, 0, v1
	v_cndmask_b32_e32 v1, v2, v1, vcc_lo
	global_store_b32 v4, v1, s[0:1]
	s_wait_xcnt 0x0
	s_or_b32 exec_lo, exec_lo, s5
	s_delay_alu instid0(SALU_CYCLE_1)
	s_mov_b32 s5, exec_lo
	v_cmpx_gt_i32_e64 s33, v0
	s_cbranch_execz .LBB35_53
.LBB35_41:
	s_and_not1_b32 vcc_lo, exec_lo, s28
	s_cbranch_vccnz .LBB35_47
; %bb.42:
	s_and_not1_b32 vcc_lo, exec_lo, s34
	s_cbranch_vccnz .LBB35_48
; %bb.43:
	v_dual_mov_b32 v4, 0 :: v_dual_mov_b32 v1, v0
	v_dual_mov_b32 v6, 0 :: v_dual_mov_b32 v5, 0
	s_add_co_i32 s16, s31, 1
	s_mov_b64 s[24:25], 0xffffffffffffffe8
	s_and_b32 s16, s16, 30
	s_add_nc_u64 s[24:25], s[12:13], s[24:25]
.LBB35_44:                              ; =>This Inner Loop Header: Depth=1
	s_clause 0x1
	s_load_b128 s[36:39], s[24:25], 0x1c
	s_load_b64 s[34:35], s[24:25], 0x2c
	s_add_co_i32 s16, s16, -2
	s_delay_alu instid0(SALU_CYCLE_1) | instskip(SKIP_2) | instid1(VALU_DEP_1)
	s_cmp_eq_u32 s16, 0
	s_wait_kmcnt 0x0
	v_mul_hi_u32 v2, s37, v1
	v_add_nc_u32_e32 v2, v1, v2
	s_delay_alu instid0(VALU_DEP_1) | instskip(NEXT) | instid1(VALU_DEP_1)
	v_lshrrev_b32_e32 v2, s38, v2
	v_mul_hi_u32 v3, s34, v2
	v_mul_lo_u32 v7, v2, s36
	s_clause 0x1
	s_load_b128 s[40:43], s[24:25], 0xdc
	s_load_b64 s[36:37], s[24:25], 0xec
	s_wait_xcnt 0x0
	s_add_nc_u64 s[24:25], s[24:25], 24
	s_delay_alu instid0(VALU_DEP_2) | instskip(NEXT) | instid1(VALU_DEP_2)
	v_add_nc_u32_e32 v3, v2, v3
	v_sub_nc_u32_e32 v7, v1, v7
	s_delay_alu instid0(VALU_DEP_2) | instskip(SKIP_1) | instid1(VALU_DEP_2)
	v_lshrrev_b32_e32 v1, s35, v3
	s_wait_kmcnt 0x0
	v_mad_u32 v4, v7, s40, v4
	s_delay_alu instid0(VALU_DEP_2) | instskip(SKIP_2) | instid1(VALU_DEP_3)
	v_mul_lo_u32 v3, v1, s39
	v_mad_u32 v5, v7, s42, v5
	v_mad_u32 v6, v7, s41, v6
	v_sub_nc_u32_e32 v2, v2, v3
	s_delay_alu instid0(VALU_DEP_1) | instskip(NEXT) | instid1(VALU_DEP_4)
	v_mad_u32 v4, v2, s43, v4
	v_mad_u32 v5, v2, s37, v5
	s_delay_alu instid0(VALU_DEP_4)
	v_mad_u32 v6, v2, s36, v6
	s_cbranch_scc0 .LBB35_44
; %bb.45:
	s_bitcmp1_b32 s31, 0
	s_cselect_b32 s16, -1, 0
	s_delay_alu instid0(SALU_CYCLE_1)
	s_and_b32 vcc_lo, exec_lo, s16
	s_cbranch_vccnz .LBB35_49
; %bb.46:
	s_clause 0x1
	s_load_b96 s[36:38], s[24:25], 0x1c
	s_load_b96 s[40:42], s[24:25], 0xdc
	s_wait_kmcnt 0x0
	v_mul_hi_u32 v2, s37, v1
	s_delay_alu instid0(VALU_DEP_1) | instskip(NEXT) | instid1(VALU_DEP_1)
	v_add_nc_u32_e32 v2, v1, v2
	v_lshrrev_b32_e32 v2, s38, v2
	s_delay_alu instid0(VALU_DEP_1) | instskip(NEXT) | instid1(VALU_DEP_1)
	v_mul_lo_u32 v2, v2, s36
	v_sub_nc_u32_e32 v1, v1, v2
	s_delay_alu instid0(VALU_DEP_1)
	v_mad_u32 v4, v1, s40, v4
	v_mad_u32 v6, v1, s41, v6
	;; [unrolled: 1-line block ×3, first 2 shown]
	s_branch .LBB35_49
.LBB35_47:
                                        ; implicit-def: $vgpr5
                                        ; implicit-def: $vgpr6
                                        ; implicit-def: $vgpr4
	s_branch .LBB35_50
.LBB35_48:
	v_dual_mov_b32 v5, 0 :: v_dual_mov_b32 v6, 0
	v_mov_b32_e32 v4, 0
.LBB35_49:
	s_cbranch_execnz .LBB35_52
.LBB35_50:
	v_mov_b32_e32 v1, 0
	s_and_not1_b32 vcc_lo, exec_lo, s30
	s_delay_alu instid0(VALU_DEP_1) | instskip(NEXT) | instid1(VALU_DEP_1)
	v_mul_u64_e32 v[2:3], s[20:21], v[0:1]
	v_add_nc_u32_e32 v2, v0, v3
	s_delay_alu instid0(VALU_DEP_1) | instskip(NEXT) | instid1(VALU_DEP_1)
	v_lshrrev_b32_e32 v2, s6, v2
	v_mul_lo_u32 v3, v2, s4
	s_delay_alu instid0(VALU_DEP_1) | instskip(NEXT) | instid1(VALU_DEP_1)
	v_sub_nc_u32_e32 v0, v0, v3
	v_mul_lo_u32 v4, v0, s8
	v_mul_lo_u32 v5, v0, s10
	;; [unrolled: 1-line block ×3, first 2 shown]
	s_cbranch_vccnz .LBB35_52
; %bb.51:
	v_mov_b32_e32 v3, v1
	s_delay_alu instid0(VALU_DEP_1) | instskip(NEXT) | instid1(VALU_DEP_1)
	v_mul_u64_e32 v[0:1], s[22:23], v[2:3]
	v_add_nc_u32_e32 v0, v2, v1
	s_delay_alu instid0(VALU_DEP_1) | instskip(NEXT) | instid1(VALU_DEP_1)
	v_lshrrev_b32_e32 v0, s17, v0
	v_mul_lo_u32 v0, v0, s7
	s_delay_alu instid0(VALU_DEP_1) | instskip(NEXT) | instid1(VALU_DEP_1)
	v_sub_nc_u32_e32 v0, v2, v0
	v_mad_u32 v4, v0, s11, v4
	v_mad_u32 v6, v0, s18, v6
	v_mad_u32 v5, v0, s19, v5
.LBB35_52:
	global_load_u16 v0, v6, s[2:3]
	global_load_b32 v1, v5, s[14:15]
	s_wait_loadcnt 0x1
	v_lshlrev_b32_e32 v0, 16, v0
	s_wait_loadcnt 0x0
	s_delay_alu instid0(VALU_DEP_1) | instskip(SKIP_1) | instid1(VALU_DEP_2)
	v_mul_f32_e32 v1, v1, v0
	v_cmp_lt_f32_e32 vcc_lo, 0, v0
	v_cndmask_b32_e32 v0, v1, v0, vcc_lo
	global_store_b32 v4, v0, s[0:1]
.LBB35_53:
	s_wait_xcnt 0x0
	s_or_b32 exec_lo, exec_lo, s5
                                        ; implicit-def: $vgpr4
                                        ; implicit-def: $vgpr0
.LBB35_54:
	s_and_not1_saveexec_b32 s0, s29
	s_cbranch_execz .LBB35_61
; %bb.55:
	v_cndmask_b32_e64 v6, 0, 1, s28
	s_and_not1_b32 vcc_lo, exec_lo, s28
	s_cbranch_vccnz .LBB35_62
; %bb.56:
	s_cmp_lg_u32 s26, 0
	s_mov_b32 s2, 0
	s_cbranch_scc0 .LBB35_66
; %bb.57:
	s_min_u32 s3, s27, 15
	v_dual_mov_b32 v1, 0 :: v_dual_mov_b32 v5, v0
	v_dual_mov_b32 v2, 0 :: v_dual_mov_b32 v3, 0
	s_add_co_i32 s4, s3, 1
	s_mov_b64 s[0:1], 0xffffffffffffffe8
	s_and_b32 s4, s4, 30
	s_add_nc_u64 s[0:1], s[12:13], s[0:1]
.LBB35_58:                              ; =>This Inner Loop Header: Depth=1
	s_clause 0x1
	s_load_b128 s[8:11], s[0:1], 0x1c
	s_load_b64 s[6:7], s[0:1], 0x2c
	s_add_co_i32 s4, s4, -2
	s_delay_alu instid0(SALU_CYCLE_1) | instskip(SKIP_2) | instid1(VALU_DEP_1)
	s_cmp_lg_u32 s4, 0
	s_wait_kmcnt 0x0
	v_mul_hi_u32 v7, s9, v5
	v_add_nc_u32_e32 v7, v5, v7
	s_delay_alu instid0(VALU_DEP_1) | instskip(NEXT) | instid1(VALU_DEP_1)
	v_lshrrev_b32_e32 v7, s10, v7
	v_mul_hi_u32 v8, s6, v7
	v_mul_lo_u32 v9, v7, s8
	s_clause 0x1
	s_load_b128 s[16:19], s[0:1], 0xdc
	s_load_b64 s[8:9], s[0:1], 0xec
	s_wait_xcnt 0x0
	s_add_nc_u64 s[0:1], s[0:1], 24
	s_delay_alu instid0(VALU_DEP_1) | instskip(NEXT) | instid1(VALU_DEP_1)
	v_dual_add_nc_u32 v8, v7, v8 :: v_dual_sub_nc_u32 v9, v5, v9
	v_lshrrev_b32_e32 v5, s7, v8
	s_wait_kmcnt 0x0
	s_delay_alu instid0(VALU_DEP_2) | instskip(NEXT) | instid1(VALU_DEP_2)
	v_mad_u32 v1, v9, s16, v1
	v_mul_lo_u32 v8, v5, s11
	v_mad_u32 v3, v9, s18, v3
	v_mad_u32 v2, v9, s17, v2
	s_delay_alu instid0(VALU_DEP_3) | instskip(NEXT) | instid1(VALU_DEP_1)
	v_sub_nc_u32_e32 v7, v7, v8
	v_mad_u32 v1, v7, s19, v1
	s_delay_alu instid0(VALU_DEP_4) | instskip(NEXT) | instid1(VALU_DEP_4)
	v_mad_u32 v3, v7, s9, v3
	v_mad_u32 v2, v7, s8, v2
	s_cbranch_scc1 .LBB35_58
; %bb.59:
	s_bitcmp1_b32 s3, 0
	s_cselect_b32 s3, -1, 0
	s_delay_alu instid0(SALU_CYCLE_1)
	s_and_b32 vcc_lo, exec_lo, s3
	s_cbranch_vccnz .LBB35_63
; %bb.60:
	s_clause 0x1
	s_load_b96 s[4:6], s[0:1], 0x1c
	s_load_b96 s[8:10], s[0:1], 0xdc
	s_wait_kmcnt 0x0
	v_mul_hi_u32 v7, s5, v5
	s_delay_alu instid0(VALU_DEP_1) | instskip(NEXT) | instid1(VALU_DEP_1)
	v_add_nc_u32_e32 v7, v5, v7
	v_lshrrev_b32_e32 v7, s6, v7
	s_delay_alu instid0(VALU_DEP_1) | instskip(NEXT) | instid1(VALU_DEP_1)
	v_mul_lo_u32 v7, v7, s4
	v_sub_nc_u32_e32 v5, v5, v7
	s_delay_alu instid0(VALU_DEP_1)
	v_mad_u32 v1, v5, s8, v1
	v_mad_u32 v2, v5, s9, v2
	;; [unrolled: 1-line block ×3, first 2 shown]
	s_and_not1_b32 vcc_lo, exec_lo, s2
	s_cbranch_vccz .LBB35_64
	s_branch .LBB35_67
.LBB35_61:
	s_endpgm
.LBB35_62:
	s_mov_b32 s2, -1
                                        ; implicit-def: $vgpr3
                                        ; implicit-def: $vgpr2
                                        ; implicit-def: $vgpr1
.LBB35_63:
	s_delay_alu instid0(SALU_CYCLE_1)
	s_and_not1_b32 vcc_lo, exec_lo, s2
	s_cbranch_vccnz .LBB35_67
.LBB35_64:
	s_clause 0x1
	s_load_b96 s[0:2], s[12:13], 0x4
	s_load_b96 s[4:6], s[12:13], 0xc4
	s_cmp_lt_u32 s26, 2
	s_wait_kmcnt 0x0
	v_mul_hi_u32 v1, s1, v0
	s_delay_alu instid0(VALU_DEP_1) | instskip(NEXT) | instid1(VALU_DEP_1)
	v_add_nc_u32_e32 v1, v0, v1
	v_lshrrev_b32_e32 v5, s2, v1
	s_delay_alu instid0(VALU_DEP_1) | instskip(NEXT) | instid1(VALU_DEP_1)
	v_mul_lo_u32 v1, v5, s0
	v_sub_nc_u32_e32 v2, v0, v1
	s_delay_alu instid0(VALU_DEP_1)
	v_mul_lo_u32 v1, v2, s4
	v_mul_lo_u32 v3, v2, s6
	;; [unrolled: 1-line block ×3, first 2 shown]
	s_cbranch_scc1 .LBB35_67
; %bb.65:
	s_clause 0x1
	s_load_b96 s[0:2], s[12:13], 0x10
	s_load_b96 s[4:6], s[12:13], 0xd0
	s_wait_kmcnt 0x0
	v_mul_hi_u32 v7, s1, v5
	s_delay_alu instid0(VALU_DEP_1) | instskip(NEXT) | instid1(VALU_DEP_1)
	v_add_nc_u32_e32 v7, v5, v7
	v_lshrrev_b32_e32 v7, s2, v7
	s_delay_alu instid0(VALU_DEP_1) | instskip(NEXT) | instid1(VALU_DEP_1)
	v_mul_lo_u32 v7, v7, s0
	v_sub_nc_u32_e32 v5, v5, v7
	s_delay_alu instid0(VALU_DEP_1)
	v_mad_u32 v1, v5, s4, v1
	v_mad_u32 v2, v5, s5, v2
	;; [unrolled: 1-line block ×3, first 2 shown]
	s_branch .LBB35_67
.LBB35_66:
	v_dual_mov_b32 v3, 0 :: v_dual_mov_b32 v2, 0
	v_mov_b32_e32 v1, 0
	s_and_not1_b32 vcc_lo, exec_lo, s2
	s_cbranch_vccz .LBB35_64
.LBB35_67:
	v_cmp_ne_u32_e32 vcc_lo, 1, v6
	v_add_nc_u32_e32 v9, 0x80, v0
	s_cbranch_vccnz .LBB35_73
; %bb.68:
	s_cmp_lg_u32 s26, 0
	s_mov_b32 s2, 0
	s_cbranch_scc0 .LBB35_77
; %bb.69:
	s_min_u32 s3, s27, 15
	v_dual_mov_b32 v5, 0 :: v_dual_mov_b32 v10, v9
	v_dual_mov_b32 v8, 0 :: v_dual_mov_b32 v7, 0
	s_add_co_i32 s4, s3, 1
	s_mov_b64 s[0:1], 0xffffffffffffffe8
	s_and_b32 s4, s4, 30
	s_add_nc_u64 s[0:1], s[12:13], s[0:1]
.LBB35_70:                              ; =>This Inner Loop Header: Depth=1
	s_clause 0x1
	s_load_b128 s[8:11], s[0:1], 0x1c
	s_load_b64 s[6:7], s[0:1], 0x2c
	s_add_co_i32 s4, s4, -2
	s_delay_alu instid0(SALU_CYCLE_1) | instskip(SKIP_2) | instid1(VALU_DEP_1)
	s_cmp_lg_u32 s4, 0
	s_wait_kmcnt 0x0
	v_mul_hi_u32 v11, s9, v10
	v_add_nc_u32_e32 v11, v10, v11
	s_delay_alu instid0(VALU_DEP_1) | instskip(NEXT) | instid1(VALU_DEP_1)
	v_lshrrev_b32_e32 v11, s10, v11
	v_mul_hi_u32 v12, s6, v11
	v_mul_lo_u32 v13, v11, s8
	s_clause 0x1
	s_load_b128 s[16:19], s[0:1], 0xdc
	s_load_b64 s[8:9], s[0:1], 0xec
	s_wait_xcnt 0x0
	s_add_nc_u64 s[0:1], s[0:1], 24
	s_delay_alu instid0(VALU_DEP_1) | instskip(NEXT) | instid1(VALU_DEP_1)
	v_dual_add_nc_u32 v12, v11, v12 :: v_dual_sub_nc_u32 v13, v10, v13
	v_lshrrev_b32_e32 v10, s7, v12
	s_wait_kmcnt 0x0
	s_delay_alu instid0(VALU_DEP_2) | instskip(NEXT) | instid1(VALU_DEP_2)
	v_mad_u32 v5, v13, s16, v5
	v_mul_lo_u32 v12, v10, s11
	v_mad_u32 v7, v13, s18, v7
	v_mad_u32 v8, v13, s17, v8
	s_delay_alu instid0(VALU_DEP_3) | instskip(NEXT) | instid1(VALU_DEP_1)
	v_sub_nc_u32_e32 v11, v11, v12
	v_mad_u32 v5, v11, s19, v5
	s_delay_alu instid0(VALU_DEP_4) | instskip(NEXT) | instid1(VALU_DEP_4)
	v_mad_u32 v7, v11, s9, v7
	v_mad_u32 v8, v11, s8, v8
	s_cbranch_scc1 .LBB35_70
; %bb.71:
	s_bitcmp1_b32 s3, 0
	s_cselect_b32 s3, -1, 0
	s_delay_alu instid0(SALU_CYCLE_1)
	s_and_b32 vcc_lo, exec_lo, s3
	s_cbranch_vccnz .LBB35_74
; %bb.72:
	s_clause 0x1
	s_load_b96 s[4:6], s[0:1], 0x1c
	s_load_b96 s[8:10], s[0:1], 0xdc
	s_wait_kmcnt 0x0
	v_mul_hi_u32 v11, s5, v10
	s_delay_alu instid0(VALU_DEP_1) | instskip(NEXT) | instid1(VALU_DEP_1)
	v_add_nc_u32_e32 v11, v10, v11
	v_lshrrev_b32_e32 v11, s6, v11
	s_delay_alu instid0(VALU_DEP_1) | instskip(NEXT) | instid1(VALU_DEP_1)
	v_mul_lo_u32 v11, v11, s4
	v_sub_nc_u32_e32 v10, v10, v11
	s_delay_alu instid0(VALU_DEP_1)
	v_mad_u32 v5, v10, s8, v5
	v_mad_u32 v8, v10, s9, v8
	;; [unrolled: 1-line block ×3, first 2 shown]
	s_and_not1_b32 vcc_lo, exec_lo, s2
	s_cbranch_vccz .LBB35_75
	s_branch .LBB35_78
.LBB35_73:
	s_mov_b32 s2, -1
                                        ; implicit-def: $vgpr7
                                        ; implicit-def: $vgpr8
                                        ; implicit-def: $vgpr5
.LBB35_74:
	s_delay_alu instid0(SALU_CYCLE_1)
	s_and_not1_b32 vcc_lo, exec_lo, s2
	s_cbranch_vccnz .LBB35_78
.LBB35_75:
	s_clause 0x1
	s_load_b96 s[0:2], s[12:13], 0x4
	s_load_b96 s[4:6], s[12:13], 0xc4
	s_cmp_lt_u32 s26, 2
	s_wait_kmcnt 0x0
	v_mul_hi_u32 v5, s1, v9
	s_delay_alu instid0(VALU_DEP_1) | instskip(NEXT) | instid1(VALU_DEP_1)
	v_add_nc_u32_e32 v5, v9, v5
	v_lshrrev_b32_e32 v10, s2, v5
	s_delay_alu instid0(VALU_DEP_1) | instskip(NEXT) | instid1(VALU_DEP_1)
	v_mul_lo_u32 v5, v10, s0
	v_sub_nc_u32_e32 v8, v9, v5
	s_delay_alu instid0(VALU_DEP_1)
	v_mul_lo_u32 v5, v8, s4
	v_mul_lo_u32 v7, v8, s6
	;; [unrolled: 1-line block ×3, first 2 shown]
	s_cbranch_scc1 .LBB35_78
; %bb.76:
	s_clause 0x1
	s_load_b96 s[0:2], s[12:13], 0x10
	s_load_b96 s[4:6], s[12:13], 0xd0
	s_wait_kmcnt 0x0
	v_mul_hi_u32 v9, s1, v10
	s_delay_alu instid0(VALU_DEP_1) | instskip(NEXT) | instid1(VALU_DEP_1)
	v_add_nc_u32_e32 v9, v10, v9
	v_lshrrev_b32_e32 v9, s2, v9
	s_delay_alu instid0(VALU_DEP_1) | instskip(NEXT) | instid1(VALU_DEP_1)
	v_mul_lo_u32 v9, v9, s0
	v_sub_nc_u32_e32 v9, v10, v9
	s_delay_alu instid0(VALU_DEP_1)
	v_mad_u32 v5, v9, s4, v5
	v_mad_u32 v8, v9, s5, v8
	;; [unrolled: 1-line block ×3, first 2 shown]
	s_branch .LBB35_78
.LBB35_77:
	v_dual_mov_b32 v7, 0 :: v_dual_mov_b32 v8, 0
	v_mov_b32_e32 v5, 0
	s_and_not1_b32 vcc_lo, exec_lo, s2
	s_cbranch_vccz .LBB35_75
.LBB35_78:
	v_cmp_ne_u32_e32 vcc_lo, 1, v6
	v_add_nc_u32_e32 v11, 0x100, v0
	s_cbranch_vccnz .LBB35_84
; %bb.79:
	s_cmp_lg_u32 s26, 0
	s_mov_b32 s2, 0
	s_cbranch_scc0 .LBB35_88
; %bb.80:
	s_min_u32 s3, s27, 15
	v_dual_mov_b32 v0, 0 :: v_dual_mov_b32 v12, v11
	v_dual_mov_b32 v10, 0 :: v_dual_mov_b32 v9, 0
	s_add_co_i32 s4, s3, 1
	s_mov_b64 s[0:1], 0xffffffffffffffe8
	s_and_b32 s4, s4, 30
	s_add_nc_u64 s[0:1], s[12:13], s[0:1]
.LBB35_81:                              ; =>This Inner Loop Header: Depth=1
	s_clause 0x1
	s_load_b128 s[8:11], s[0:1], 0x1c
	s_load_b64 s[6:7], s[0:1], 0x2c
	s_add_co_i32 s4, s4, -2
	s_delay_alu instid0(SALU_CYCLE_1) | instskip(SKIP_2) | instid1(VALU_DEP_1)
	s_cmp_lg_u32 s4, 0
	s_wait_kmcnt 0x0
	v_mul_hi_u32 v13, s9, v12
	v_add_nc_u32_e32 v13, v12, v13
	s_delay_alu instid0(VALU_DEP_1) | instskip(NEXT) | instid1(VALU_DEP_1)
	v_lshrrev_b32_e32 v13, s10, v13
	v_mul_hi_u32 v14, s6, v13
	v_mul_lo_u32 v15, v13, s8
	s_clause 0x1
	s_load_b128 s[16:19], s[0:1], 0xdc
	s_load_b64 s[8:9], s[0:1], 0xec
	s_wait_xcnt 0x0
	s_add_nc_u64 s[0:1], s[0:1], 24
	s_delay_alu instid0(VALU_DEP_1) | instskip(NEXT) | instid1(VALU_DEP_1)
	v_dual_add_nc_u32 v14, v13, v14 :: v_dual_sub_nc_u32 v15, v12, v15
	v_lshrrev_b32_e32 v12, s7, v14
	s_wait_kmcnt 0x0
	s_delay_alu instid0(VALU_DEP_2) | instskip(NEXT) | instid1(VALU_DEP_2)
	v_mad_u32 v0, v15, s16, v0
	v_mul_lo_u32 v14, v12, s11
	v_mad_u32 v9, v15, s18, v9
	v_mad_u32 v10, v15, s17, v10
	s_delay_alu instid0(VALU_DEP_3) | instskip(NEXT) | instid1(VALU_DEP_1)
	v_sub_nc_u32_e32 v13, v13, v14
	v_mad_u32 v0, v13, s19, v0
	s_delay_alu instid0(VALU_DEP_4) | instskip(NEXT) | instid1(VALU_DEP_4)
	v_mad_u32 v9, v13, s9, v9
	v_mad_u32 v10, v13, s8, v10
	s_cbranch_scc1 .LBB35_81
; %bb.82:
	s_bitcmp1_b32 s3, 0
	s_cselect_b32 s3, -1, 0
	s_delay_alu instid0(SALU_CYCLE_1)
	s_and_b32 vcc_lo, exec_lo, s3
	s_cbranch_vccnz .LBB35_85
; %bb.83:
	s_clause 0x1
	s_load_b96 s[4:6], s[0:1], 0x1c
	s_load_b96 s[8:10], s[0:1], 0xdc
	s_wait_kmcnt 0x0
	v_mul_hi_u32 v13, s5, v12
	s_delay_alu instid0(VALU_DEP_1) | instskip(NEXT) | instid1(VALU_DEP_1)
	v_add_nc_u32_e32 v13, v12, v13
	v_lshrrev_b32_e32 v13, s6, v13
	s_delay_alu instid0(VALU_DEP_1) | instskip(NEXT) | instid1(VALU_DEP_1)
	v_mul_lo_u32 v13, v13, s4
	v_sub_nc_u32_e32 v12, v12, v13
	s_delay_alu instid0(VALU_DEP_1)
	v_mad_u32 v0, v12, s8, v0
	v_mad_u32 v10, v12, s9, v10
	;; [unrolled: 1-line block ×3, first 2 shown]
	s_and_not1_b32 vcc_lo, exec_lo, s2
	s_cbranch_vccz .LBB35_86
	s_branch .LBB35_89
.LBB35_84:
	s_mov_b32 s2, -1
                                        ; implicit-def: $vgpr9
                                        ; implicit-def: $vgpr10
                                        ; implicit-def: $vgpr0
.LBB35_85:
	s_delay_alu instid0(SALU_CYCLE_1)
	s_and_not1_b32 vcc_lo, exec_lo, s2
	s_cbranch_vccnz .LBB35_89
.LBB35_86:
	s_clause 0x1
	s_load_b96 s[0:2], s[12:13], 0x4
	s_load_b96 s[4:6], s[12:13], 0xc4
	s_cmp_lt_u32 s26, 2
	s_wait_kmcnt 0x0
	v_mul_hi_u32 v0, s1, v11
	s_delay_alu instid0(VALU_DEP_1) | instskip(NEXT) | instid1(VALU_DEP_1)
	v_add_nc_u32_e32 v0, v11, v0
	v_lshrrev_b32_e32 v12, s2, v0
	s_delay_alu instid0(VALU_DEP_1) | instskip(NEXT) | instid1(VALU_DEP_1)
	v_mul_lo_u32 v0, v12, s0
	v_sub_nc_u32_e32 v10, v11, v0
	s_delay_alu instid0(VALU_DEP_1)
	v_mul_lo_u32 v0, v10, s4
	v_mul_lo_u32 v9, v10, s6
	;; [unrolled: 1-line block ×3, first 2 shown]
	s_cbranch_scc1 .LBB35_89
; %bb.87:
	s_clause 0x1
	s_load_b96 s[0:2], s[12:13], 0x10
	s_load_b96 s[4:6], s[12:13], 0xd0
	s_wait_kmcnt 0x0
	v_mul_hi_u32 v11, s1, v12
	s_delay_alu instid0(VALU_DEP_1) | instskip(NEXT) | instid1(VALU_DEP_1)
	v_add_nc_u32_e32 v11, v12, v11
	v_lshrrev_b32_e32 v11, s2, v11
	s_delay_alu instid0(VALU_DEP_1) | instskip(NEXT) | instid1(VALU_DEP_1)
	v_mul_lo_u32 v11, v11, s0
	v_sub_nc_u32_e32 v11, v12, v11
	s_delay_alu instid0(VALU_DEP_1)
	v_mad_u32 v0, v11, s4, v0
	v_mad_u32 v10, v11, s5, v10
	;; [unrolled: 1-line block ×3, first 2 shown]
	s_branch .LBB35_89
.LBB35_88:
	v_dual_mov_b32 v9, 0 :: v_dual_mov_b32 v10, 0
	v_mov_b32_e32 v0, 0
	s_and_not1_b32 vcc_lo, exec_lo, s2
	s_cbranch_vccz .LBB35_86
.LBB35_89:
	v_cmp_ne_u32_e32 vcc_lo, 1, v6
	s_cbranch_vccnz .LBB35_95
; %bb.90:
	s_cmp_lg_u32 s26, 0
	s_mov_b32 s2, 0
	s_cbranch_scc0 .LBB35_99
; %bb.91:
	s_min_u32 s3, s27, 15
	v_dual_mov_b32 v6, 0 :: v_dual_mov_b32 v13, v4
	v_dual_mov_b32 v11, 0 :: v_dual_mov_b32 v12, 0
	s_add_co_i32 s4, s3, 1
	s_mov_b64 s[0:1], 0xffffffffffffffe8
	s_and_b32 s4, s4, 30
	s_add_nc_u64 s[0:1], s[12:13], s[0:1]
.LBB35_92:                              ; =>This Inner Loop Header: Depth=1
	s_clause 0x1
	s_load_b128 s[8:11], s[0:1], 0x1c
	s_load_b64 s[6:7], s[0:1], 0x2c
	s_add_co_i32 s4, s4, -2
	s_delay_alu instid0(SALU_CYCLE_1) | instskip(SKIP_2) | instid1(VALU_DEP_1)
	s_cmp_lg_u32 s4, 0
	s_wait_kmcnt 0x0
	v_mul_hi_u32 v14, s9, v13
	v_add_nc_u32_e32 v14, v13, v14
	s_delay_alu instid0(VALU_DEP_1) | instskip(NEXT) | instid1(VALU_DEP_1)
	v_lshrrev_b32_e32 v14, s10, v14
	v_mul_hi_u32 v15, s6, v14
	v_mul_lo_u32 v16, v14, s8
	s_clause 0x1
	s_load_b128 s[16:19], s[0:1], 0xdc
	s_load_b64 s[8:9], s[0:1], 0xec
	s_wait_xcnt 0x0
	s_add_nc_u64 s[0:1], s[0:1], 24
	s_delay_alu instid0(VALU_DEP_1) | instskip(NEXT) | instid1(VALU_DEP_1)
	v_dual_add_nc_u32 v15, v14, v15 :: v_dual_sub_nc_u32 v16, v13, v16
	v_lshrrev_b32_e32 v13, s7, v15
	s_wait_kmcnt 0x0
	s_delay_alu instid0(VALU_DEP_2) | instskip(NEXT) | instid1(VALU_DEP_2)
	v_mad_u32 v6, v16, s16, v6
	v_mul_lo_u32 v15, v13, s11
	v_mad_u32 v12, v16, s18, v12
	v_mad_u32 v11, v16, s17, v11
	s_delay_alu instid0(VALU_DEP_3) | instskip(NEXT) | instid1(VALU_DEP_1)
	v_sub_nc_u32_e32 v14, v14, v15
	v_mad_u32 v6, v14, s19, v6
	s_delay_alu instid0(VALU_DEP_4) | instskip(NEXT) | instid1(VALU_DEP_4)
	v_mad_u32 v12, v14, s9, v12
	v_mad_u32 v11, v14, s8, v11
	s_cbranch_scc1 .LBB35_92
; %bb.93:
	s_bitcmp1_b32 s3, 0
	s_cselect_b32 s3, -1, 0
	s_delay_alu instid0(SALU_CYCLE_1)
	s_and_b32 vcc_lo, exec_lo, s3
	s_cbranch_vccnz .LBB35_96
; %bb.94:
	s_clause 0x1
	s_load_b96 s[4:6], s[0:1], 0x1c
	s_load_b96 s[8:10], s[0:1], 0xdc
	s_wait_kmcnt 0x0
	v_mul_hi_u32 v14, s5, v13
	s_delay_alu instid0(VALU_DEP_1) | instskip(NEXT) | instid1(VALU_DEP_1)
	v_add_nc_u32_e32 v14, v13, v14
	v_lshrrev_b32_e32 v14, s6, v14
	s_delay_alu instid0(VALU_DEP_1) | instskip(NEXT) | instid1(VALU_DEP_1)
	v_mul_lo_u32 v14, v14, s4
	v_sub_nc_u32_e32 v13, v13, v14
	s_delay_alu instid0(VALU_DEP_1)
	v_mad_u32 v6, v13, s8, v6
	v_mad_u32 v11, v13, s9, v11
	;; [unrolled: 1-line block ×3, first 2 shown]
	s_and_not1_b32 vcc_lo, exec_lo, s2
	s_cbranch_vccz .LBB35_97
	s_branch .LBB35_100
.LBB35_95:
	s_mov_b32 s2, -1
                                        ; implicit-def: $vgpr12
                                        ; implicit-def: $vgpr11
                                        ; implicit-def: $vgpr6
.LBB35_96:
	s_delay_alu instid0(SALU_CYCLE_1)
	s_and_not1_b32 vcc_lo, exec_lo, s2
	s_cbranch_vccnz .LBB35_100
.LBB35_97:
	s_clause 0x1
	s_load_b96 s[0:2], s[12:13], 0x4
	s_load_b96 s[4:6], s[12:13], 0xc4
	s_cmp_lt_u32 s26, 2
	s_wait_kmcnt 0x0
	v_mul_hi_u32 v6, s1, v4
	s_delay_alu instid0(VALU_DEP_1) | instskip(NEXT) | instid1(VALU_DEP_1)
	v_add_nc_u32_e32 v6, v4, v6
	v_lshrrev_b32_e32 v13, s2, v6
	s_delay_alu instid0(VALU_DEP_1) | instskip(NEXT) | instid1(VALU_DEP_1)
	v_mul_lo_u32 v6, v13, s0
	v_sub_nc_u32_e32 v4, v4, v6
	s_delay_alu instid0(VALU_DEP_1)
	v_mul_lo_u32 v6, v4, s4
	v_mul_lo_u32 v12, v4, s6
	;; [unrolled: 1-line block ×3, first 2 shown]
	s_cbranch_scc1 .LBB35_100
; %bb.98:
	s_clause 0x1
	s_load_b96 s[0:2], s[12:13], 0x10
	s_load_b96 s[4:6], s[12:13], 0xd0
	s_wait_kmcnt 0x0
	v_mul_hi_u32 v4, s1, v13
	s_delay_alu instid0(VALU_DEP_1) | instskip(NEXT) | instid1(VALU_DEP_1)
	v_add_nc_u32_e32 v4, v13, v4
	v_lshrrev_b32_e32 v4, s2, v4
	s_delay_alu instid0(VALU_DEP_1) | instskip(NEXT) | instid1(VALU_DEP_1)
	v_mul_lo_u32 v4, v4, s0
	v_sub_nc_u32_e32 v4, v13, v4
	s_delay_alu instid0(VALU_DEP_1)
	v_mad_u32 v6, v4, s4, v6
	v_mad_u32 v11, v4, s5, v11
	;; [unrolled: 1-line block ×3, first 2 shown]
	s_branch .LBB35_100
.LBB35_99:
	v_dual_mov_b32 v12, 0 :: v_dual_mov_b32 v11, 0
	v_mov_b32_e32 v6, 0
	s_and_not1_b32 vcc_lo, exec_lo, s2
	s_cbranch_vccz .LBB35_97
.LBB35_100:
	s_clause 0x1
	s_load_b128 s[0:3], s[12:13], 0x188
	s_load_b64 s[4:5], s[12:13], 0x198
	s_wait_kmcnt 0x0
	s_clause 0x3
	global_load_u16 v4, v2, s[2:3]
	global_load_u16 v13, v8, s[2:3]
	;; [unrolled: 1-line block ×4, first 2 shown]
	s_clause 0x3
	global_load_b32 v16, v3, s[4:5]
	global_load_b32 v17, v7, s[4:5]
	;; [unrolled: 1-line block ×4, first 2 shown]
	s_wait_loadcnt 0x6
	s_wait_xcnt 0x3
	v_dual_lshlrev_b32 v2, 16, v4 :: v_dual_lshlrev_b32 v3, 16, v13
	s_wait_loadcnt 0x4
	s_wait_xcnt 0x2
	v_dual_lshlrev_b32 v4, 16, v14 :: v_dual_lshlrev_b32 v7, 16, v15
	s_wait_loadcnt 0x2
	s_wait_xcnt 0x1
	v_dual_mul_f32 v8, v16, v2 :: v_dual_mul_f32 v9, v17, v3
	v_cmp_lt_f32_e32 vcc_lo, 0, v2
	s_wait_loadcnt 0x0
	v_dual_mul_f32 v10, v18, v4 :: v_dual_mul_f32 v11, v19, v7
	s_delay_alu instid0(VALU_DEP_3)
	v_cndmask_b32_e32 v2, v8, v2, vcc_lo
	v_cmp_lt_f32_e32 vcc_lo, 0, v3
	v_cndmask_b32_e32 v3, v9, v3, vcc_lo
	v_cmp_lt_f32_e32 vcc_lo, 0, v4
	;; [unrolled: 2-line block ×3, first 2 shown]
	v_cndmask_b32_e32 v7, v11, v7, vcc_lo
	s_clause 0x3
	global_store_b32 v1, v2, s[0:1]
	global_store_b32 v5, v3, s[0:1]
	;; [unrolled: 1-line block ×4, first 2 shown]
	s_endpgm
	.section	.rodata,"a",@progbits
	.p2align	6, 0x0
	.amdhsa_kernel _ZN2at6native32elementwise_kernel_manual_unrollILi128ELi4EZNS0_12_GLOBAL__N_142type_specialized_broadcast_kernel_launcherILi1EE5applyIZZZNS0_12prelu_kernelERNS_14TensorIteratorEENKUlvE_clEvENKUlvE0_clEvEUlffE_St5arrayIPcLm3EESB_IN3c1010ScalarTypeELm3EE16OffsetCalculatorILi3EjLb0EEEEvlT_T0_T1_T2_EUlibE_EEviSL_
		.amdhsa_group_segment_fixed_size 0
		.amdhsa_private_segment_fixed_size 0
		.amdhsa_kernarg_size 432
		.amdhsa_user_sgpr_count 2
		.amdhsa_user_sgpr_dispatch_ptr 0
		.amdhsa_user_sgpr_queue_ptr 0
		.amdhsa_user_sgpr_kernarg_segment_ptr 1
		.amdhsa_user_sgpr_dispatch_id 0
		.amdhsa_user_sgpr_kernarg_preload_length 0
		.amdhsa_user_sgpr_kernarg_preload_offset 0
		.amdhsa_user_sgpr_private_segment_size 0
		.amdhsa_wavefront_size32 1
		.amdhsa_uses_dynamic_stack 0
		.amdhsa_enable_private_segment 0
		.amdhsa_system_sgpr_workgroup_id_x 1
		.amdhsa_system_sgpr_workgroup_id_y 0
		.amdhsa_system_sgpr_workgroup_id_z 0
		.amdhsa_system_sgpr_workgroup_info 0
		.amdhsa_system_vgpr_workitem_id 0
		.amdhsa_next_free_vgpr 20
		.amdhsa_next_free_sgpr 46
		.amdhsa_named_barrier_count 0
		.amdhsa_reserve_vcc 1
		.amdhsa_float_round_mode_32 0
		.amdhsa_float_round_mode_16_64 0
		.amdhsa_float_denorm_mode_32 3
		.amdhsa_float_denorm_mode_16_64 3
		.amdhsa_fp16_overflow 0
		.amdhsa_memory_ordered 1
		.amdhsa_forward_progress 1
		.amdhsa_inst_pref_size 44
		.amdhsa_round_robin_scheduling 0
		.amdhsa_exception_fp_ieee_invalid_op 0
		.amdhsa_exception_fp_denorm_src 0
		.amdhsa_exception_fp_ieee_div_zero 0
		.amdhsa_exception_fp_ieee_overflow 0
		.amdhsa_exception_fp_ieee_underflow 0
		.amdhsa_exception_fp_ieee_inexact 0
		.amdhsa_exception_int_div_zero 0
	.end_amdhsa_kernel
	.section	.text._ZN2at6native32elementwise_kernel_manual_unrollILi128ELi4EZNS0_12_GLOBAL__N_142type_specialized_broadcast_kernel_launcherILi1EE5applyIZZZNS0_12prelu_kernelERNS_14TensorIteratorEENKUlvE_clEvENKUlvE0_clEvEUlffE_St5arrayIPcLm3EESB_IN3c1010ScalarTypeELm3EE16OffsetCalculatorILi3EjLb0EEEEvlT_T0_T1_T2_EUlibE_EEviSL_,"axG",@progbits,_ZN2at6native32elementwise_kernel_manual_unrollILi128ELi4EZNS0_12_GLOBAL__N_142type_specialized_broadcast_kernel_launcherILi1EE5applyIZZZNS0_12prelu_kernelERNS_14TensorIteratorEENKUlvE_clEvENKUlvE0_clEvEUlffE_St5arrayIPcLm3EESB_IN3c1010ScalarTypeELm3EE16OffsetCalculatorILi3EjLb0EEEEvlT_T0_T1_T2_EUlibE_EEviSL_,comdat
.Lfunc_end35:
	.size	_ZN2at6native32elementwise_kernel_manual_unrollILi128ELi4EZNS0_12_GLOBAL__N_142type_specialized_broadcast_kernel_launcherILi1EE5applyIZZZNS0_12prelu_kernelERNS_14TensorIteratorEENKUlvE_clEvENKUlvE0_clEvEUlffE_St5arrayIPcLm3EESB_IN3c1010ScalarTypeELm3EE16OffsetCalculatorILi3EjLb0EEEEvlT_T0_T1_T2_EUlibE_EEviSL_, .Lfunc_end35-_ZN2at6native32elementwise_kernel_manual_unrollILi128ELi4EZNS0_12_GLOBAL__N_142type_specialized_broadcast_kernel_launcherILi1EE5applyIZZZNS0_12prelu_kernelERNS_14TensorIteratorEENKUlvE_clEvENKUlvE0_clEvEUlffE_St5arrayIPcLm3EESB_IN3c1010ScalarTypeELm3EE16OffsetCalculatorILi3EjLb0EEEEvlT_T0_T1_T2_EUlibE_EEviSL_
                                        ; -- End function
	.set _ZN2at6native32elementwise_kernel_manual_unrollILi128ELi4EZNS0_12_GLOBAL__N_142type_specialized_broadcast_kernel_launcherILi1EE5applyIZZZNS0_12prelu_kernelERNS_14TensorIteratorEENKUlvE_clEvENKUlvE0_clEvEUlffE_St5arrayIPcLm3EESB_IN3c1010ScalarTypeELm3EE16OffsetCalculatorILi3EjLb0EEEEvlT_T0_T1_T2_EUlibE_EEviSL_.num_vgpr, 20
	.set _ZN2at6native32elementwise_kernel_manual_unrollILi128ELi4EZNS0_12_GLOBAL__N_142type_specialized_broadcast_kernel_launcherILi1EE5applyIZZZNS0_12prelu_kernelERNS_14TensorIteratorEENKUlvE_clEvENKUlvE0_clEvEUlffE_St5arrayIPcLm3EESB_IN3c1010ScalarTypeELm3EE16OffsetCalculatorILi3EjLb0EEEEvlT_T0_T1_T2_EUlibE_EEviSL_.num_agpr, 0
	.set _ZN2at6native32elementwise_kernel_manual_unrollILi128ELi4EZNS0_12_GLOBAL__N_142type_specialized_broadcast_kernel_launcherILi1EE5applyIZZZNS0_12prelu_kernelERNS_14TensorIteratorEENKUlvE_clEvENKUlvE0_clEvEUlffE_St5arrayIPcLm3EESB_IN3c1010ScalarTypeELm3EE16OffsetCalculatorILi3EjLb0EEEEvlT_T0_T1_T2_EUlibE_EEviSL_.numbered_sgpr, 46
	.set _ZN2at6native32elementwise_kernel_manual_unrollILi128ELi4EZNS0_12_GLOBAL__N_142type_specialized_broadcast_kernel_launcherILi1EE5applyIZZZNS0_12prelu_kernelERNS_14TensorIteratorEENKUlvE_clEvENKUlvE0_clEvEUlffE_St5arrayIPcLm3EESB_IN3c1010ScalarTypeELm3EE16OffsetCalculatorILi3EjLb0EEEEvlT_T0_T1_T2_EUlibE_EEviSL_.num_named_barrier, 0
	.set _ZN2at6native32elementwise_kernel_manual_unrollILi128ELi4EZNS0_12_GLOBAL__N_142type_specialized_broadcast_kernel_launcherILi1EE5applyIZZZNS0_12prelu_kernelERNS_14TensorIteratorEENKUlvE_clEvENKUlvE0_clEvEUlffE_St5arrayIPcLm3EESB_IN3c1010ScalarTypeELm3EE16OffsetCalculatorILi3EjLb0EEEEvlT_T0_T1_T2_EUlibE_EEviSL_.private_seg_size, 0
	.set _ZN2at6native32elementwise_kernel_manual_unrollILi128ELi4EZNS0_12_GLOBAL__N_142type_specialized_broadcast_kernel_launcherILi1EE5applyIZZZNS0_12prelu_kernelERNS_14TensorIteratorEENKUlvE_clEvENKUlvE0_clEvEUlffE_St5arrayIPcLm3EESB_IN3c1010ScalarTypeELm3EE16OffsetCalculatorILi3EjLb0EEEEvlT_T0_T1_T2_EUlibE_EEviSL_.uses_vcc, 1
	.set _ZN2at6native32elementwise_kernel_manual_unrollILi128ELi4EZNS0_12_GLOBAL__N_142type_specialized_broadcast_kernel_launcherILi1EE5applyIZZZNS0_12prelu_kernelERNS_14TensorIteratorEENKUlvE_clEvENKUlvE0_clEvEUlffE_St5arrayIPcLm3EESB_IN3c1010ScalarTypeELm3EE16OffsetCalculatorILi3EjLb0EEEEvlT_T0_T1_T2_EUlibE_EEviSL_.uses_flat_scratch, 0
	.set _ZN2at6native32elementwise_kernel_manual_unrollILi128ELi4EZNS0_12_GLOBAL__N_142type_specialized_broadcast_kernel_launcherILi1EE5applyIZZZNS0_12prelu_kernelERNS_14TensorIteratorEENKUlvE_clEvENKUlvE0_clEvEUlffE_St5arrayIPcLm3EESB_IN3c1010ScalarTypeELm3EE16OffsetCalculatorILi3EjLb0EEEEvlT_T0_T1_T2_EUlibE_EEviSL_.has_dyn_sized_stack, 0
	.set _ZN2at6native32elementwise_kernel_manual_unrollILi128ELi4EZNS0_12_GLOBAL__N_142type_specialized_broadcast_kernel_launcherILi1EE5applyIZZZNS0_12prelu_kernelERNS_14TensorIteratorEENKUlvE_clEvENKUlvE0_clEvEUlffE_St5arrayIPcLm3EESB_IN3c1010ScalarTypeELm3EE16OffsetCalculatorILi3EjLb0EEEEvlT_T0_T1_T2_EUlibE_EEviSL_.has_recursion, 0
	.set _ZN2at6native32elementwise_kernel_manual_unrollILi128ELi4EZNS0_12_GLOBAL__N_142type_specialized_broadcast_kernel_launcherILi1EE5applyIZZZNS0_12prelu_kernelERNS_14TensorIteratorEENKUlvE_clEvENKUlvE0_clEvEUlffE_St5arrayIPcLm3EESB_IN3c1010ScalarTypeELm3EE16OffsetCalculatorILi3EjLb0EEEEvlT_T0_T1_T2_EUlibE_EEviSL_.has_indirect_call, 0
	.section	.AMDGPU.csdata,"",@progbits
; Kernel info:
; codeLenInByte = 5508
; TotalNumSgprs: 48
; NumVgprs: 20
; ScratchSize: 0
; MemoryBound: 0
; FloatMode: 240
; IeeeMode: 1
; LDSByteSize: 0 bytes/workgroup (compile time only)
; SGPRBlocks: 0
; VGPRBlocks: 1
; NumSGPRsForWavesPerEU: 48
; NumVGPRsForWavesPerEU: 20
; NamedBarCnt: 0
; Occupancy: 16
; WaveLimiterHint : 1
; COMPUTE_PGM_RSRC2:SCRATCH_EN: 0
; COMPUTE_PGM_RSRC2:USER_SGPR: 2
; COMPUTE_PGM_RSRC2:TRAP_HANDLER: 0
; COMPUTE_PGM_RSRC2:TGID_X_EN: 1
; COMPUTE_PGM_RSRC2:TGID_Y_EN: 0
; COMPUTE_PGM_RSRC2:TGID_Z_EN: 0
; COMPUTE_PGM_RSRC2:TIDIG_COMP_CNT: 0
	.section	.text._ZN2at6native32elementwise_kernel_manual_unrollILi128ELi4EZNS0_12_GLOBAL__N_142type_specialized_broadcast_kernel_launcherILi2EE5applyIZZZNS0_12prelu_kernelERNS_14TensorIteratorEENKUlvE_clEvENKUlvE0_clEvEUlffE_St5arrayIPcLm3EESB_IN3c1010ScalarTypeELm3EE16OffsetCalculatorILi3EjLb0EEEEvlT_T0_T1_T2_EUlibE_EEviSL_,"axG",@progbits,_ZN2at6native32elementwise_kernel_manual_unrollILi128ELi4EZNS0_12_GLOBAL__N_142type_specialized_broadcast_kernel_launcherILi2EE5applyIZZZNS0_12prelu_kernelERNS_14TensorIteratorEENKUlvE_clEvENKUlvE0_clEvEUlffE_St5arrayIPcLm3EESB_IN3c1010ScalarTypeELm3EE16OffsetCalculatorILi3EjLb0EEEEvlT_T0_T1_T2_EUlibE_EEviSL_,comdat
	.globl	_ZN2at6native32elementwise_kernel_manual_unrollILi128ELi4EZNS0_12_GLOBAL__N_142type_specialized_broadcast_kernel_launcherILi2EE5applyIZZZNS0_12prelu_kernelERNS_14TensorIteratorEENKUlvE_clEvENKUlvE0_clEvEUlffE_St5arrayIPcLm3EESB_IN3c1010ScalarTypeELm3EE16OffsetCalculatorILi3EjLb0EEEEvlT_T0_T1_T2_EUlibE_EEviSL_ ; -- Begin function _ZN2at6native32elementwise_kernel_manual_unrollILi128ELi4EZNS0_12_GLOBAL__N_142type_specialized_broadcast_kernel_launcherILi2EE5applyIZZZNS0_12prelu_kernelERNS_14TensorIteratorEENKUlvE_clEvENKUlvE0_clEvEUlffE_St5arrayIPcLm3EESB_IN3c1010ScalarTypeELm3EE16OffsetCalculatorILi3EjLb0EEEEvlT_T0_T1_T2_EUlibE_EEviSL_
	.p2align	8
	.type	_ZN2at6native32elementwise_kernel_manual_unrollILi128ELi4EZNS0_12_GLOBAL__N_142type_specialized_broadcast_kernel_launcherILi2EE5applyIZZZNS0_12prelu_kernelERNS_14TensorIteratorEENKUlvE_clEvENKUlvE0_clEvEUlffE_St5arrayIPcLm3EESB_IN3c1010ScalarTypeELm3EE16OffsetCalculatorILi3EjLb0EEEEvlT_T0_T1_T2_EUlibE_EEviSL_,@function
_ZN2at6native32elementwise_kernel_manual_unrollILi128ELi4EZNS0_12_GLOBAL__N_142type_specialized_broadcast_kernel_launcherILi2EE5applyIZZZNS0_12prelu_kernelERNS_14TensorIteratorEENKUlvE_clEvENKUlvE0_clEvEUlffE_St5arrayIPcLm3EESB_IN3c1010ScalarTypeELm3EE16OffsetCalculatorILi3EjLb0EEEEvlT_T0_T1_T2_EUlibE_EEviSL_: ; @_ZN2at6native32elementwise_kernel_manual_unrollILi128ELi4EZNS0_12_GLOBAL__N_142type_specialized_broadcast_kernel_launcherILi2EE5applyIZZZNS0_12prelu_kernelERNS_14TensorIteratorEENKUlvE_clEvENKUlvE0_clEvEUlffE_St5arrayIPcLm3EESB_IN3c1010ScalarTypeELm3EE16OffsetCalculatorILi3EjLb0EEEEvlT_T0_T1_T2_EUlibE_EEviSL_
; %bb.0:
	s_clause 0x1
	s_load_b32 s26, s[0:1], 0x8
	s_load_b32 s33, s[0:1], 0x0
	s_bfe_u32 s2, ttmp6, 0x4000c
	s_and_b32 s3, ttmp6, 15
	s_add_co_i32 s2, s2, 1
	s_getreg_b32 s4, hwreg(HW_REG_IB_STS2, 6, 4)
	s_mul_i32 s2, ttmp9, s2
	s_add_nc_u64 s[12:13], s[0:1], 8
	s_add_co_i32 s3, s3, s2
	s_cmp_eq_u32 s4, 0
	s_mov_b32 s21, 0
	s_cselect_b32 s2, ttmp9, s3
	s_wait_xcnt 0x0
	s_mov_b32 s0, exec_lo
	v_lshl_or_b32 v0, s2, 9, v0
	s_delay_alu instid0(VALU_DEP_1) | instskip(SKIP_2) | instid1(SALU_CYCLE_1)
	v_or_b32_e32 v4, 0x180, v0
	s_wait_kmcnt 0x0
	s_add_co_i32 s27, s26, -1
	s_cmp_gt_u32 s27, 1
	s_cselect_b32 s28, -1, 0
	v_cmpx_le_i32_e64 s33, v4
	s_xor_b32 s29, exec_lo, s0
	s_cbranch_execz .LBB36_54
; %bb.1:
	s_clause 0x5
	s_load_b128 s[4:7], s[12:13], 0x4
	s_load_b64 s[16:17], s[12:13], 0x14
	s_load_b128 s[8:11], s[12:13], 0xc4
	s_load_b64 s[18:19], s[12:13], 0xd4
	s_load_b64 s[14:15], s[12:13], 0x198
	s_load_b128 s[0:3], s[12:13], 0x188
	s_cmp_lg_u32 s26, 0
	s_mov_b32 s23, s21
	s_cselect_b32 s34, -1, 0
	s_min_u32 s31, s27, 15
	s_cmp_gt_u32 s26, 1
	s_cselect_b32 s30, -1, 0
	s_wait_kmcnt 0x0
	s_mov_b32 s20, s5
	s_mov_b32 s22, s16
	s_mov_b32 s5, exec_lo
	v_cmpx_gt_i32_e64 s33, v0
	s_cbranch_execnz .LBB36_5
; %bb.2:
	s_or_b32 exec_lo, exec_lo, s5
	s_delay_alu instid0(SALU_CYCLE_1)
	s_mov_b32 s5, exec_lo
	v_cmpx_gt_i32_e64 s33, v0
	s_cbranch_execnz .LBB36_17
.LBB36_3:
	s_or_b32 exec_lo, exec_lo, s5
	s_delay_alu instid0(SALU_CYCLE_1)
	s_mov_b32 s5, exec_lo
	v_cmpx_gt_i32_e64 s33, v0
	s_cbranch_execnz .LBB36_29
.LBB36_4:
	s_or_b32 exec_lo, exec_lo, s5
	s_delay_alu instid0(SALU_CYCLE_1)
	s_mov_b32 s5, exec_lo
	v_cmpx_gt_i32_e64 s33, v0
	s_cbranch_execnz .LBB36_41
	s_branch .LBB36_53
.LBB36_5:
	s_and_not1_b32 vcc_lo, exec_lo, s28
	s_cbranch_vccnz .LBB36_11
; %bb.6:
	s_and_not1_b32 vcc_lo, exec_lo, s34
	s_cbranch_vccnz .LBB36_12
; %bb.7:
	v_dual_mov_b32 v4, 0 :: v_dual_mov_b32 v1, v0
	v_dual_mov_b32 v6, 0 :: v_dual_mov_b32 v5, 0
	s_add_co_i32 s16, s31, 1
	s_mov_b64 s[24:25], 0xffffffffffffffe8
	s_and_b32 s16, s16, 30
	s_add_nc_u64 s[24:25], s[12:13], s[24:25]
.LBB36_8:                               ; =>This Inner Loop Header: Depth=1
	s_clause 0x1
	s_load_b128 s[36:39], s[24:25], 0x1c
	s_load_b64 s[44:45], s[24:25], 0x2c
	s_add_co_i32 s16, s16, -2
	s_delay_alu instid0(SALU_CYCLE_1) | instskip(SKIP_2) | instid1(VALU_DEP_1)
	s_cmp_lg_u32 s16, 0
	s_wait_kmcnt 0x0
	v_mul_hi_u32 v2, s37, v1
	v_add_nc_u32_e32 v2, v1, v2
	s_delay_alu instid0(VALU_DEP_1) | instskip(NEXT) | instid1(VALU_DEP_1)
	v_lshrrev_b32_e32 v2, s38, v2
	v_mul_hi_u32 v3, s44, v2
	v_mul_lo_u32 v7, v2, s36
	s_clause 0x1
	s_load_b128 s[40:43], s[24:25], 0xdc
	s_load_b64 s[36:37], s[24:25], 0xec
	s_wait_xcnt 0x0
	s_add_nc_u64 s[24:25], s[24:25], 24
	s_delay_alu instid0(VALU_DEP_2) | instskip(NEXT) | instid1(VALU_DEP_2)
	v_add_nc_u32_e32 v3, v2, v3
	v_sub_nc_u32_e32 v7, v1, v7
	s_delay_alu instid0(VALU_DEP_2) | instskip(SKIP_1) | instid1(VALU_DEP_2)
	v_lshrrev_b32_e32 v1, s45, v3
	s_wait_kmcnt 0x0
	v_mad_u32 v4, v7, s40, v4
	s_delay_alu instid0(VALU_DEP_2) | instskip(SKIP_2) | instid1(VALU_DEP_3)
	v_mul_lo_u32 v3, v1, s39
	v_mad_u32 v5, v7, s42, v5
	v_mad_u32 v6, v7, s41, v6
	v_sub_nc_u32_e32 v2, v2, v3
	s_delay_alu instid0(VALU_DEP_1) | instskip(NEXT) | instid1(VALU_DEP_4)
	v_mad_u32 v4, v2, s43, v4
	v_mad_u32 v5, v2, s37, v5
	s_delay_alu instid0(VALU_DEP_4)
	v_mad_u32 v6, v2, s36, v6
	s_cbranch_scc1 .LBB36_8
; %bb.9:
	s_bitcmp1_b32 s31, 0
	s_cselect_b32 s16, -1, 0
	s_delay_alu instid0(SALU_CYCLE_1)
	s_and_b32 vcc_lo, exec_lo, s16
	s_cbranch_vccnz .LBB36_13
; %bb.10:
	s_clause 0x1
	s_load_b96 s[36:38], s[24:25], 0x1c
	s_load_b96 s[40:42], s[24:25], 0xdc
	s_wait_kmcnt 0x0
	v_mul_hi_u32 v2, s37, v1
	s_delay_alu instid0(VALU_DEP_1) | instskip(NEXT) | instid1(VALU_DEP_1)
	v_add_nc_u32_e32 v2, v1, v2
	v_lshrrev_b32_e32 v2, s38, v2
	s_delay_alu instid0(VALU_DEP_1) | instskip(NEXT) | instid1(VALU_DEP_1)
	v_mul_lo_u32 v2, v2, s36
	v_sub_nc_u32_e32 v1, v1, v2
	s_delay_alu instid0(VALU_DEP_1)
	v_mad_u32 v4, v1, s40, v4
	v_mad_u32 v6, v1, s41, v6
	;; [unrolled: 1-line block ×3, first 2 shown]
	s_cbranch_execz .LBB36_14
	s_branch .LBB36_16
.LBB36_11:
                                        ; implicit-def: $vgpr5
                                        ; implicit-def: $vgpr6
                                        ; implicit-def: $vgpr4
	s_branch .LBB36_14
.LBB36_12:
	v_dual_mov_b32 v5, 0 :: v_dual_mov_b32 v6, 0
	v_mov_b32_e32 v4, 0
.LBB36_13:
	s_cbranch_execnz .LBB36_16
.LBB36_14:
	v_mov_b32_e32 v1, 0
	s_and_not1_b32 vcc_lo, exec_lo, s30
	s_delay_alu instid0(VALU_DEP_1) | instskip(NEXT) | instid1(VALU_DEP_1)
	v_mul_u64_e32 v[2:3], s[20:21], v[0:1]
	v_add_nc_u32_e32 v2, v0, v3
	s_delay_alu instid0(VALU_DEP_1) | instskip(NEXT) | instid1(VALU_DEP_1)
	v_lshrrev_b32_e32 v2, s6, v2
	v_mul_lo_u32 v3, v2, s4
	s_delay_alu instid0(VALU_DEP_1) | instskip(NEXT) | instid1(VALU_DEP_1)
	v_sub_nc_u32_e32 v3, v0, v3
	v_mul_lo_u32 v4, v3, s8
	v_mul_lo_u32 v5, v3, s10
	;; [unrolled: 1-line block ×3, first 2 shown]
	s_cbranch_vccnz .LBB36_16
; %bb.15:
	v_mov_b32_e32 v3, v1
	s_delay_alu instid0(VALU_DEP_1) | instskip(NEXT) | instid1(VALU_DEP_1)
	v_mul_u64_e32 v[8:9], s[22:23], v[2:3]
	v_add_nc_u32_e32 v1, v2, v9
	s_delay_alu instid0(VALU_DEP_1) | instskip(NEXT) | instid1(VALU_DEP_1)
	v_lshrrev_b32_e32 v1, s17, v1
	v_mul_lo_u32 v1, v1, s7
	s_delay_alu instid0(VALU_DEP_1) | instskip(NEXT) | instid1(VALU_DEP_1)
	v_sub_nc_u32_e32 v1, v2, v1
	v_mad_u32 v4, v1, s11, v4
	v_mad_u32 v6, v1, s18, v6
	;; [unrolled: 1-line block ×3, first 2 shown]
.LBB36_16:
	global_load_u16 v1, v6, s[2:3]
	global_load_b32 v2, v5, s[14:15]
	v_add_nc_u32_e32 v0, 0x80, v0
	s_wait_loadcnt 0x1
	v_lshlrev_b32_e32 v1, 16, v1
	s_wait_loadcnt 0x0
	s_delay_alu instid0(VALU_DEP_1) | instskip(SKIP_1) | instid1(VALU_DEP_2)
	v_mul_f32_e32 v2, v2, v1
	v_cmp_lt_f32_e32 vcc_lo, 0, v1
	v_cndmask_b32_e32 v1, v2, v1, vcc_lo
	s_delay_alu instid0(VALU_DEP_1) | instskip(SKIP_1) | instid1(VALU_DEP_2)
	v_bfe_u32 v2, v1, 16, 1
	v_cmp_o_f32_e32 vcc_lo, v1, v1
	v_add3_u32 v2, v1, v2, 0x7fff
	s_delay_alu instid0(VALU_DEP_1) | instskip(NEXT) | instid1(VALU_DEP_1)
	v_lshrrev_b32_e32 v2, 16, v2
	v_cndmask_b32_e32 v1, 0x7fc0, v2, vcc_lo
	global_store_b16 v4, v1, s[0:1]
	s_wait_xcnt 0x0
	s_or_b32 exec_lo, exec_lo, s5
	s_delay_alu instid0(SALU_CYCLE_1)
	s_mov_b32 s5, exec_lo
	v_cmpx_gt_i32_e64 s33, v0
	s_cbranch_execz .LBB36_3
.LBB36_17:
	s_and_not1_b32 vcc_lo, exec_lo, s28
	s_cbranch_vccnz .LBB36_23
; %bb.18:
	s_and_not1_b32 vcc_lo, exec_lo, s34
	s_cbranch_vccnz .LBB36_24
; %bb.19:
	v_dual_mov_b32 v4, 0 :: v_dual_mov_b32 v1, v0
	v_dual_mov_b32 v6, 0 :: v_dual_mov_b32 v5, 0
	s_add_co_i32 s16, s31, 1
	s_mov_b64 s[24:25], 0xffffffffffffffe8
	s_and_b32 s16, s16, 30
	s_add_nc_u64 s[24:25], s[12:13], s[24:25]
.LBB36_20:                              ; =>This Inner Loop Header: Depth=1
	s_clause 0x1
	s_load_b128 s[36:39], s[24:25], 0x1c
	s_load_b64 s[44:45], s[24:25], 0x2c
	s_add_co_i32 s16, s16, -2
	s_delay_alu instid0(SALU_CYCLE_1) | instskip(SKIP_2) | instid1(VALU_DEP_1)
	s_cmp_eq_u32 s16, 0
	s_wait_kmcnt 0x0
	v_mul_hi_u32 v2, s37, v1
	v_add_nc_u32_e32 v2, v1, v2
	s_delay_alu instid0(VALU_DEP_1) | instskip(NEXT) | instid1(VALU_DEP_1)
	v_lshrrev_b32_e32 v2, s38, v2
	v_mul_hi_u32 v3, s44, v2
	v_mul_lo_u32 v7, v2, s36
	s_clause 0x1
	s_load_b128 s[40:43], s[24:25], 0xdc
	s_load_b64 s[36:37], s[24:25], 0xec
	s_wait_xcnt 0x0
	s_add_nc_u64 s[24:25], s[24:25], 24
	s_delay_alu instid0(VALU_DEP_2) | instskip(NEXT) | instid1(VALU_DEP_2)
	v_add_nc_u32_e32 v3, v2, v3
	v_sub_nc_u32_e32 v7, v1, v7
	s_delay_alu instid0(VALU_DEP_2) | instskip(SKIP_1) | instid1(VALU_DEP_2)
	v_lshrrev_b32_e32 v1, s45, v3
	s_wait_kmcnt 0x0
	v_mad_u32 v4, v7, s40, v4
	s_delay_alu instid0(VALU_DEP_2) | instskip(SKIP_2) | instid1(VALU_DEP_3)
	v_mul_lo_u32 v3, v1, s39
	v_mad_u32 v5, v7, s42, v5
	v_mad_u32 v6, v7, s41, v6
	v_sub_nc_u32_e32 v2, v2, v3
	s_delay_alu instid0(VALU_DEP_1) | instskip(NEXT) | instid1(VALU_DEP_4)
	v_mad_u32 v4, v2, s43, v4
	v_mad_u32 v5, v2, s37, v5
	s_delay_alu instid0(VALU_DEP_4)
	v_mad_u32 v6, v2, s36, v6
	s_cbranch_scc0 .LBB36_20
; %bb.21:
	s_bitcmp1_b32 s31, 0
	s_cselect_b32 s16, -1, 0
	s_delay_alu instid0(SALU_CYCLE_1)
	s_and_b32 vcc_lo, exec_lo, s16
	s_cbranch_vccnz .LBB36_25
; %bb.22:
	s_clause 0x1
	s_load_b96 s[36:38], s[24:25], 0x1c
	s_load_b96 s[40:42], s[24:25], 0xdc
	s_wait_kmcnt 0x0
	v_mul_hi_u32 v2, s37, v1
	s_delay_alu instid0(VALU_DEP_1) | instskip(NEXT) | instid1(VALU_DEP_1)
	v_add_nc_u32_e32 v2, v1, v2
	v_lshrrev_b32_e32 v2, s38, v2
	s_delay_alu instid0(VALU_DEP_1) | instskip(NEXT) | instid1(VALU_DEP_1)
	v_mul_lo_u32 v2, v2, s36
	v_sub_nc_u32_e32 v1, v1, v2
	s_delay_alu instid0(VALU_DEP_1)
	v_mad_u32 v4, v1, s40, v4
	v_mad_u32 v6, v1, s41, v6
	;; [unrolled: 1-line block ×3, first 2 shown]
	s_branch .LBB36_25
.LBB36_23:
                                        ; implicit-def: $vgpr5
                                        ; implicit-def: $vgpr6
                                        ; implicit-def: $vgpr4
	s_branch .LBB36_26
.LBB36_24:
	v_dual_mov_b32 v5, 0 :: v_dual_mov_b32 v6, 0
	v_mov_b32_e32 v4, 0
.LBB36_25:
	s_cbranch_execnz .LBB36_28
.LBB36_26:
	v_mov_b32_e32 v1, 0
	s_and_not1_b32 vcc_lo, exec_lo, s30
	s_delay_alu instid0(VALU_DEP_1) | instskip(NEXT) | instid1(VALU_DEP_1)
	v_mul_u64_e32 v[2:3], s[20:21], v[0:1]
	v_add_nc_u32_e32 v2, v0, v3
	s_delay_alu instid0(VALU_DEP_1) | instskip(NEXT) | instid1(VALU_DEP_1)
	v_lshrrev_b32_e32 v2, s6, v2
	v_mul_lo_u32 v3, v2, s4
	s_delay_alu instid0(VALU_DEP_1) | instskip(NEXT) | instid1(VALU_DEP_1)
	v_sub_nc_u32_e32 v3, v0, v3
	v_mul_lo_u32 v4, v3, s8
	v_mul_lo_u32 v5, v3, s10
	;; [unrolled: 1-line block ×3, first 2 shown]
	s_cbranch_vccnz .LBB36_28
; %bb.27:
	v_mov_b32_e32 v3, v1
	s_delay_alu instid0(VALU_DEP_1) | instskip(NEXT) | instid1(VALU_DEP_1)
	v_mul_u64_e32 v[8:9], s[22:23], v[2:3]
	v_add_nc_u32_e32 v1, v2, v9
	s_delay_alu instid0(VALU_DEP_1) | instskip(NEXT) | instid1(VALU_DEP_1)
	v_lshrrev_b32_e32 v1, s17, v1
	v_mul_lo_u32 v1, v1, s7
	s_delay_alu instid0(VALU_DEP_1) | instskip(NEXT) | instid1(VALU_DEP_1)
	v_sub_nc_u32_e32 v1, v2, v1
	v_mad_u32 v4, v1, s11, v4
	v_mad_u32 v6, v1, s18, v6
	;; [unrolled: 1-line block ×3, first 2 shown]
.LBB36_28:
	global_load_u16 v1, v6, s[2:3]
	global_load_b32 v2, v5, s[14:15]
	v_add_nc_u32_e32 v0, 0x80, v0
	s_wait_loadcnt 0x1
	v_lshlrev_b32_e32 v1, 16, v1
	s_wait_loadcnt 0x0
	s_delay_alu instid0(VALU_DEP_1) | instskip(SKIP_1) | instid1(VALU_DEP_2)
	v_mul_f32_e32 v2, v2, v1
	v_cmp_lt_f32_e32 vcc_lo, 0, v1
	v_cndmask_b32_e32 v1, v2, v1, vcc_lo
	s_delay_alu instid0(VALU_DEP_1) | instskip(SKIP_1) | instid1(VALU_DEP_2)
	v_bfe_u32 v2, v1, 16, 1
	v_cmp_o_f32_e32 vcc_lo, v1, v1
	v_add3_u32 v2, v1, v2, 0x7fff
	s_delay_alu instid0(VALU_DEP_1) | instskip(NEXT) | instid1(VALU_DEP_1)
	v_lshrrev_b32_e32 v2, 16, v2
	v_cndmask_b32_e32 v1, 0x7fc0, v2, vcc_lo
	global_store_b16 v4, v1, s[0:1]
	s_wait_xcnt 0x0
	s_or_b32 exec_lo, exec_lo, s5
	s_delay_alu instid0(SALU_CYCLE_1)
	s_mov_b32 s5, exec_lo
	v_cmpx_gt_i32_e64 s33, v0
	s_cbranch_execz .LBB36_4
.LBB36_29:
	s_and_not1_b32 vcc_lo, exec_lo, s28
	s_cbranch_vccnz .LBB36_35
; %bb.30:
	s_and_not1_b32 vcc_lo, exec_lo, s34
	s_cbranch_vccnz .LBB36_36
; %bb.31:
	v_dual_mov_b32 v4, 0 :: v_dual_mov_b32 v1, v0
	v_dual_mov_b32 v6, 0 :: v_dual_mov_b32 v5, 0
	s_add_co_i32 s16, s31, 1
	s_mov_b64 s[24:25], 0xffffffffffffffe8
	s_and_b32 s16, s16, 30
	s_add_nc_u64 s[24:25], s[12:13], s[24:25]
.LBB36_32:                              ; =>This Inner Loop Header: Depth=1
	s_clause 0x1
	s_load_b128 s[36:39], s[24:25], 0x1c
	s_load_b64 s[44:45], s[24:25], 0x2c
	s_add_co_i32 s16, s16, -2
	s_delay_alu instid0(SALU_CYCLE_1) | instskip(SKIP_2) | instid1(VALU_DEP_1)
	s_cmp_eq_u32 s16, 0
	s_wait_kmcnt 0x0
	v_mul_hi_u32 v2, s37, v1
	v_add_nc_u32_e32 v2, v1, v2
	s_delay_alu instid0(VALU_DEP_1) | instskip(NEXT) | instid1(VALU_DEP_1)
	v_lshrrev_b32_e32 v2, s38, v2
	v_mul_hi_u32 v3, s44, v2
	v_mul_lo_u32 v7, v2, s36
	s_clause 0x1
	s_load_b128 s[40:43], s[24:25], 0xdc
	s_load_b64 s[36:37], s[24:25], 0xec
	s_wait_xcnt 0x0
	s_add_nc_u64 s[24:25], s[24:25], 24
	s_delay_alu instid0(VALU_DEP_2) | instskip(NEXT) | instid1(VALU_DEP_2)
	v_add_nc_u32_e32 v3, v2, v3
	v_sub_nc_u32_e32 v7, v1, v7
	s_delay_alu instid0(VALU_DEP_2) | instskip(SKIP_1) | instid1(VALU_DEP_2)
	v_lshrrev_b32_e32 v1, s45, v3
	s_wait_kmcnt 0x0
	v_mad_u32 v4, v7, s40, v4
	s_delay_alu instid0(VALU_DEP_2) | instskip(SKIP_2) | instid1(VALU_DEP_3)
	v_mul_lo_u32 v3, v1, s39
	v_mad_u32 v5, v7, s42, v5
	v_mad_u32 v6, v7, s41, v6
	v_sub_nc_u32_e32 v2, v2, v3
	s_delay_alu instid0(VALU_DEP_1) | instskip(NEXT) | instid1(VALU_DEP_4)
	v_mad_u32 v4, v2, s43, v4
	v_mad_u32 v5, v2, s37, v5
	s_delay_alu instid0(VALU_DEP_4)
	v_mad_u32 v6, v2, s36, v6
	s_cbranch_scc0 .LBB36_32
; %bb.33:
	s_bitcmp1_b32 s31, 0
	s_cselect_b32 s16, -1, 0
	s_delay_alu instid0(SALU_CYCLE_1)
	s_and_b32 vcc_lo, exec_lo, s16
	s_cbranch_vccnz .LBB36_37
; %bb.34:
	s_clause 0x1
	s_load_b96 s[36:38], s[24:25], 0x1c
	s_load_b96 s[40:42], s[24:25], 0xdc
	s_wait_kmcnt 0x0
	v_mul_hi_u32 v2, s37, v1
	s_delay_alu instid0(VALU_DEP_1) | instskip(NEXT) | instid1(VALU_DEP_1)
	v_add_nc_u32_e32 v2, v1, v2
	v_lshrrev_b32_e32 v2, s38, v2
	s_delay_alu instid0(VALU_DEP_1) | instskip(NEXT) | instid1(VALU_DEP_1)
	v_mul_lo_u32 v2, v2, s36
	v_sub_nc_u32_e32 v1, v1, v2
	s_delay_alu instid0(VALU_DEP_1)
	v_mad_u32 v4, v1, s40, v4
	v_mad_u32 v6, v1, s41, v6
	;; [unrolled: 1-line block ×3, first 2 shown]
	s_branch .LBB36_37
.LBB36_35:
                                        ; implicit-def: $vgpr5
                                        ; implicit-def: $vgpr6
                                        ; implicit-def: $vgpr4
	s_branch .LBB36_38
.LBB36_36:
	v_dual_mov_b32 v5, 0 :: v_dual_mov_b32 v6, 0
	v_mov_b32_e32 v4, 0
.LBB36_37:
	s_cbranch_execnz .LBB36_40
.LBB36_38:
	v_mov_b32_e32 v1, 0
	s_and_not1_b32 vcc_lo, exec_lo, s30
	s_delay_alu instid0(VALU_DEP_1) | instskip(NEXT) | instid1(VALU_DEP_1)
	v_mul_u64_e32 v[2:3], s[20:21], v[0:1]
	v_add_nc_u32_e32 v2, v0, v3
	s_delay_alu instid0(VALU_DEP_1) | instskip(NEXT) | instid1(VALU_DEP_1)
	v_lshrrev_b32_e32 v2, s6, v2
	v_mul_lo_u32 v3, v2, s4
	s_delay_alu instid0(VALU_DEP_1) | instskip(NEXT) | instid1(VALU_DEP_1)
	v_sub_nc_u32_e32 v3, v0, v3
	v_mul_lo_u32 v4, v3, s8
	v_mul_lo_u32 v5, v3, s10
	;; [unrolled: 1-line block ×3, first 2 shown]
	s_cbranch_vccnz .LBB36_40
; %bb.39:
	v_mov_b32_e32 v3, v1
	s_delay_alu instid0(VALU_DEP_1) | instskip(NEXT) | instid1(VALU_DEP_1)
	v_mul_u64_e32 v[8:9], s[22:23], v[2:3]
	v_add_nc_u32_e32 v1, v2, v9
	s_delay_alu instid0(VALU_DEP_1) | instskip(NEXT) | instid1(VALU_DEP_1)
	v_lshrrev_b32_e32 v1, s17, v1
	v_mul_lo_u32 v1, v1, s7
	s_delay_alu instid0(VALU_DEP_1) | instskip(NEXT) | instid1(VALU_DEP_1)
	v_sub_nc_u32_e32 v1, v2, v1
	v_mad_u32 v4, v1, s11, v4
	v_mad_u32 v6, v1, s18, v6
	;; [unrolled: 1-line block ×3, first 2 shown]
.LBB36_40:
	global_load_u16 v1, v6, s[2:3]
	global_load_b32 v2, v5, s[14:15]
	v_add_nc_u32_e32 v0, 0x80, v0
	s_wait_loadcnt 0x1
	v_lshlrev_b32_e32 v1, 16, v1
	s_wait_loadcnt 0x0
	s_delay_alu instid0(VALU_DEP_1) | instskip(SKIP_1) | instid1(VALU_DEP_2)
	v_mul_f32_e32 v2, v2, v1
	v_cmp_lt_f32_e32 vcc_lo, 0, v1
	v_cndmask_b32_e32 v1, v2, v1, vcc_lo
	s_delay_alu instid0(VALU_DEP_1) | instskip(SKIP_1) | instid1(VALU_DEP_2)
	v_bfe_u32 v2, v1, 16, 1
	v_cmp_o_f32_e32 vcc_lo, v1, v1
	v_add3_u32 v2, v1, v2, 0x7fff
	s_delay_alu instid0(VALU_DEP_1) | instskip(NEXT) | instid1(VALU_DEP_1)
	v_lshrrev_b32_e32 v2, 16, v2
	v_cndmask_b32_e32 v1, 0x7fc0, v2, vcc_lo
	global_store_b16 v4, v1, s[0:1]
	s_wait_xcnt 0x0
	s_or_b32 exec_lo, exec_lo, s5
	s_delay_alu instid0(SALU_CYCLE_1)
	s_mov_b32 s5, exec_lo
	v_cmpx_gt_i32_e64 s33, v0
	s_cbranch_execz .LBB36_53
.LBB36_41:
	s_and_not1_b32 vcc_lo, exec_lo, s28
	s_cbranch_vccnz .LBB36_47
; %bb.42:
	s_and_not1_b32 vcc_lo, exec_lo, s34
	s_cbranch_vccnz .LBB36_48
; %bb.43:
	v_dual_mov_b32 v4, 0 :: v_dual_mov_b32 v1, v0
	v_dual_mov_b32 v6, 0 :: v_dual_mov_b32 v5, 0
	s_add_co_i32 s16, s31, 1
	s_mov_b64 s[24:25], 0xffffffffffffffe8
	s_and_b32 s16, s16, 30
	s_add_nc_u64 s[24:25], s[12:13], s[24:25]
.LBB36_44:                              ; =>This Inner Loop Header: Depth=1
	s_clause 0x1
	s_load_b128 s[36:39], s[24:25], 0x1c
	s_load_b64 s[34:35], s[24:25], 0x2c
	s_add_co_i32 s16, s16, -2
	s_delay_alu instid0(SALU_CYCLE_1) | instskip(SKIP_2) | instid1(VALU_DEP_1)
	s_cmp_eq_u32 s16, 0
	s_wait_kmcnt 0x0
	v_mul_hi_u32 v2, s37, v1
	v_add_nc_u32_e32 v2, v1, v2
	s_delay_alu instid0(VALU_DEP_1) | instskip(NEXT) | instid1(VALU_DEP_1)
	v_lshrrev_b32_e32 v2, s38, v2
	v_mul_hi_u32 v3, s34, v2
	v_mul_lo_u32 v7, v2, s36
	s_clause 0x1
	s_load_b128 s[40:43], s[24:25], 0xdc
	s_load_b64 s[36:37], s[24:25], 0xec
	s_wait_xcnt 0x0
	s_add_nc_u64 s[24:25], s[24:25], 24
	s_delay_alu instid0(VALU_DEP_2) | instskip(NEXT) | instid1(VALU_DEP_2)
	v_add_nc_u32_e32 v3, v2, v3
	v_sub_nc_u32_e32 v7, v1, v7
	s_delay_alu instid0(VALU_DEP_2) | instskip(SKIP_1) | instid1(VALU_DEP_2)
	v_lshrrev_b32_e32 v1, s35, v3
	s_wait_kmcnt 0x0
	v_mad_u32 v4, v7, s40, v4
	s_delay_alu instid0(VALU_DEP_2) | instskip(SKIP_2) | instid1(VALU_DEP_3)
	v_mul_lo_u32 v3, v1, s39
	v_mad_u32 v5, v7, s42, v5
	v_mad_u32 v6, v7, s41, v6
	v_sub_nc_u32_e32 v2, v2, v3
	s_delay_alu instid0(VALU_DEP_1) | instskip(NEXT) | instid1(VALU_DEP_4)
	v_mad_u32 v4, v2, s43, v4
	v_mad_u32 v5, v2, s37, v5
	s_delay_alu instid0(VALU_DEP_4)
	v_mad_u32 v6, v2, s36, v6
	s_cbranch_scc0 .LBB36_44
; %bb.45:
	s_bitcmp1_b32 s31, 0
	s_cselect_b32 s16, -1, 0
	s_delay_alu instid0(SALU_CYCLE_1)
	s_and_b32 vcc_lo, exec_lo, s16
	s_cbranch_vccnz .LBB36_49
; %bb.46:
	s_clause 0x1
	s_load_b96 s[36:38], s[24:25], 0x1c
	s_load_b96 s[40:42], s[24:25], 0xdc
	s_wait_kmcnt 0x0
	v_mul_hi_u32 v2, s37, v1
	s_delay_alu instid0(VALU_DEP_1) | instskip(NEXT) | instid1(VALU_DEP_1)
	v_add_nc_u32_e32 v2, v1, v2
	v_lshrrev_b32_e32 v2, s38, v2
	s_delay_alu instid0(VALU_DEP_1) | instskip(NEXT) | instid1(VALU_DEP_1)
	v_mul_lo_u32 v2, v2, s36
	v_sub_nc_u32_e32 v1, v1, v2
	s_delay_alu instid0(VALU_DEP_1)
	v_mad_u32 v4, v1, s40, v4
	v_mad_u32 v6, v1, s41, v6
	;; [unrolled: 1-line block ×3, first 2 shown]
	s_branch .LBB36_49
.LBB36_47:
                                        ; implicit-def: $vgpr5
                                        ; implicit-def: $vgpr6
                                        ; implicit-def: $vgpr4
	s_branch .LBB36_50
.LBB36_48:
	v_dual_mov_b32 v5, 0 :: v_dual_mov_b32 v6, 0
	v_mov_b32_e32 v4, 0
.LBB36_49:
	s_cbranch_execnz .LBB36_52
.LBB36_50:
	v_mov_b32_e32 v1, 0
	s_and_not1_b32 vcc_lo, exec_lo, s30
	s_delay_alu instid0(VALU_DEP_1) | instskip(NEXT) | instid1(VALU_DEP_1)
	v_mul_u64_e32 v[2:3], s[20:21], v[0:1]
	v_add_nc_u32_e32 v2, v0, v3
	s_delay_alu instid0(VALU_DEP_1) | instskip(NEXT) | instid1(VALU_DEP_1)
	v_lshrrev_b32_e32 v2, s6, v2
	v_mul_lo_u32 v3, v2, s4
	s_delay_alu instid0(VALU_DEP_1) | instskip(NEXT) | instid1(VALU_DEP_1)
	v_sub_nc_u32_e32 v0, v0, v3
	v_mul_lo_u32 v4, v0, s8
	v_mul_lo_u32 v5, v0, s10
	;; [unrolled: 1-line block ×3, first 2 shown]
	s_cbranch_vccnz .LBB36_52
; %bb.51:
	v_mov_b32_e32 v3, v1
	s_delay_alu instid0(VALU_DEP_1) | instskip(NEXT) | instid1(VALU_DEP_1)
	v_mul_u64_e32 v[0:1], s[22:23], v[2:3]
	v_add_nc_u32_e32 v0, v2, v1
	s_delay_alu instid0(VALU_DEP_1) | instskip(NEXT) | instid1(VALU_DEP_1)
	v_lshrrev_b32_e32 v0, s17, v0
	v_mul_lo_u32 v0, v0, s7
	s_delay_alu instid0(VALU_DEP_1) | instskip(NEXT) | instid1(VALU_DEP_1)
	v_sub_nc_u32_e32 v0, v2, v0
	v_mad_u32 v4, v0, s11, v4
	v_mad_u32 v6, v0, s18, v6
	;; [unrolled: 1-line block ×3, first 2 shown]
.LBB36_52:
	global_load_u16 v0, v6, s[2:3]
	global_load_b32 v1, v5, s[14:15]
	s_wait_loadcnt 0x1
	v_lshlrev_b32_e32 v0, 16, v0
	s_wait_loadcnt 0x0
	s_delay_alu instid0(VALU_DEP_1) | instskip(SKIP_1) | instid1(VALU_DEP_2)
	v_mul_f32_e32 v1, v1, v0
	v_cmp_lt_f32_e32 vcc_lo, 0, v0
	v_cndmask_b32_e32 v0, v1, v0, vcc_lo
	s_delay_alu instid0(VALU_DEP_1) | instskip(SKIP_1) | instid1(VALU_DEP_2)
	v_bfe_u32 v1, v0, 16, 1
	v_cmp_o_f32_e32 vcc_lo, v0, v0
	v_add3_u32 v1, v0, v1, 0x7fff
	s_delay_alu instid0(VALU_DEP_1) | instskip(NEXT) | instid1(VALU_DEP_1)
	v_lshrrev_b32_e32 v1, 16, v1
	v_cndmask_b32_e32 v0, 0x7fc0, v1, vcc_lo
	global_store_b16 v4, v0, s[0:1]
.LBB36_53:
	s_wait_xcnt 0x0
	s_or_b32 exec_lo, exec_lo, s5
                                        ; implicit-def: $vgpr4
                                        ; implicit-def: $vgpr0
.LBB36_54:
	s_and_not1_saveexec_b32 s0, s29
	s_cbranch_execz .LBB36_61
; %bb.55:
	v_cndmask_b32_e64 v6, 0, 1, s28
	s_and_not1_b32 vcc_lo, exec_lo, s28
	s_cbranch_vccnz .LBB36_62
; %bb.56:
	s_cmp_lg_u32 s26, 0
	s_mov_b32 s2, 0
	s_cbranch_scc0 .LBB36_66
; %bb.57:
	s_min_u32 s3, s27, 15
	v_dual_mov_b32 v1, 0 :: v_dual_mov_b32 v5, v0
	v_dual_mov_b32 v3, 0 :: v_dual_mov_b32 v2, 0
	s_add_co_i32 s4, s3, 1
	s_mov_b64 s[0:1], 0xffffffffffffffe8
	s_and_b32 s4, s4, 30
	s_add_nc_u64 s[0:1], s[12:13], s[0:1]
.LBB36_58:                              ; =>This Inner Loop Header: Depth=1
	s_clause 0x1
	s_load_b128 s[8:11], s[0:1], 0x1c
	s_load_b64 s[6:7], s[0:1], 0x2c
	s_add_co_i32 s4, s4, -2
	s_delay_alu instid0(SALU_CYCLE_1) | instskip(SKIP_2) | instid1(VALU_DEP_1)
	s_cmp_lg_u32 s4, 0
	s_wait_kmcnt 0x0
	v_mul_hi_u32 v7, s9, v5
	v_add_nc_u32_e32 v7, v5, v7
	s_delay_alu instid0(VALU_DEP_1) | instskip(NEXT) | instid1(VALU_DEP_1)
	v_lshrrev_b32_e32 v7, s10, v7
	v_mul_hi_u32 v8, s6, v7
	v_mul_lo_u32 v9, v7, s8
	s_clause 0x1
	s_load_b128 s[16:19], s[0:1], 0xdc
	s_load_b64 s[8:9], s[0:1], 0xec
	s_wait_xcnt 0x0
	s_add_nc_u64 s[0:1], s[0:1], 24
	s_delay_alu instid0(VALU_DEP_1) | instskip(NEXT) | instid1(VALU_DEP_1)
	v_dual_add_nc_u32 v8, v7, v8 :: v_dual_sub_nc_u32 v9, v5, v9
	v_lshrrev_b32_e32 v5, s7, v8
	s_wait_kmcnt 0x0
	s_delay_alu instid0(VALU_DEP_2) | instskip(NEXT) | instid1(VALU_DEP_2)
	v_mad_u32 v1, v9, s16, v1
	v_mul_lo_u32 v8, v5, s11
	v_mad_u32 v2, v9, s18, v2
	v_mad_u32 v3, v9, s17, v3
	s_delay_alu instid0(VALU_DEP_3) | instskip(NEXT) | instid1(VALU_DEP_1)
	v_sub_nc_u32_e32 v7, v7, v8
	v_mad_u32 v1, v7, s19, v1
	s_delay_alu instid0(VALU_DEP_4) | instskip(NEXT) | instid1(VALU_DEP_4)
	v_mad_u32 v2, v7, s9, v2
	v_mad_u32 v3, v7, s8, v3
	s_cbranch_scc1 .LBB36_58
; %bb.59:
	s_bitcmp1_b32 s3, 0
	s_cselect_b32 s3, -1, 0
	s_delay_alu instid0(SALU_CYCLE_1)
	s_and_b32 vcc_lo, exec_lo, s3
	s_cbranch_vccnz .LBB36_63
; %bb.60:
	s_clause 0x1
	s_load_b96 s[4:6], s[0:1], 0x1c
	s_load_b96 s[8:10], s[0:1], 0xdc
	s_wait_kmcnt 0x0
	v_mul_hi_u32 v7, s5, v5
	s_delay_alu instid0(VALU_DEP_1) | instskip(NEXT) | instid1(VALU_DEP_1)
	v_add_nc_u32_e32 v7, v5, v7
	v_lshrrev_b32_e32 v7, s6, v7
	s_delay_alu instid0(VALU_DEP_1) | instskip(NEXT) | instid1(VALU_DEP_1)
	v_mul_lo_u32 v7, v7, s4
	v_sub_nc_u32_e32 v5, v5, v7
	s_delay_alu instid0(VALU_DEP_1)
	v_mad_u32 v1, v5, s8, v1
	v_mad_u32 v3, v5, s9, v3
	;; [unrolled: 1-line block ×3, first 2 shown]
	s_and_not1_b32 vcc_lo, exec_lo, s2
	s_cbranch_vccz .LBB36_64
	s_branch .LBB36_67
.LBB36_61:
	s_endpgm
.LBB36_62:
	s_mov_b32 s2, -1
                                        ; implicit-def: $vgpr2
                                        ; implicit-def: $vgpr3
                                        ; implicit-def: $vgpr1
.LBB36_63:
	s_delay_alu instid0(SALU_CYCLE_1)
	s_and_not1_b32 vcc_lo, exec_lo, s2
	s_cbranch_vccnz .LBB36_67
.LBB36_64:
	s_clause 0x1
	s_load_b96 s[0:2], s[12:13], 0x4
	s_load_b96 s[4:6], s[12:13], 0xc4
	s_cmp_lt_u32 s26, 2
	s_wait_kmcnt 0x0
	v_mul_hi_u32 v1, s1, v0
	s_delay_alu instid0(VALU_DEP_1) | instskip(NEXT) | instid1(VALU_DEP_1)
	v_add_nc_u32_e32 v1, v0, v1
	v_lshrrev_b32_e32 v5, s2, v1
	s_delay_alu instid0(VALU_DEP_1) | instskip(NEXT) | instid1(VALU_DEP_1)
	v_mul_lo_u32 v1, v5, s0
	v_sub_nc_u32_e32 v3, v0, v1
	s_delay_alu instid0(VALU_DEP_1)
	v_mul_lo_u32 v1, v3, s4
	v_mul_lo_u32 v2, v3, s6
	;; [unrolled: 1-line block ×3, first 2 shown]
	s_cbranch_scc1 .LBB36_67
; %bb.65:
	s_clause 0x1
	s_load_b96 s[0:2], s[12:13], 0x10
	s_load_b96 s[4:6], s[12:13], 0xd0
	s_wait_kmcnt 0x0
	v_mul_hi_u32 v7, s1, v5
	s_delay_alu instid0(VALU_DEP_1) | instskip(NEXT) | instid1(VALU_DEP_1)
	v_add_nc_u32_e32 v7, v5, v7
	v_lshrrev_b32_e32 v7, s2, v7
	s_delay_alu instid0(VALU_DEP_1) | instskip(NEXT) | instid1(VALU_DEP_1)
	v_mul_lo_u32 v7, v7, s0
	v_sub_nc_u32_e32 v5, v5, v7
	s_delay_alu instid0(VALU_DEP_1)
	v_mad_u32 v1, v5, s4, v1
	v_mad_u32 v3, v5, s5, v3
	;; [unrolled: 1-line block ×3, first 2 shown]
	s_branch .LBB36_67
.LBB36_66:
	v_dual_mov_b32 v2, 0 :: v_dual_mov_b32 v3, 0
	v_mov_b32_e32 v1, 0
	s_and_not1_b32 vcc_lo, exec_lo, s2
	s_cbranch_vccz .LBB36_64
.LBB36_67:
	v_cmp_ne_u32_e32 vcc_lo, 1, v6
	v_add_nc_u32_e32 v9, 0x80, v0
	s_cbranch_vccnz .LBB36_73
; %bb.68:
	s_cmp_lg_u32 s26, 0
	s_mov_b32 s2, 0
	s_cbranch_scc0 .LBB36_77
; %bb.69:
	s_min_u32 s3, s27, 15
	v_dual_mov_b32 v5, 0 :: v_dual_mov_b32 v10, v9
	v_dual_mov_b32 v8, 0 :: v_dual_mov_b32 v7, 0
	s_add_co_i32 s4, s3, 1
	s_mov_b64 s[0:1], 0xffffffffffffffe8
	s_and_b32 s4, s4, 30
	s_add_nc_u64 s[0:1], s[12:13], s[0:1]
.LBB36_70:                              ; =>This Inner Loop Header: Depth=1
	s_clause 0x1
	s_load_b128 s[8:11], s[0:1], 0x1c
	s_load_b64 s[6:7], s[0:1], 0x2c
	s_add_co_i32 s4, s4, -2
	s_delay_alu instid0(SALU_CYCLE_1) | instskip(SKIP_2) | instid1(VALU_DEP_1)
	s_cmp_lg_u32 s4, 0
	s_wait_kmcnt 0x0
	v_mul_hi_u32 v11, s9, v10
	v_add_nc_u32_e32 v11, v10, v11
	s_delay_alu instid0(VALU_DEP_1) | instskip(NEXT) | instid1(VALU_DEP_1)
	v_lshrrev_b32_e32 v11, s10, v11
	v_mul_hi_u32 v12, s6, v11
	v_mul_lo_u32 v13, v11, s8
	s_clause 0x1
	s_load_b128 s[16:19], s[0:1], 0xdc
	s_load_b64 s[8:9], s[0:1], 0xec
	s_wait_xcnt 0x0
	s_add_nc_u64 s[0:1], s[0:1], 24
	s_delay_alu instid0(VALU_DEP_1) | instskip(NEXT) | instid1(VALU_DEP_1)
	v_dual_add_nc_u32 v12, v11, v12 :: v_dual_sub_nc_u32 v13, v10, v13
	v_lshrrev_b32_e32 v10, s7, v12
	s_wait_kmcnt 0x0
	s_delay_alu instid0(VALU_DEP_2) | instskip(NEXT) | instid1(VALU_DEP_2)
	v_mad_u32 v5, v13, s16, v5
	v_mul_lo_u32 v12, v10, s11
	v_mad_u32 v7, v13, s18, v7
	v_mad_u32 v8, v13, s17, v8
	s_delay_alu instid0(VALU_DEP_3) | instskip(NEXT) | instid1(VALU_DEP_1)
	v_sub_nc_u32_e32 v11, v11, v12
	v_mad_u32 v5, v11, s19, v5
	s_delay_alu instid0(VALU_DEP_4) | instskip(NEXT) | instid1(VALU_DEP_4)
	v_mad_u32 v7, v11, s9, v7
	v_mad_u32 v8, v11, s8, v8
	s_cbranch_scc1 .LBB36_70
; %bb.71:
	s_bitcmp1_b32 s3, 0
	s_cselect_b32 s3, -1, 0
	s_delay_alu instid0(SALU_CYCLE_1)
	s_and_b32 vcc_lo, exec_lo, s3
	s_cbranch_vccnz .LBB36_74
; %bb.72:
	s_clause 0x1
	s_load_b96 s[4:6], s[0:1], 0x1c
	s_load_b96 s[8:10], s[0:1], 0xdc
	s_wait_kmcnt 0x0
	v_mul_hi_u32 v11, s5, v10
	s_delay_alu instid0(VALU_DEP_1) | instskip(NEXT) | instid1(VALU_DEP_1)
	v_add_nc_u32_e32 v11, v10, v11
	v_lshrrev_b32_e32 v11, s6, v11
	s_delay_alu instid0(VALU_DEP_1) | instskip(NEXT) | instid1(VALU_DEP_1)
	v_mul_lo_u32 v11, v11, s4
	v_sub_nc_u32_e32 v10, v10, v11
	s_delay_alu instid0(VALU_DEP_1)
	v_mad_u32 v5, v10, s8, v5
	v_mad_u32 v8, v10, s9, v8
	;; [unrolled: 1-line block ×3, first 2 shown]
	s_and_not1_b32 vcc_lo, exec_lo, s2
	s_cbranch_vccz .LBB36_75
	s_branch .LBB36_78
.LBB36_73:
	s_mov_b32 s2, -1
                                        ; implicit-def: $vgpr7
                                        ; implicit-def: $vgpr8
                                        ; implicit-def: $vgpr5
.LBB36_74:
	s_delay_alu instid0(SALU_CYCLE_1)
	s_and_not1_b32 vcc_lo, exec_lo, s2
	s_cbranch_vccnz .LBB36_78
.LBB36_75:
	s_clause 0x1
	s_load_b96 s[0:2], s[12:13], 0x4
	s_load_b96 s[4:6], s[12:13], 0xc4
	s_cmp_lt_u32 s26, 2
	s_wait_kmcnt 0x0
	v_mul_hi_u32 v5, s1, v9
	s_delay_alu instid0(VALU_DEP_1) | instskip(NEXT) | instid1(VALU_DEP_1)
	v_add_nc_u32_e32 v5, v9, v5
	v_lshrrev_b32_e32 v10, s2, v5
	s_delay_alu instid0(VALU_DEP_1) | instskip(NEXT) | instid1(VALU_DEP_1)
	v_mul_lo_u32 v5, v10, s0
	v_sub_nc_u32_e32 v8, v9, v5
	s_delay_alu instid0(VALU_DEP_1)
	v_mul_lo_u32 v5, v8, s4
	v_mul_lo_u32 v7, v8, s6
	;; [unrolled: 1-line block ×3, first 2 shown]
	s_cbranch_scc1 .LBB36_78
; %bb.76:
	s_clause 0x1
	s_load_b96 s[0:2], s[12:13], 0x10
	s_load_b96 s[4:6], s[12:13], 0xd0
	s_wait_kmcnt 0x0
	v_mul_hi_u32 v9, s1, v10
	s_delay_alu instid0(VALU_DEP_1) | instskip(NEXT) | instid1(VALU_DEP_1)
	v_add_nc_u32_e32 v9, v10, v9
	v_lshrrev_b32_e32 v9, s2, v9
	s_delay_alu instid0(VALU_DEP_1) | instskip(NEXT) | instid1(VALU_DEP_1)
	v_mul_lo_u32 v9, v9, s0
	v_sub_nc_u32_e32 v9, v10, v9
	s_delay_alu instid0(VALU_DEP_1)
	v_mad_u32 v5, v9, s4, v5
	v_mad_u32 v8, v9, s5, v8
	;; [unrolled: 1-line block ×3, first 2 shown]
	s_branch .LBB36_78
.LBB36_77:
	v_dual_mov_b32 v7, 0 :: v_dual_mov_b32 v8, 0
	v_mov_b32_e32 v5, 0
	s_and_not1_b32 vcc_lo, exec_lo, s2
	s_cbranch_vccz .LBB36_75
.LBB36_78:
	v_cmp_ne_u32_e32 vcc_lo, 1, v6
	v_add_nc_u32_e32 v11, 0x100, v0
	s_cbranch_vccnz .LBB36_84
; %bb.79:
	s_cmp_lg_u32 s26, 0
	s_mov_b32 s2, 0
	s_cbranch_scc0 .LBB36_88
; %bb.80:
	s_min_u32 s3, s27, 15
	v_dual_mov_b32 v0, 0 :: v_dual_mov_b32 v12, v11
	v_dual_mov_b32 v9, 0 :: v_dual_mov_b32 v10, 0
	s_add_co_i32 s4, s3, 1
	s_mov_b64 s[0:1], 0xffffffffffffffe8
	s_and_b32 s4, s4, 30
	s_add_nc_u64 s[0:1], s[12:13], s[0:1]
.LBB36_81:                              ; =>This Inner Loop Header: Depth=1
	s_clause 0x1
	s_load_b128 s[8:11], s[0:1], 0x1c
	s_load_b64 s[6:7], s[0:1], 0x2c
	s_add_co_i32 s4, s4, -2
	s_delay_alu instid0(SALU_CYCLE_1) | instskip(SKIP_2) | instid1(VALU_DEP_1)
	s_cmp_lg_u32 s4, 0
	s_wait_kmcnt 0x0
	v_mul_hi_u32 v13, s9, v12
	v_add_nc_u32_e32 v13, v12, v13
	s_delay_alu instid0(VALU_DEP_1) | instskip(NEXT) | instid1(VALU_DEP_1)
	v_lshrrev_b32_e32 v13, s10, v13
	v_mul_hi_u32 v14, s6, v13
	v_mul_lo_u32 v15, v13, s8
	s_clause 0x1
	s_load_b128 s[16:19], s[0:1], 0xdc
	s_load_b64 s[8:9], s[0:1], 0xec
	s_wait_xcnt 0x0
	s_add_nc_u64 s[0:1], s[0:1], 24
	s_delay_alu instid0(VALU_DEP_1) | instskip(NEXT) | instid1(VALU_DEP_1)
	v_dual_add_nc_u32 v14, v13, v14 :: v_dual_sub_nc_u32 v15, v12, v15
	v_lshrrev_b32_e32 v12, s7, v14
	s_wait_kmcnt 0x0
	s_delay_alu instid0(VALU_DEP_2) | instskip(NEXT) | instid1(VALU_DEP_2)
	v_mad_u32 v0, v15, s16, v0
	v_mul_lo_u32 v14, v12, s11
	v_mad_u32 v10, v15, s18, v10
	v_mad_u32 v9, v15, s17, v9
	s_delay_alu instid0(VALU_DEP_3) | instskip(NEXT) | instid1(VALU_DEP_1)
	v_sub_nc_u32_e32 v13, v13, v14
	v_mad_u32 v0, v13, s19, v0
	s_delay_alu instid0(VALU_DEP_4) | instskip(NEXT) | instid1(VALU_DEP_4)
	v_mad_u32 v10, v13, s9, v10
	v_mad_u32 v9, v13, s8, v9
	s_cbranch_scc1 .LBB36_81
; %bb.82:
	s_bitcmp1_b32 s3, 0
	s_cselect_b32 s3, -1, 0
	s_delay_alu instid0(SALU_CYCLE_1)
	s_and_b32 vcc_lo, exec_lo, s3
	s_cbranch_vccnz .LBB36_85
; %bb.83:
	s_clause 0x1
	s_load_b96 s[4:6], s[0:1], 0x1c
	s_load_b96 s[8:10], s[0:1], 0xdc
	s_wait_kmcnt 0x0
	v_mul_hi_u32 v13, s5, v12
	s_delay_alu instid0(VALU_DEP_1) | instskip(NEXT) | instid1(VALU_DEP_1)
	v_add_nc_u32_e32 v13, v12, v13
	v_lshrrev_b32_e32 v13, s6, v13
	s_delay_alu instid0(VALU_DEP_1) | instskip(NEXT) | instid1(VALU_DEP_1)
	v_mul_lo_u32 v13, v13, s4
	v_sub_nc_u32_e32 v12, v12, v13
	s_delay_alu instid0(VALU_DEP_1)
	v_mad_u32 v0, v12, s8, v0
	v_mad_u32 v9, v12, s9, v9
	;; [unrolled: 1-line block ×3, first 2 shown]
	s_and_not1_b32 vcc_lo, exec_lo, s2
	s_cbranch_vccz .LBB36_86
	s_branch .LBB36_89
.LBB36_84:
	s_mov_b32 s2, -1
                                        ; implicit-def: $vgpr10
                                        ; implicit-def: $vgpr9
                                        ; implicit-def: $vgpr0
.LBB36_85:
	s_delay_alu instid0(SALU_CYCLE_1)
	s_and_not1_b32 vcc_lo, exec_lo, s2
	s_cbranch_vccnz .LBB36_89
.LBB36_86:
	s_clause 0x1
	s_load_b96 s[0:2], s[12:13], 0x4
	s_load_b96 s[4:6], s[12:13], 0xc4
	s_cmp_lt_u32 s26, 2
	s_wait_kmcnt 0x0
	v_mul_hi_u32 v0, s1, v11
	s_delay_alu instid0(VALU_DEP_1) | instskip(NEXT) | instid1(VALU_DEP_1)
	v_add_nc_u32_e32 v0, v11, v0
	v_lshrrev_b32_e32 v12, s2, v0
	s_delay_alu instid0(VALU_DEP_1) | instskip(NEXT) | instid1(VALU_DEP_1)
	v_mul_lo_u32 v0, v12, s0
	v_sub_nc_u32_e32 v9, v11, v0
	s_delay_alu instid0(VALU_DEP_1)
	v_mul_lo_u32 v0, v9, s4
	v_mul_lo_u32 v10, v9, s6
	;; [unrolled: 1-line block ×3, first 2 shown]
	s_cbranch_scc1 .LBB36_89
; %bb.87:
	s_clause 0x1
	s_load_b96 s[0:2], s[12:13], 0x10
	s_load_b96 s[4:6], s[12:13], 0xd0
	s_wait_kmcnt 0x0
	v_mul_hi_u32 v11, s1, v12
	s_delay_alu instid0(VALU_DEP_1) | instskip(NEXT) | instid1(VALU_DEP_1)
	v_add_nc_u32_e32 v11, v12, v11
	v_lshrrev_b32_e32 v11, s2, v11
	s_delay_alu instid0(VALU_DEP_1) | instskip(NEXT) | instid1(VALU_DEP_1)
	v_mul_lo_u32 v11, v11, s0
	v_sub_nc_u32_e32 v11, v12, v11
	s_delay_alu instid0(VALU_DEP_1)
	v_mad_u32 v0, v11, s4, v0
	v_mad_u32 v9, v11, s5, v9
	;; [unrolled: 1-line block ×3, first 2 shown]
	s_branch .LBB36_89
.LBB36_88:
	v_dual_mov_b32 v10, 0 :: v_dual_mov_b32 v9, 0
	v_mov_b32_e32 v0, 0
	s_and_not1_b32 vcc_lo, exec_lo, s2
	s_cbranch_vccz .LBB36_86
.LBB36_89:
	v_cmp_ne_u32_e32 vcc_lo, 1, v6
	s_cbranch_vccnz .LBB36_95
; %bb.90:
	s_cmp_lg_u32 s26, 0
	s_mov_b32 s2, 0
	s_cbranch_scc0 .LBB36_99
; %bb.91:
	s_min_u32 s3, s27, 15
	v_dual_mov_b32 v6, 0 :: v_dual_mov_b32 v13, v4
	v_dual_mov_b32 v12, 0 :: v_dual_mov_b32 v11, 0
	s_add_co_i32 s4, s3, 1
	s_mov_b64 s[0:1], 0xffffffffffffffe8
	s_and_b32 s4, s4, 30
	s_add_nc_u64 s[0:1], s[12:13], s[0:1]
.LBB36_92:                              ; =>This Inner Loop Header: Depth=1
	s_clause 0x1
	s_load_b128 s[8:11], s[0:1], 0x1c
	s_load_b64 s[6:7], s[0:1], 0x2c
	s_add_co_i32 s4, s4, -2
	s_delay_alu instid0(SALU_CYCLE_1) | instskip(SKIP_2) | instid1(VALU_DEP_1)
	s_cmp_lg_u32 s4, 0
	s_wait_kmcnt 0x0
	v_mul_hi_u32 v14, s9, v13
	v_add_nc_u32_e32 v14, v13, v14
	s_delay_alu instid0(VALU_DEP_1) | instskip(NEXT) | instid1(VALU_DEP_1)
	v_lshrrev_b32_e32 v14, s10, v14
	v_mul_hi_u32 v15, s6, v14
	v_mul_lo_u32 v16, v14, s8
	s_clause 0x1
	s_load_b128 s[16:19], s[0:1], 0xdc
	s_load_b64 s[8:9], s[0:1], 0xec
	s_wait_xcnt 0x0
	s_add_nc_u64 s[0:1], s[0:1], 24
	s_delay_alu instid0(VALU_DEP_1) | instskip(NEXT) | instid1(VALU_DEP_1)
	v_dual_add_nc_u32 v15, v14, v15 :: v_dual_sub_nc_u32 v16, v13, v16
	v_lshrrev_b32_e32 v13, s7, v15
	s_wait_kmcnt 0x0
	s_delay_alu instid0(VALU_DEP_2) | instskip(NEXT) | instid1(VALU_DEP_2)
	v_mad_u32 v6, v16, s16, v6
	v_mul_lo_u32 v15, v13, s11
	v_mad_u32 v11, v16, s18, v11
	v_mad_u32 v12, v16, s17, v12
	s_delay_alu instid0(VALU_DEP_3) | instskip(NEXT) | instid1(VALU_DEP_1)
	v_sub_nc_u32_e32 v14, v14, v15
	v_mad_u32 v6, v14, s19, v6
	s_delay_alu instid0(VALU_DEP_4) | instskip(NEXT) | instid1(VALU_DEP_4)
	v_mad_u32 v11, v14, s9, v11
	v_mad_u32 v12, v14, s8, v12
	s_cbranch_scc1 .LBB36_92
; %bb.93:
	s_bitcmp1_b32 s3, 0
	s_cselect_b32 s3, -1, 0
	s_delay_alu instid0(SALU_CYCLE_1)
	s_and_b32 vcc_lo, exec_lo, s3
	s_cbranch_vccnz .LBB36_96
; %bb.94:
	s_clause 0x1
	s_load_b96 s[4:6], s[0:1], 0x1c
	s_load_b96 s[8:10], s[0:1], 0xdc
	s_wait_kmcnt 0x0
	v_mul_hi_u32 v14, s5, v13
	s_delay_alu instid0(VALU_DEP_1) | instskip(NEXT) | instid1(VALU_DEP_1)
	v_add_nc_u32_e32 v14, v13, v14
	v_lshrrev_b32_e32 v14, s6, v14
	s_delay_alu instid0(VALU_DEP_1) | instskip(NEXT) | instid1(VALU_DEP_1)
	v_mul_lo_u32 v14, v14, s4
	v_sub_nc_u32_e32 v13, v13, v14
	s_delay_alu instid0(VALU_DEP_1)
	v_mad_u32 v6, v13, s8, v6
	v_mad_u32 v12, v13, s9, v12
	;; [unrolled: 1-line block ×3, first 2 shown]
	s_and_not1_b32 vcc_lo, exec_lo, s2
	s_cbranch_vccz .LBB36_97
	s_branch .LBB36_100
.LBB36_95:
	s_mov_b32 s2, -1
                                        ; implicit-def: $vgpr11
                                        ; implicit-def: $vgpr12
                                        ; implicit-def: $vgpr6
.LBB36_96:
	s_delay_alu instid0(SALU_CYCLE_1)
	s_and_not1_b32 vcc_lo, exec_lo, s2
	s_cbranch_vccnz .LBB36_100
.LBB36_97:
	s_clause 0x1
	s_load_b96 s[0:2], s[12:13], 0x4
	s_load_b96 s[4:6], s[12:13], 0xc4
	s_cmp_lt_u32 s26, 2
	s_wait_kmcnt 0x0
	v_mul_hi_u32 v6, s1, v4
	s_delay_alu instid0(VALU_DEP_1) | instskip(NEXT) | instid1(VALU_DEP_1)
	v_add_nc_u32_e32 v6, v4, v6
	v_lshrrev_b32_e32 v13, s2, v6
	s_delay_alu instid0(VALU_DEP_1) | instskip(NEXT) | instid1(VALU_DEP_1)
	v_mul_lo_u32 v6, v13, s0
	v_sub_nc_u32_e32 v4, v4, v6
	s_delay_alu instid0(VALU_DEP_1)
	v_mul_lo_u32 v6, v4, s4
	v_mul_lo_u32 v11, v4, s6
	;; [unrolled: 1-line block ×3, first 2 shown]
	s_cbranch_scc1 .LBB36_100
; %bb.98:
	s_clause 0x1
	s_load_b96 s[0:2], s[12:13], 0x10
	s_load_b96 s[4:6], s[12:13], 0xd0
	s_wait_kmcnt 0x0
	v_mul_hi_u32 v4, s1, v13
	s_delay_alu instid0(VALU_DEP_1) | instskip(NEXT) | instid1(VALU_DEP_1)
	v_add_nc_u32_e32 v4, v13, v4
	v_lshrrev_b32_e32 v4, s2, v4
	s_delay_alu instid0(VALU_DEP_1) | instskip(NEXT) | instid1(VALU_DEP_1)
	v_mul_lo_u32 v4, v4, s0
	v_sub_nc_u32_e32 v4, v13, v4
	s_delay_alu instid0(VALU_DEP_1)
	v_mad_u32 v6, v4, s4, v6
	v_mad_u32 v12, v4, s5, v12
	;; [unrolled: 1-line block ×3, first 2 shown]
	s_branch .LBB36_100
.LBB36_99:
	v_dual_mov_b32 v11, 0 :: v_dual_mov_b32 v12, 0
	v_mov_b32_e32 v6, 0
	s_and_not1_b32 vcc_lo, exec_lo, s2
	s_cbranch_vccz .LBB36_97
.LBB36_100:
	s_clause 0x1
	s_load_b128 s[0:3], s[12:13], 0x188
	s_load_b64 s[4:5], s[12:13], 0x198
	s_wait_kmcnt 0x0
	s_clause 0x3
	global_load_u16 v4, v3, s[2:3]
	global_load_u16 v13, v8, s[2:3]
	;; [unrolled: 1-line block ×4, first 2 shown]
	s_clause 0x3
	global_load_b32 v16, v2, s[4:5]
	global_load_b32 v17, v7, s[4:5]
	global_load_b32 v18, v10, s[4:5]
	global_load_b32 v19, v11, s[4:5]
	s_wait_loadcnt 0x6
	s_wait_xcnt 0x3
	v_dual_lshlrev_b32 v2, 16, v4 :: v_dual_lshlrev_b32 v3, 16, v13
	s_wait_loadcnt 0x4
	s_wait_xcnt 0x2
	v_dual_lshlrev_b32 v4, 16, v14 :: v_dual_lshlrev_b32 v7, 16, v15
	s_wait_loadcnt 0x2
	v_dual_mul_f32 v8, v16, v2 :: v_dual_mul_f32 v9, v17, v3
	v_cmp_lt_f32_e32 vcc_lo, 0, v2
	s_wait_loadcnt 0x0
	v_dual_mul_f32 v10, v18, v4 :: v_dual_mul_f32 v11, v19, v7
	s_delay_alu instid0(VALU_DEP_3) | instskip(SKIP_3) | instid1(VALU_DEP_4)
	v_cndmask_b32_e32 v2, v8, v2, vcc_lo
	v_cmp_lt_f32_e32 vcc_lo, 0, v3
	v_cndmask_b32_e32 v3, v9, v3, vcc_lo
	v_cmp_lt_f32_e32 vcc_lo, 0, v4
	v_bfe_u32 v8, v2, 16, 1
	s_delay_alu instid0(VALU_DEP_3) | instskip(SKIP_2) | instid1(VALU_DEP_4)
	v_bfe_u32 v9, v3, 16, 1
	v_cndmask_b32_e32 v4, v10, v4, vcc_lo
	v_cmp_lt_f32_e32 vcc_lo, 0, v7
	v_add3_u32 v8, v2, v8, 0x7fff
	s_delay_alu instid0(VALU_DEP_4) | instskip(SKIP_2) | instid1(VALU_DEP_3)
	v_add3_u32 v9, v3, v9, 0x7fff
	v_cndmask_b32_e32 v7, v11, v7, vcc_lo
	v_bfe_u32 v10, v4, 16, 1
	v_dual_lshrrev_b32 v8, 16, v8 :: v_dual_lshrrev_b32 v9, 16, v9
	v_cmp_o_f32_e32 vcc_lo, v2, v2
	s_delay_alu instid0(VALU_DEP_4) | instskip(NEXT) | instid1(VALU_DEP_4)
	v_bfe_u32 v11, v7, 16, 1
	v_add3_u32 v10, v4, v10, 0x7fff
	s_delay_alu instid0(VALU_DEP_4) | instskip(SKIP_1) | instid1(VALU_DEP_4)
	v_cndmask_b32_e32 v2, 0x7fc0, v8, vcc_lo
	v_cmp_o_f32_e32 vcc_lo, v3, v3
	v_add3_u32 v11, v7, v11, 0x7fff
	s_delay_alu instid0(VALU_DEP_4) | instskip(SKIP_1) | instid1(VALU_DEP_2)
	v_dual_cndmask_b32 v3, 0x7fc0, v9 :: v_dual_lshrrev_b32 v10, 16, v10
	v_cmp_o_f32_e32 vcc_lo, v4, v4
	v_dual_cndmask_b32 v4, 0x7fc0, v10 :: v_dual_lshrrev_b32 v11, 16, v11
	v_cmp_o_f32_e32 vcc_lo, v7, v7
	s_delay_alu instid0(VALU_DEP_2)
	v_cndmask_b32_e32 v7, 0x7fc0, v11, vcc_lo
	s_clause 0x3
	global_store_b16 v1, v2, s[0:1]
	global_store_b16 v5, v3, s[0:1]
	global_store_b16 v0, v4, s[0:1]
	global_store_b16 v6, v7, s[0:1]
	s_endpgm
	.section	.rodata,"a",@progbits
	.p2align	6, 0x0
	.amdhsa_kernel _ZN2at6native32elementwise_kernel_manual_unrollILi128ELi4EZNS0_12_GLOBAL__N_142type_specialized_broadcast_kernel_launcherILi2EE5applyIZZZNS0_12prelu_kernelERNS_14TensorIteratorEENKUlvE_clEvENKUlvE0_clEvEUlffE_St5arrayIPcLm3EESB_IN3c1010ScalarTypeELm3EE16OffsetCalculatorILi3EjLb0EEEEvlT_T0_T1_T2_EUlibE_EEviSL_
		.amdhsa_group_segment_fixed_size 0
		.amdhsa_private_segment_fixed_size 0
		.amdhsa_kernarg_size 432
		.amdhsa_user_sgpr_count 2
		.amdhsa_user_sgpr_dispatch_ptr 0
		.amdhsa_user_sgpr_queue_ptr 0
		.amdhsa_user_sgpr_kernarg_segment_ptr 1
		.amdhsa_user_sgpr_dispatch_id 0
		.amdhsa_user_sgpr_kernarg_preload_length 0
		.amdhsa_user_sgpr_kernarg_preload_offset 0
		.amdhsa_user_sgpr_private_segment_size 0
		.amdhsa_wavefront_size32 1
		.amdhsa_uses_dynamic_stack 0
		.amdhsa_enable_private_segment 0
		.amdhsa_system_sgpr_workgroup_id_x 1
		.amdhsa_system_sgpr_workgroup_id_y 0
		.amdhsa_system_sgpr_workgroup_id_z 0
		.amdhsa_system_sgpr_workgroup_info 0
		.amdhsa_system_vgpr_workitem_id 0
		.amdhsa_next_free_vgpr 20
		.amdhsa_next_free_sgpr 46
		.amdhsa_named_barrier_count 0
		.amdhsa_reserve_vcc 1
		.amdhsa_float_round_mode_32 0
		.amdhsa_float_round_mode_16_64 0
		.amdhsa_float_denorm_mode_32 3
		.amdhsa_float_denorm_mode_16_64 3
		.amdhsa_fp16_overflow 0
		.amdhsa_memory_ordered 1
		.amdhsa_forward_progress 1
		.amdhsa_inst_pref_size 46
		.amdhsa_round_robin_scheduling 0
		.amdhsa_exception_fp_ieee_invalid_op 0
		.amdhsa_exception_fp_denorm_src 0
		.amdhsa_exception_fp_ieee_div_zero 0
		.amdhsa_exception_fp_ieee_overflow 0
		.amdhsa_exception_fp_ieee_underflow 0
		.amdhsa_exception_fp_ieee_inexact 0
		.amdhsa_exception_int_div_zero 0
	.end_amdhsa_kernel
	.section	.text._ZN2at6native32elementwise_kernel_manual_unrollILi128ELi4EZNS0_12_GLOBAL__N_142type_specialized_broadcast_kernel_launcherILi2EE5applyIZZZNS0_12prelu_kernelERNS_14TensorIteratorEENKUlvE_clEvENKUlvE0_clEvEUlffE_St5arrayIPcLm3EESB_IN3c1010ScalarTypeELm3EE16OffsetCalculatorILi3EjLb0EEEEvlT_T0_T1_T2_EUlibE_EEviSL_,"axG",@progbits,_ZN2at6native32elementwise_kernel_manual_unrollILi128ELi4EZNS0_12_GLOBAL__N_142type_specialized_broadcast_kernel_launcherILi2EE5applyIZZZNS0_12prelu_kernelERNS_14TensorIteratorEENKUlvE_clEvENKUlvE0_clEvEUlffE_St5arrayIPcLm3EESB_IN3c1010ScalarTypeELm3EE16OffsetCalculatorILi3EjLb0EEEEvlT_T0_T1_T2_EUlibE_EEviSL_,comdat
.Lfunc_end36:
	.size	_ZN2at6native32elementwise_kernel_manual_unrollILi128ELi4EZNS0_12_GLOBAL__N_142type_specialized_broadcast_kernel_launcherILi2EE5applyIZZZNS0_12prelu_kernelERNS_14TensorIteratorEENKUlvE_clEvENKUlvE0_clEvEUlffE_St5arrayIPcLm3EESB_IN3c1010ScalarTypeELm3EE16OffsetCalculatorILi3EjLb0EEEEvlT_T0_T1_T2_EUlibE_EEviSL_, .Lfunc_end36-_ZN2at6native32elementwise_kernel_manual_unrollILi128ELi4EZNS0_12_GLOBAL__N_142type_specialized_broadcast_kernel_launcherILi2EE5applyIZZZNS0_12prelu_kernelERNS_14TensorIteratorEENKUlvE_clEvENKUlvE0_clEvEUlffE_St5arrayIPcLm3EESB_IN3c1010ScalarTypeELm3EE16OffsetCalculatorILi3EjLb0EEEEvlT_T0_T1_T2_EUlibE_EEviSL_
                                        ; -- End function
	.set _ZN2at6native32elementwise_kernel_manual_unrollILi128ELi4EZNS0_12_GLOBAL__N_142type_specialized_broadcast_kernel_launcherILi2EE5applyIZZZNS0_12prelu_kernelERNS_14TensorIteratorEENKUlvE_clEvENKUlvE0_clEvEUlffE_St5arrayIPcLm3EESB_IN3c1010ScalarTypeELm3EE16OffsetCalculatorILi3EjLb0EEEEvlT_T0_T1_T2_EUlibE_EEviSL_.num_vgpr, 20
	.set _ZN2at6native32elementwise_kernel_manual_unrollILi128ELi4EZNS0_12_GLOBAL__N_142type_specialized_broadcast_kernel_launcherILi2EE5applyIZZZNS0_12prelu_kernelERNS_14TensorIteratorEENKUlvE_clEvENKUlvE0_clEvEUlffE_St5arrayIPcLm3EESB_IN3c1010ScalarTypeELm3EE16OffsetCalculatorILi3EjLb0EEEEvlT_T0_T1_T2_EUlibE_EEviSL_.num_agpr, 0
	.set _ZN2at6native32elementwise_kernel_manual_unrollILi128ELi4EZNS0_12_GLOBAL__N_142type_specialized_broadcast_kernel_launcherILi2EE5applyIZZZNS0_12prelu_kernelERNS_14TensorIteratorEENKUlvE_clEvENKUlvE0_clEvEUlffE_St5arrayIPcLm3EESB_IN3c1010ScalarTypeELm3EE16OffsetCalculatorILi3EjLb0EEEEvlT_T0_T1_T2_EUlibE_EEviSL_.numbered_sgpr, 46
	.set _ZN2at6native32elementwise_kernel_manual_unrollILi128ELi4EZNS0_12_GLOBAL__N_142type_specialized_broadcast_kernel_launcherILi2EE5applyIZZZNS0_12prelu_kernelERNS_14TensorIteratorEENKUlvE_clEvENKUlvE0_clEvEUlffE_St5arrayIPcLm3EESB_IN3c1010ScalarTypeELm3EE16OffsetCalculatorILi3EjLb0EEEEvlT_T0_T1_T2_EUlibE_EEviSL_.num_named_barrier, 0
	.set _ZN2at6native32elementwise_kernel_manual_unrollILi128ELi4EZNS0_12_GLOBAL__N_142type_specialized_broadcast_kernel_launcherILi2EE5applyIZZZNS0_12prelu_kernelERNS_14TensorIteratorEENKUlvE_clEvENKUlvE0_clEvEUlffE_St5arrayIPcLm3EESB_IN3c1010ScalarTypeELm3EE16OffsetCalculatorILi3EjLb0EEEEvlT_T0_T1_T2_EUlibE_EEviSL_.private_seg_size, 0
	.set _ZN2at6native32elementwise_kernel_manual_unrollILi128ELi4EZNS0_12_GLOBAL__N_142type_specialized_broadcast_kernel_launcherILi2EE5applyIZZZNS0_12prelu_kernelERNS_14TensorIteratorEENKUlvE_clEvENKUlvE0_clEvEUlffE_St5arrayIPcLm3EESB_IN3c1010ScalarTypeELm3EE16OffsetCalculatorILi3EjLb0EEEEvlT_T0_T1_T2_EUlibE_EEviSL_.uses_vcc, 1
	.set _ZN2at6native32elementwise_kernel_manual_unrollILi128ELi4EZNS0_12_GLOBAL__N_142type_specialized_broadcast_kernel_launcherILi2EE5applyIZZZNS0_12prelu_kernelERNS_14TensorIteratorEENKUlvE_clEvENKUlvE0_clEvEUlffE_St5arrayIPcLm3EESB_IN3c1010ScalarTypeELm3EE16OffsetCalculatorILi3EjLb0EEEEvlT_T0_T1_T2_EUlibE_EEviSL_.uses_flat_scratch, 0
	.set _ZN2at6native32elementwise_kernel_manual_unrollILi128ELi4EZNS0_12_GLOBAL__N_142type_specialized_broadcast_kernel_launcherILi2EE5applyIZZZNS0_12prelu_kernelERNS_14TensorIteratorEENKUlvE_clEvENKUlvE0_clEvEUlffE_St5arrayIPcLm3EESB_IN3c1010ScalarTypeELm3EE16OffsetCalculatorILi3EjLb0EEEEvlT_T0_T1_T2_EUlibE_EEviSL_.has_dyn_sized_stack, 0
	.set _ZN2at6native32elementwise_kernel_manual_unrollILi128ELi4EZNS0_12_GLOBAL__N_142type_specialized_broadcast_kernel_launcherILi2EE5applyIZZZNS0_12prelu_kernelERNS_14TensorIteratorEENKUlvE_clEvENKUlvE0_clEvEUlffE_St5arrayIPcLm3EESB_IN3c1010ScalarTypeELm3EE16OffsetCalculatorILi3EjLb0EEEEvlT_T0_T1_T2_EUlibE_EEviSL_.has_recursion, 0
	.set _ZN2at6native32elementwise_kernel_manual_unrollILi128ELi4EZNS0_12_GLOBAL__N_142type_specialized_broadcast_kernel_launcherILi2EE5applyIZZZNS0_12prelu_kernelERNS_14TensorIteratorEENKUlvE_clEvENKUlvE0_clEvEUlffE_St5arrayIPcLm3EESB_IN3c1010ScalarTypeELm3EE16OffsetCalculatorILi3EjLb0EEEEvlT_T0_T1_T2_EUlibE_EEviSL_.has_indirect_call, 0
	.section	.AMDGPU.csdata,"",@progbits
; Kernel info:
; codeLenInByte = 5852
; TotalNumSgprs: 48
; NumVgprs: 20
; ScratchSize: 0
; MemoryBound: 0
; FloatMode: 240
; IeeeMode: 1
; LDSByteSize: 0 bytes/workgroup (compile time only)
; SGPRBlocks: 0
; VGPRBlocks: 1
; NumSGPRsForWavesPerEU: 48
; NumVGPRsForWavesPerEU: 20
; NamedBarCnt: 0
; Occupancy: 16
; WaveLimiterHint : 1
; COMPUTE_PGM_RSRC2:SCRATCH_EN: 0
; COMPUTE_PGM_RSRC2:USER_SGPR: 2
; COMPUTE_PGM_RSRC2:TRAP_HANDLER: 0
; COMPUTE_PGM_RSRC2:TGID_X_EN: 1
; COMPUTE_PGM_RSRC2:TGID_Y_EN: 0
; COMPUTE_PGM_RSRC2:TGID_Z_EN: 0
; COMPUTE_PGM_RSRC2:TIDIG_COMP_CNT: 0
	.section	.text._ZN2at6native32elementwise_kernel_manual_unrollILi128ELi4EZNS0_12_GLOBAL__N_142type_specialized_broadcast_kernel_launcherILi3EE5applyIZZZNS0_12prelu_kernelERNS_14TensorIteratorEENKUlvE_clEvENKUlvE0_clEvEUlffE_St5arrayIPcLm3EESB_IN3c1010ScalarTypeELm3EE16OffsetCalculatorILi3EjLb0EEEEvlT_T0_T1_T2_EUlibE_EEviSL_,"axG",@progbits,_ZN2at6native32elementwise_kernel_manual_unrollILi128ELi4EZNS0_12_GLOBAL__N_142type_specialized_broadcast_kernel_launcherILi3EE5applyIZZZNS0_12prelu_kernelERNS_14TensorIteratorEENKUlvE_clEvENKUlvE0_clEvEUlffE_St5arrayIPcLm3EESB_IN3c1010ScalarTypeELm3EE16OffsetCalculatorILi3EjLb0EEEEvlT_T0_T1_T2_EUlibE_EEviSL_,comdat
	.globl	_ZN2at6native32elementwise_kernel_manual_unrollILi128ELi4EZNS0_12_GLOBAL__N_142type_specialized_broadcast_kernel_launcherILi3EE5applyIZZZNS0_12prelu_kernelERNS_14TensorIteratorEENKUlvE_clEvENKUlvE0_clEvEUlffE_St5arrayIPcLm3EESB_IN3c1010ScalarTypeELm3EE16OffsetCalculatorILi3EjLb0EEEEvlT_T0_T1_T2_EUlibE_EEviSL_ ; -- Begin function _ZN2at6native32elementwise_kernel_manual_unrollILi128ELi4EZNS0_12_GLOBAL__N_142type_specialized_broadcast_kernel_launcherILi3EE5applyIZZZNS0_12prelu_kernelERNS_14TensorIteratorEENKUlvE_clEvENKUlvE0_clEvEUlffE_St5arrayIPcLm3EESB_IN3c1010ScalarTypeELm3EE16OffsetCalculatorILi3EjLb0EEEEvlT_T0_T1_T2_EUlibE_EEviSL_
	.p2align	8
	.type	_ZN2at6native32elementwise_kernel_manual_unrollILi128ELi4EZNS0_12_GLOBAL__N_142type_specialized_broadcast_kernel_launcherILi3EE5applyIZZZNS0_12prelu_kernelERNS_14TensorIteratorEENKUlvE_clEvENKUlvE0_clEvEUlffE_St5arrayIPcLm3EESB_IN3c1010ScalarTypeELm3EE16OffsetCalculatorILi3EjLb0EEEEvlT_T0_T1_T2_EUlibE_EEviSL_,@function
_ZN2at6native32elementwise_kernel_manual_unrollILi128ELi4EZNS0_12_GLOBAL__N_142type_specialized_broadcast_kernel_launcherILi3EE5applyIZZZNS0_12prelu_kernelERNS_14TensorIteratorEENKUlvE_clEvENKUlvE0_clEvEUlffE_St5arrayIPcLm3EESB_IN3c1010ScalarTypeELm3EE16OffsetCalculatorILi3EjLb0EEEEvlT_T0_T1_T2_EUlibE_EEviSL_: ; @_ZN2at6native32elementwise_kernel_manual_unrollILi128ELi4EZNS0_12_GLOBAL__N_142type_specialized_broadcast_kernel_launcherILi3EE5applyIZZZNS0_12prelu_kernelERNS_14TensorIteratorEENKUlvE_clEvENKUlvE0_clEvEUlffE_St5arrayIPcLm3EESB_IN3c1010ScalarTypeELm3EE16OffsetCalculatorILi3EjLb0EEEEvlT_T0_T1_T2_EUlibE_EEviSL_
; %bb.0:
	s_clause 0x1
	s_load_b32 s26, s[0:1], 0x8
	s_load_b32 s33, s[0:1], 0x0
	s_bfe_u32 s2, ttmp6, 0x4000c
	s_and_b32 s3, ttmp6, 15
	s_add_co_i32 s2, s2, 1
	s_getreg_b32 s4, hwreg(HW_REG_IB_STS2, 6, 4)
	s_mul_i32 s2, ttmp9, s2
	s_add_nc_u64 s[12:13], s[0:1], 8
	s_add_co_i32 s3, s3, s2
	s_cmp_eq_u32 s4, 0
	s_mov_b32 s21, 0
	s_cselect_b32 s2, ttmp9, s3
	s_wait_xcnt 0x0
	s_mov_b32 s0, exec_lo
	v_lshl_or_b32 v0, s2, 9, v0
	s_delay_alu instid0(VALU_DEP_1) | instskip(SKIP_2) | instid1(SALU_CYCLE_1)
	v_or_b32_e32 v4, 0x180, v0
	s_wait_kmcnt 0x0
	s_add_co_i32 s27, s26, -1
	s_cmp_gt_u32 s27, 1
	s_cselect_b32 s28, -1, 0
	v_cmpx_le_i32_e64 s33, v4
	s_xor_b32 s29, exec_lo, s0
	s_cbranch_execz .LBB37_54
; %bb.1:
	s_clause 0x5
	s_load_b128 s[4:7], s[12:13], 0x4
	s_load_b64 s[16:17], s[12:13], 0x14
	s_load_b128 s[8:11], s[12:13], 0xc4
	s_load_b64 s[18:19], s[12:13], 0xd4
	s_load_b64 s[14:15], s[12:13], 0x198
	s_load_b128 s[0:3], s[12:13], 0x188
	s_cmp_lg_u32 s26, 0
	s_mov_b32 s23, s21
	s_cselect_b32 s34, -1, 0
	s_min_u32 s31, s27, 15
	s_cmp_gt_u32 s26, 1
	s_cselect_b32 s30, -1, 0
	s_wait_kmcnt 0x0
	s_mov_b32 s20, s5
	s_mov_b32 s22, s16
	s_mov_b32 s5, exec_lo
	v_cmpx_gt_i32_e64 s33, v0
	s_cbranch_execnz .LBB37_5
; %bb.2:
	s_or_b32 exec_lo, exec_lo, s5
	s_delay_alu instid0(SALU_CYCLE_1)
	s_mov_b32 s5, exec_lo
	v_cmpx_gt_i32_e64 s33, v0
	s_cbranch_execnz .LBB37_17
.LBB37_3:
	s_or_b32 exec_lo, exec_lo, s5
	s_delay_alu instid0(SALU_CYCLE_1)
	s_mov_b32 s5, exec_lo
	v_cmpx_gt_i32_e64 s33, v0
	s_cbranch_execnz .LBB37_29
.LBB37_4:
	s_or_b32 exec_lo, exec_lo, s5
	s_delay_alu instid0(SALU_CYCLE_1)
	s_mov_b32 s5, exec_lo
	v_cmpx_gt_i32_e64 s33, v0
	s_cbranch_execnz .LBB37_41
	s_branch .LBB37_53
.LBB37_5:
	s_and_not1_b32 vcc_lo, exec_lo, s28
	s_cbranch_vccnz .LBB37_11
; %bb.6:
	s_and_not1_b32 vcc_lo, exec_lo, s34
	s_cbranch_vccnz .LBB37_12
; %bb.7:
	v_dual_mov_b32 v4, 0 :: v_dual_mov_b32 v1, v0
	v_dual_mov_b32 v6, 0 :: v_dual_mov_b32 v5, 0
	s_add_co_i32 s16, s31, 1
	s_mov_b64 s[24:25], 0xffffffffffffffe8
	s_and_b32 s16, s16, 30
	s_add_nc_u64 s[24:25], s[12:13], s[24:25]
.LBB37_8:                               ; =>This Inner Loop Header: Depth=1
	s_clause 0x1
	s_load_b128 s[36:39], s[24:25], 0x1c
	s_load_b64 s[44:45], s[24:25], 0x2c
	s_add_co_i32 s16, s16, -2
	s_delay_alu instid0(SALU_CYCLE_1) | instskip(SKIP_2) | instid1(VALU_DEP_1)
	s_cmp_lg_u32 s16, 0
	s_wait_kmcnt 0x0
	v_mul_hi_u32 v2, s37, v1
	v_add_nc_u32_e32 v2, v1, v2
	s_delay_alu instid0(VALU_DEP_1) | instskip(NEXT) | instid1(VALU_DEP_1)
	v_lshrrev_b32_e32 v2, s38, v2
	v_mul_hi_u32 v3, s44, v2
	v_mul_lo_u32 v7, v2, s36
	s_clause 0x1
	s_load_b128 s[40:43], s[24:25], 0xdc
	s_load_b64 s[36:37], s[24:25], 0xec
	s_wait_xcnt 0x0
	s_add_nc_u64 s[24:25], s[24:25], 24
	s_delay_alu instid0(VALU_DEP_2) | instskip(NEXT) | instid1(VALU_DEP_2)
	v_add_nc_u32_e32 v3, v2, v3
	v_sub_nc_u32_e32 v7, v1, v7
	s_delay_alu instid0(VALU_DEP_2) | instskip(SKIP_1) | instid1(VALU_DEP_2)
	v_lshrrev_b32_e32 v1, s45, v3
	s_wait_kmcnt 0x0
	v_mad_u32 v4, v7, s40, v4
	s_delay_alu instid0(VALU_DEP_2) | instskip(SKIP_2) | instid1(VALU_DEP_3)
	v_mul_lo_u32 v3, v1, s39
	v_mad_u32 v5, v7, s42, v5
	v_mad_u32 v6, v7, s41, v6
	v_sub_nc_u32_e32 v2, v2, v3
	s_delay_alu instid0(VALU_DEP_1) | instskip(NEXT) | instid1(VALU_DEP_4)
	v_mad_u32 v4, v2, s43, v4
	v_mad_u32 v5, v2, s37, v5
	s_delay_alu instid0(VALU_DEP_4)
	v_mad_u32 v6, v2, s36, v6
	s_cbranch_scc1 .LBB37_8
; %bb.9:
	s_bitcmp1_b32 s31, 0
	s_cselect_b32 s16, -1, 0
	s_delay_alu instid0(SALU_CYCLE_1)
	s_and_b32 vcc_lo, exec_lo, s16
	s_cbranch_vccnz .LBB37_13
; %bb.10:
	s_clause 0x1
	s_load_b96 s[36:38], s[24:25], 0x1c
	s_load_b96 s[40:42], s[24:25], 0xdc
	s_wait_kmcnt 0x0
	v_mul_hi_u32 v2, s37, v1
	s_delay_alu instid0(VALU_DEP_1) | instskip(NEXT) | instid1(VALU_DEP_1)
	v_add_nc_u32_e32 v2, v1, v2
	v_lshrrev_b32_e32 v2, s38, v2
	s_delay_alu instid0(VALU_DEP_1) | instskip(NEXT) | instid1(VALU_DEP_1)
	v_mul_lo_u32 v2, v2, s36
	v_sub_nc_u32_e32 v1, v1, v2
	s_delay_alu instid0(VALU_DEP_1)
	v_mad_u32 v4, v1, s40, v4
	v_mad_u32 v6, v1, s41, v6
	v_mad_u32 v5, v1, s42, v5
	s_cbranch_execz .LBB37_14
	s_branch .LBB37_16
.LBB37_11:
                                        ; implicit-def: $vgpr5
                                        ; implicit-def: $vgpr6
                                        ; implicit-def: $vgpr4
	s_branch .LBB37_14
.LBB37_12:
	v_dual_mov_b32 v5, 0 :: v_dual_mov_b32 v6, 0
	v_mov_b32_e32 v4, 0
.LBB37_13:
	s_cbranch_execnz .LBB37_16
.LBB37_14:
	v_mov_b32_e32 v1, 0
	s_and_not1_b32 vcc_lo, exec_lo, s30
	s_delay_alu instid0(VALU_DEP_1) | instskip(NEXT) | instid1(VALU_DEP_1)
	v_mul_u64_e32 v[2:3], s[20:21], v[0:1]
	v_add_nc_u32_e32 v2, v0, v3
	s_delay_alu instid0(VALU_DEP_1) | instskip(NEXT) | instid1(VALU_DEP_1)
	v_lshrrev_b32_e32 v2, s6, v2
	v_mul_lo_u32 v3, v2, s4
	s_delay_alu instid0(VALU_DEP_1) | instskip(NEXT) | instid1(VALU_DEP_1)
	v_sub_nc_u32_e32 v3, v0, v3
	v_mul_lo_u32 v4, v3, s8
	v_mul_lo_u32 v5, v3, s10
	;; [unrolled: 1-line block ×3, first 2 shown]
	s_cbranch_vccnz .LBB37_16
; %bb.15:
	v_mov_b32_e32 v3, v1
	s_delay_alu instid0(VALU_DEP_1) | instskip(NEXT) | instid1(VALU_DEP_1)
	v_mul_u64_e32 v[8:9], s[22:23], v[2:3]
	v_add_nc_u32_e32 v1, v2, v9
	s_delay_alu instid0(VALU_DEP_1) | instskip(NEXT) | instid1(VALU_DEP_1)
	v_lshrrev_b32_e32 v1, s17, v1
	v_mul_lo_u32 v1, v1, s7
	s_delay_alu instid0(VALU_DEP_1) | instskip(NEXT) | instid1(VALU_DEP_1)
	v_sub_nc_u32_e32 v1, v2, v1
	v_mad_u32 v4, v1, s11, v4
	v_mad_u32 v6, v1, s18, v6
	;; [unrolled: 1-line block ×3, first 2 shown]
.LBB37_16:
	global_load_u16 v1, v5, s[14:15]
	global_load_b32 v2, v6, s[2:3]
	v_add_nc_u32_e32 v0, 0x80, v0
	s_wait_loadcnt 0x1
	v_cvt_f32_f16_e32 v1, v1
	s_wait_loadcnt 0x0
	v_cmp_lt_f32_e32 vcc_lo, 0, v2
	s_delay_alu instid0(VALU_DEP_2) | instskip(NEXT) | instid1(VALU_DEP_1)
	v_mul_f32_e32 v1, v2, v1
	v_cndmask_b32_e32 v1, v1, v2, vcc_lo
	global_store_b32 v4, v1, s[0:1]
	s_wait_xcnt 0x0
	s_or_b32 exec_lo, exec_lo, s5
	s_delay_alu instid0(SALU_CYCLE_1)
	s_mov_b32 s5, exec_lo
	v_cmpx_gt_i32_e64 s33, v0
	s_cbranch_execz .LBB37_3
.LBB37_17:
	s_and_not1_b32 vcc_lo, exec_lo, s28
	s_cbranch_vccnz .LBB37_23
; %bb.18:
	s_and_not1_b32 vcc_lo, exec_lo, s34
	s_cbranch_vccnz .LBB37_24
; %bb.19:
	v_dual_mov_b32 v4, 0 :: v_dual_mov_b32 v1, v0
	v_dual_mov_b32 v6, 0 :: v_dual_mov_b32 v5, 0
	s_add_co_i32 s16, s31, 1
	s_mov_b64 s[24:25], 0xffffffffffffffe8
	s_and_b32 s16, s16, 30
	s_add_nc_u64 s[24:25], s[12:13], s[24:25]
.LBB37_20:                              ; =>This Inner Loop Header: Depth=1
	s_clause 0x1
	s_load_b128 s[36:39], s[24:25], 0x1c
	s_load_b64 s[44:45], s[24:25], 0x2c
	s_add_co_i32 s16, s16, -2
	s_delay_alu instid0(SALU_CYCLE_1) | instskip(SKIP_2) | instid1(VALU_DEP_1)
	s_cmp_eq_u32 s16, 0
	s_wait_kmcnt 0x0
	v_mul_hi_u32 v2, s37, v1
	v_add_nc_u32_e32 v2, v1, v2
	s_delay_alu instid0(VALU_DEP_1) | instskip(NEXT) | instid1(VALU_DEP_1)
	v_lshrrev_b32_e32 v2, s38, v2
	v_mul_hi_u32 v3, s44, v2
	v_mul_lo_u32 v7, v2, s36
	s_clause 0x1
	s_load_b128 s[40:43], s[24:25], 0xdc
	s_load_b64 s[36:37], s[24:25], 0xec
	s_wait_xcnt 0x0
	s_add_nc_u64 s[24:25], s[24:25], 24
	s_delay_alu instid0(VALU_DEP_2) | instskip(NEXT) | instid1(VALU_DEP_2)
	v_add_nc_u32_e32 v3, v2, v3
	v_sub_nc_u32_e32 v7, v1, v7
	s_delay_alu instid0(VALU_DEP_2) | instskip(SKIP_1) | instid1(VALU_DEP_2)
	v_lshrrev_b32_e32 v1, s45, v3
	s_wait_kmcnt 0x0
	v_mad_u32 v4, v7, s40, v4
	s_delay_alu instid0(VALU_DEP_2) | instskip(SKIP_2) | instid1(VALU_DEP_3)
	v_mul_lo_u32 v3, v1, s39
	v_mad_u32 v5, v7, s42, v5
	v_mad_u32 v6, v7, s41, v6
	v_sub_nc_u32_e32 v2, v2, v3
	s_delay_alu instid0(VALU_DEP_1) | instskip(NEXT) | instid1(VALU_DEP_4)
	v_mad_u32 v4, v2, s43, v4
	v_mad_u32 v5, v2, s37, v5
	s_delay_alu instid0(VALU_DEP_4)
	v_mad_u32 v6, v2, s36, v6
	s_cbranch_scc0 .LBB37_20
; %bb.21:
	s_bitcmp1_b32 s31, 0
	s_cselect_b32 s16, -1, 0
	s_delay_alu instid0(SALU_CYCLE_1)
	s_and_b32 vcc_lo, exec_lo, s16
	s_cbranch_vccnz .LBB37_25
; %bb.22:
	s_clause 0x1
	s_load_b96 s[36:38], s[24:25], 0x1c
	s_load_b96 s[40:42], s[24:25], 0xdc
	s_wait_kmcnt 0x0
	v_mul_hi_u32 v2, s37, v1
	s_delay_alu instid0(VALU_DEP_1) | instskip(NEXT) | instid1(VALU_DEP_1)
	v_add_nc_u32_e32 v2, v1, v2
	v_lshrrev_b32_e32 v2, s38, v2
	s_delay_alu instid0(VALU_DEP_1) | instskip(NEXT) | instid1(VALU_DEP_1)
	v_mul_lo_u32 v2, v2, s36
	v_sub_nc_u32_e32 v1, v1, v2
	s_delay_alu instid0(VALU_DEP_1)
	v_mad_u32 v4, v1, s40, v4
	v_mad_u32 v6, v1, s41, v6
	;; [unrolled: 1-line block ×3, first 2 shown]
	s_branch .LBB37_25
.LBB37_23:
                                        ; implicit-def: $vgpr5
                                        ; implicit-def: $vgpr6
                                        ; implicit-def: $vgpr4
	s_branch .LBB37_26
.LBB37_24:
	v_dual_mov_b32 v5, 0 :: v_dual_mov_b32 v6, 0
	v_mov_b32_e32 v4, 0
.LBB37_25:
	s_cbranch_execnz .LBB37_28
.LBB37_26:
	v_mov_b32_e32 v1, 0
	s_and_not1_b32 vcc_lo, exec_lo, s30
	s_delay_alu instid0(VALU_DEP_1) | instskip(NEXT) | instid1(VALU_DEP_1)
	v_mul_u64_e32 v[2:3], s[20:21], v[0:1]
	v_add_nc_u32_e32 v2, v0, v3
	s_delay_alu instid0(VALU_DEP_1) | instskip(NEXT) | instid1(VALU_DEP_1)
	v_lshrrev_b32_e32 v2, s6, v2
	v_mul_lo_u32 v3, v2, s4
	s_delay_alu instid0(VALU_DEP_1) | instskip(NEXT) | instid1(VALU_DEP_1)
	v_sub_nc_u32_e32 v3, v0, v3
	v_mul_lo_u32 v4, v3, s8
	v_mul_lo_u32 v5, v3, s10
	;; [unrolled: 1-line block ×3, first 2 shown]
	s_cbranch_vccnz .LBB37_28
; %bb.27:
	v_mov_b32_e32 v3, v1
	s_delay_alu instid0(VALU_DEP_1) | instskip(NEXT) | instid1(VALU_DEP_1)
	v_mul_u64_e32 v[8:9], s[22:23], v[2:3]
	v_add_nc_u32_e32 v1, v2, v9
	s_delay_alu instid0(VALU_DEP_1) | instskip(NEXT) | instid1(VALU_DEP_1)
	v_lshrrev_b32_e32 v1, s17, v1
	v_mul_lo_u32 v1, v1, s7
	s_delay_alu instid0(VALU_DEP_1) | instskip(NEXT) | instid1(VALU_DEP_1)
	v_sub_nc_u32_e32 v1, v2, v1
	v_mad_u32 v4, v1, s11, v4
	v_mad_u32 v6, v1, s18, v6
	;; [unrolled: 1-line block ×3, first 2 shown]
.LBB37_28:
	global_load_u16 v1, v5, s[14:15]
	global_load_b32 v2, v6, s[2:3]
	v_add_nc_u32_e32 v0, 0x80, v0
	s_wait_loadcnt 0x1
	v_cvt_f32_f16_e32 v1, v1
	s_wait_loadcnt 0x0
	v_cmp_lt_f32_e32 vcc_lo, 0, v2
	s_delay_alu instid0(VALU_DEP_2) | instskip(NEXT) | instid1(VALU_DEP_1)
	v_mul_f32_e32 v1, v2, v1
	v_cndmask_b32_e32 v1, v1, v2, vcc_lo
	global_store_b32 v4, v1, s[0:1]
	s_wait_xcnt 0x0
	s_or_b32 exec_lo, exec_lo, s5
	s_delay_alu instid0(SALU_CYCLE_1)
	s_mov_b32 s5, exec_lo
	v_cmpx_gt_i32_e64 s33, v0
	s_cbranch_execz .LBB37_4
.LBB37_29:
	s_and_not1_b32 vcc_lo, exec_lo, s28
	s_cbranch_vccnz .LBB37_35
; %bb.30:
	s_and_not1_b32 vcc_lo, exec_lo, s34
	s_cbranch_vccnz .LBB37_36
; %bb.31:
	v_dual_mov_b32 v4, 0 :: v_dual_mov_b32 v1, v0
	v_dual_mov_b32 v6, 0 :: v_dual_mov_b32 v5, 0
	s_add_co_i32 s16, s31, 1
	s_mov_b64 s[24:25], 0xffffffffffffffe8
	s_and_b32 s16, s16, 30
	s_add_nc_u64 s[24:25], s[12:13], s[24:25]
.LBB37_32:                              ; =>This Inner Loop Header: Depth=1
	s_clause 0x1
	s_load_b128 s[36:39], s[24:25], 0x1c
	s_load_b64 s[44:45], s[24:25], 0x2c
	s_add_co_i32 s16, s16, -2
	s_delay_alu instid0(SALU_CYCLE_1) | instskip(SKIP_2) | instid1(VALU_DEP_1)
	s_cmp_eq_u32 s16, 0
	s_wait_kmcnt 0x0
	v_mul_hi_u32 v2, s37, v1
	v_add_nc_u32_e32 v2, v1, v2
	s_delay_alu instid0(VALU_DEP_1) | instskip(NEXT) | instid1(VALU_DEP_1)
	v_lshrrev_b32_e32 v2, s38, v2
	v_mul_hi_u32 v3, s44, v2
	v_mul_lo_u32 v7, v2, s36
	s_clause 0x1
	s_load_b128 s[40:43], s[24:25], 0xdc
	s_load_b64 s[36:37], s[24:25], 0xec
	s_wait_xcnt 0x0
	s_add_nc_u64 s[24:25], s[24:25], 24
	s_delay_alu instid0(VALU_DEP_2) | instskip(NEXT) | instid1(VALU_DEP_2)
	v_add_nc_u32_e32 v3, v2, v3
	v_sub_nc_u32_e32 v7, v1, v7
	s_delay_alu instid0(VALU_DEP_2) | instskip(SKIP_1) | instid1(VALU_DEP_2)
	v_lshrrev_b32_e32 v1, s45, v3
	s_wait_kmcnt 0x0
	v_mad_u32 v4, v7, s40, v4
	s_delay_alu instid0(VALU_DEP_2) | instskip(SKIP_2) | instid1(VALU_DEP_3)
	v_mul_lo_u32 v3, v1, s39
	v_mad_u32 v5, v7, s42, v5
	v_mad_u32 v6, v7, s41, v6
	v_sub_nc_u32_e32 v2, v2, v3
	s_delay_alu instid0(VALU_DEP_1) | instskip(NEXT) | instid1(VALU_DEP_4)
	v_mad_u32 v4, v2, s43, v4
	v_mad_u32 v5, v2, s37, v5
	s_delay_alu instid0(VALU_DEP_4)
	v_mad_u32 v6, v2, s36, v6
	s_cbranch_scc0 .LBB37_32
; %bb.33:
	s_bitcmp1_b32 s31, 0
	s_cselect_b32 s16, -1, 0
	s_delay_alu instid0(SALU_CYCLE_1)
	s_and_b32 vcc_lo, exec_lo, s16
	s_cbranch_vccnz .LBB37_37
; %bb.34:
	s_clause 0x1
	s_load_b96 s[36:38], s[24:25], 0x1c
	s_load_b96 s[40:42], s[24:25], 0xdc
	s_wait_kmcnt 0x0
	v_mul_hi_u32 v2, s37, v1
	s_delay_alu instid0(VALU_DEP_1) | instskip(NEXT) | instid1(VALU_DEP_1)
	v_add_nc_u32_e32 v2, v1, v2
	v_lshrrev_b32_e32 v2, s38, v2
	s_delay_alu instid0(VALU_DEP_1) | instskip(NEXT) | instid1(VALU_DEP_1)
	v_mul_lo_u32 v2, v2, s36
	v_sub_nc_u32_e32 v1, v1, v2
	s_delay_alu instid0(VALU_DEP_1)
	v_mad_u32 v4, v1, s40, v4
	v_mad_u32 v6, v1, s41, v6
	;; [unrolled: 1-line block ×3, first 2 shown]
	s_branch .LBB37_37
.LBB37_35:
                                        ; implicit-def: $vgpr5
                                        ; implicit-def: $vgpr6
                                        ; implicit-def: $vgpr4
	s_branch .LBB37_38
.LBB37_36:
	v_dual_mov_b32 v5, 0 :: v_dual_mov_b32 v6, 0
	v_mov_b32_e32 v4, 0
.LBB37_37:
	s_cbranch_execnz .LBB37_40
.LBB37_38:
	v_mov_b32_e32 v1, 0
	s_and_not1_b32 vcc_lo, exec_lo, s30
	s_delay_alu instid0(VALU_DEP_1) | instskip(NEXT) | instid1(VALU_DEP_1)
	v_mul_u64_e32 v[2:3], s[20:21], v[0:1]
	v_add_nc_u32_e32 v2, v0, v3
	s_delay_alu instid0(VALU_DEP_1) | instskip(NEXT) | instid1(VALU_DEP_1)
	v_lshrrev_b32_e32 v2, s6, v2
	v_mul_lo_u32 v3, v2, s4
	s_delay_alu instid0(VALU_DEP_1) | instskip(NEXT) | instid1(VALU_DEP_1)
	v_sub_nc_u32_e32 v3, v0, v3
	v_mul_lo_u32 v4, v3, s8
	v_mul_lo_u32 v5, v3, s10
	v_mul_lo_u32 v6, v3, s9
	s_cbranch_vccnz .LBB37_40
; %bb.39:
	v_mov_b32_e32 v3, v1
	s_delay_alu instid0(VALU_DEP_1) | instskip(NEXT) | instid1(VALU_DEP_1)
	v_mul_u64_e32 v[8:9], s[22:23], v[2:3]
	v_add_nc_u32_e32 v1, v2, v9
	s_delay_alu instid0(VALU_DEP_1) | instskip(NEXT) | instid1(VALU_DEP_1)
	v_lshrrev_b32_e32 v1, s17, v1
	v_mul_lo_u32 v1, v1, s7
	s_delay_alu instid0(VALU_DEP_1) | instskip(NEXT) | instid1(VALU_DEP_1)
	v_sub_nc_u32_e32 v1, v2, v1
	v_mad_u32 v4, v1, s11, v4
	v_mad_u32 v6, v1, s18, v6
	;; [unrolled: 1-line block ×3, first 2 shown]
.LBB37_40:
	global_load_u16 v1, v5, s[14:15]
	global_load_b32 v2, v6, s[2:3]
	v_add_nc_u32_e32 v0, 0x80, v0
	s_wait_loadcnt 0x1
	v_cvt_f32_f16_e32 v1, v1
	s_wait_loadcnt 0x0
	v_cmp_lt_f32_e32 vcc_lo, 0, v2
	s_delay_alu instid0(VALU_DEP_2) | instskip(NEXT) | instid1(VALU_DEP_1)
	v_mul_f32_e32 v1, v2, v1
	v_cndmask_b32_e32 v1, v1, v2, vcc_lo
	global_store_b32 v4, v1, s[0:1]
	s_wait_xcnt 0x0
	s_or_b32 exec_lo, exec_lo, s5
	s_delay_alu instid0(SALU_CYCLE_1)
	s_mov_b32 s5, exec_lo
	v_cmpx_gt_i32_e64 s33, v0
	s_cbranch_execz .LBB37_53
.LBB37_41:
	s_and_not1_b32 vcc_lo, exec_lo, s28
	s_cbranch_vccnz .LBB37_47
; %bb.42:
	s_and_not1_b32 vcc_lo, exec_lo, s34
	s_cbranch_vccnz .LBB37_48
; %bb.43:
	v_dual_mov_b32 v4, 0 :: v_dual_mov_b32 v1, v0
	v_dual_mov_b32 v5, 0 :: v_dual_mov_b32 v6, 0
	s_add_co_i32 s16, s31, 1
	s_mov_b64 s[24:25], 0xffffffffffffffe8
	s_and_b32 s16, s16, 30
	s_add_nc_u64 s[24:25], s[12:13], s[24:25]
.LBB37_44:                              ; =>This Inner Loop Header: Depth=1
	s_clause 0x1
	s_load_b128 s[36:39], s[24:25], 0x1c
	s_load_b64 s[34:35], s[24:25], 0x2c
	s_add_co_i32 s16, s16, -2
	s_delay_alu instid0(SALU_CYCLE_1) | instskip(SKIP_2) | instid1(VALU_DEP_1)
	s_cmp_eq_u32 s16, 0
	s_wait_kmcnt 0x0
	v_mul_hi_u32 v2, s37, v1
	v_add_nc_u32_e32 v2, v1, v2
	s_delay_alu instid0(VALU_DEP_1) | instskip(NEXT) | instid1(VALU_DEP_1)
	v_lshrrev_b32_e32 v2, s38, v2
	v_mul_hi_u32 v3, s34, v2
	v_mul_lo_u32 v7, v2, s36
	s_clause 0x1
	s_load_b128 s[40:43], s[24:25], 0xdc
	s_load_b64 s[36:37], s[24:25], 0xec
	s_wait_xcnt 0x0
	s_add_nc_u64 s[24:25], s[24:25], 24
	s_delay_alu instid0(VALU_DEP_2) | instskip(NEXT) | instid1(VALU_DEP_2)
	v_add_nc_u32_e32 v3, v2, v3
	v_sub_nc_u32_e32 v7, v1, v7
	s_delay_alu instid0(VALU_DEP_2) | instskip(SKIP_1) | instid1(VALU_DEP_2)
	v_lshrrev_b32_e32 v1, s35, v3
	s_wait_kmcnt 0x0
	v_mad_u32 v4, v7, s40, v4
	s_delay_alu instid0(VALU_DEP_2) | instskip(SKIP_2) | instid1(VALU_DEP_3)
	v_mul_lo_u32 v3, v1, s39
	v_mad_u32 v6, v7, s42, v6
	v_mad_u32 v5, v7, s41, v5
	v_sub_nc_u32_e32 v2, v2, v3
	s_delay_alu instid0(VALU_DEP_1) | instskip(NEXT) | instid1(VALU_DEP_4)
	v_mad_u32 v4, v2, s43, v4
	v_mad_u32 v6, v2, s37, v6
	s_delay_alu instid0(VALU_DEP_4)
	v_mad_u32 v5, v2, s36, v5
	s_cbranch_scc0 .LBB37_44
; %bb.45:
	s_bitcmp1_b32 s31, 0
	s_cselect_b32 s16, -1, 0
	s_delay_alu instid0(SALU_CYCLE_1)
	s_and_b32 vcc_lo, exec_lo, s16
	s_cbranch_vccnz .LBB37_49
; %bb.46:
	s_clause 0x1
	s_load_b96 s[36:38], s[24:25], 0x1c
	s_load_b96 s[40:42], s[24:25], 0xdc
	s_wait_kmcnt 0x0
	v_mul_hi_u32 v2, s37, v1
	s_delay_alu instid0(VALU_DEP_1) | instskip(NEXT) | instid1(VALU_DEP_1)
	v_add_nc_u32_e32 v2, v1, v2
	v_lshrrev_b32_e32 v2, s38, v2
	s_delay_alu instid0(VALU_DEP_1) | instskip(NEXT) | instid1(VALU_DEP_1)
	v_mul_lo_u32 v2, v2, s36
	v_sub_nc_u32_e32 v1, v1, v2
	s_delay_alu instid0(VALU_DEP_1)
	v_mad_u32 v4, v1, s40, v4
	v_mad_u32 v5, v1, s41, v5
	;; [unrolled: 1-line block ×3, first 2 shown]
	s_branch .LBB37_49
.LBB37_47:
                                        ; implicit-def: $vgpr6
                                        ; implicit-def: $vgpr5
                                        ; implicit-def: $vgpr4
	s_branch .LBB37_50
.LBB37_48:
	v_dual_mov_b32 v6, 0 :: v_dual_mov_b32 v5, 0
	v_mov_b32_e32 v4, 0
.LBB37_49:
	s_cbranch_execnz .LBB37_52
.LBB37_50:
	v_mov_b32_e32 v1, 0
	s_and_not1_b32 vcc_lo, exec_lo, s30
	s_delay_alu instid0(VALU_DEP_1) | instskip(NEXT) | instid1(VALU_DEP_1)
	v_mul_u64_e32 v[2:3], s[20:21], v[0:1]
	v_add_nc_u32_e32 v2, v0, v3
	s_delay_alu instid0(VALU_DEP_1) | instskip(NEXT) | instid1(VALU_DEP_1)
	v_lshrrev_b32_e32 v2, s6, v2
	v_mul_lo_u32 v3, v2, s4
	s_delay_alu instid0(VALU_DEP_1) | instskip(NEXT) | instid1(VALU_DEP_1)
	v_sub_nc_u32_e32 v0, v0, v3
	v_mul_lo_u32 v4, v0, s8
	v_mul_lo_u32 v6, v0, s10
	;; [unrolled: 1-line block ×3, first 2 shown]
	s_cbranch_vccnz .LBB37_52
; %bb.51:
	v_mov_b32_e32 v3, v1
	s_delay_alu instid0(VALU_DEP_1) | instskip(NEXT) | instid1(VALU_DEP_1)
	v_mul_u64_e32 v[0:1], s[22:23], v[2:3]
	v_add_nc_u32_e32 v0, v2, v1
	s_delay_alu instid0(VALU_DEP_1) | instskip(NEXT) | instid1(VALU_DEP_1)
	v_lshrrev_b32_e32 v0, s17, v0
	v_mul_lo_u32 v0, v0, s7
	s_delay_alu instid0(VALU_DEP_1) | instskip(NEXT) | instid1(VALU_DEP_1)
	v_sub_nc_u32_e32 v0, v2, v0
	v_mad_u32 v4, v0, s11, v4
	v_mad_u32 v5, v0, s18, v5
	;; [unrolled: 1-line block ×3, first 2 shown]
.LBB37_52:
	global_load_u16 v0, v6, s[14:15]
	global_load_b32 v1, v5, s[2:3]
	s_wait_loadcnt 0x1
	v_cvt_f32_f16_e32 v0, v0
	s_wait_loadcnt 0x0
	v_cmp_lt_f32_e32 vcc_lo, 0, v1
	s_delay_alu instid0(VALU_DEP_2) | instskip(NEXT) | instid1(VALU_DEP_1)
	v_mul_f32_e32 v0, v1, v0
	v_cndmask_b32_e32 v0, v0, v1, vcc_lo
	global_store_b32 v4, v0, s[0:1]
.LBB37_53:
	s_wait_xcnt 0x0
	s_or_b32 exec_lo, exec_lo, s5
                                        ; implicit-def: $vgpr4
                                        ; implicit-def: $vgpr0
.LBB37_54:
	s_and_not1_saveexec_b32 s0, s29
	s_cbranch_execz .LBB37_61
; %bb.55:
	v_cndmask_b32_e64 v6, 0, 1, s28
	s_and_not1_b32 vcc_lo, exec_lo, s28
	s_cbranch_vccnz .LBB37_62
; %bb.56:
	s_cmp_lg_u32 s26, 0
	s_mov_b32 s2, 0
	s_cbranch_scc0 .LBB37_66
; %bb.57:
	s_min_u32 s3, s27, 15
	v_dual_mov_b32 v1, 0 :: v_dual_mov_b32 v5, v0
	v_dual_mov_b32 v2, 0 :: v_dual_mov_b32 v3, 0
	s_add_co_i32 s4, s3, 1
	s_mov_b64 s[0:1], 0xffffffffffffffe8
	s_and_b32 s4, s4, 30
	s_add_nc_u64 s[0:1], s[12:13], s[0:1]
.LBB37_58:                              ; =>This Inner Loop Header: Depth=1
	s_clause 0x1
	s_load_b128 s[8:11], s[0:1], 0x1c
	s_load_b64 s[6:7], s[0:1], 0x2c
	s_add_co_i32 s4, s4, -2
	s_delay_alu instid0(SALU_CYCLE_1) | instskip(SKIP_2) | instid1(VALU_DEP_1)
	s_cmp_lg_u32 s4, 0
	s_wait_kmcnt 0x0
	v_mul_hi_u32 v7, s9, v5
	v_add_nc_u32_e32 v7, v5, v7
	s_delay_alu instid0(VALU_DEP_1) | instskip(NEXT) | instid1(VALU_DEP_1)
	v_lshrrev_b32_e32 v7, s10, v7
	v_mul_hi_u32 v8, s6, v7
	v_mul_lo_u32 v9, v7, s8
	s_clause 0x1
	s_load_b128 s[16:19], s[0:1], 0xdc
	s_load_b64 s[8:9], s[0:1], 0xec
	s_wait_xcnt 0x0
	s_add_nc_u64 s[0:1], s[0:1], 24
	s_delay_alu instid0(VALU_DEP_1) | instskip(NEXT) | instid1(VALU_DEP_1)
	v_dual_add_nc_u32 v8, v7, v8 :: v_dual_sub_nc_u32 v9, v5, v9
	v_lshrrev_b32_e32 v5, s7, v8
	s_wait_kmcnt 0x0
	s_delay_alu instid0(VALU_DEP_2) | instskip(NEXT) | instid1(VALU_DEP_2)
	v_mad_u32 v1, v9, s16, v1
	v_mul_lo_u32 v8, v5, s11
	v_mad_u32 v3, v9, s18, v3
	v_mad_u32 v2, v9, s17, v2
	s_delay_alu instid0(VALU_DEP_3) | instskip(NEXT) | instid1(VALU_DEP_1)
	v_sub_nc_u32_e32 v7, v7, v8
	v_mad_u32 v1, v7, s19, v1
	s_delay_alu instid0(VALU_DEP_4) | instskip(NEXT) | instid1(VALU_DEP_4)
	v_mad_u32 v3, v7, s9, v3
	v_mad_u32 v2, v7, s8, v2
	s_cbranch_scc1 .LBB37_58
; %bb.59:
	s_bitcmp1_b32 s3, 0
	s_cselect_b32 s3, -1, 0
	s_delay_alu instid0(SALU_CYCLE_1)
	s_and_b32 vcc_lo, exec_lo, s3
	s_cbranch_vccnz .LBB37_63
; %bb.60:
	s_clause 0x1
	s_load_b96 s[4:6], s[0:1], 0x1c
	s_load_b96 s[8:10], s[0:1], 0xdc
	s_wait_kmcnt 0x0
	v_mul_hi_u32 v7, s5, v5
	s_delay_alu instid0(VALU_DEP_1) | instskip(NEXT) | instid1(VALU_DEP_1)
	v_add_nc_u32_e32 v7, v5, v7
	v_lshrrev_b32_e32 v7, s6, v7
	s_delay_alu instid0(VALU_DEP_1) | instskip(NEXT) | instid1(VALU_DEP_1)
	v_mul_lo_u32 v7, v7, s4
	v_sub_nc_u32_e32 v5, v5, v7
	s_delay_alu instid0(VALU_DEP_1)
	v_mad_u32 v1, v5, s8, v1
	v_mad_u32 v2, v5, s9, v2
	;; [unrolled: 1-line block ×3, first 2 shown]
	s_and_not1_b32 vcc_lo, exec_lo, s2
	s_cbranch_vccz .LBB37_64
	s_branch .LBB37_67
.LBB37_61:
	s_endpgm
.LBB37_62:
	s_mov_b32 s2, -1
                                        ; implicit-def: $vgpr3
                                        ; implicit-def: $vgpr2
                                        ; implicit-def: $vgpr1
.LBB37_63:
	s_delay_alu instid0(SALU_CYCLE_1)
	s_and_not1_b32 vcc_lo, exec_lo, s2
	s_cbranch_vccnz .LBB37_67
.LBB37_64:
	s_clause 0x1
	s_load_b96 s[0:2], s[12:13], 0x4
	s_load_b96 s[4:6], s[12:13], 0xc4
	s_cmp_lt_u32 s26, 2
	s_wait_kmcnt 0x0
	v_mul_hi_u32 v1, s1, v0
	s_delay_alu instid0(VALU_DEP_1) | instskip(NEXT) | instid1(VALU_DEP_1)
	v_add_nc_u32_e32 v1, v0, v1
	v_lshrrev_b32_e32 v5, s2, v1
	s_delay_alu instid0(VALU_DEP_1) | instskip(NEXT) | instid1(VALU_DEP_1)
	v_mul_lo_u32 v1, v5, s0
	v_sub_nc_u32_e32 v2, v0, v1
	s_delay_alu instid0(VALU_DEP_1)
	v_mul_lo_u32 v1, v2, s4
	v_mul_lo_u32 v3, v2, s6
	;; [unrolled: 1-line block ×3, first 2 shown]
	s_cbranch_scc1 .LBB37_67
; %bb.65:
	s_clause 0x1
	s_load_b96 s[0:2], s[12:13], 0x10
	s_load_b96 s[4:6], s[12:13], 0xd0
	s_wait_kmcnt 0x0
	v_mul_hi_u32 v7, s1, v5
	s_delay_alu instid0(VALU_DEP_1) | instskip(NEXT) | instid1(VALU_DEP_1)
	v_add_nc_u32_e32 v7, v5, v7
	v_lshrrev_b32_e32 v7, s2, v7
	s_delay_alu instid0(VALU_DEP_1) | instskip(NEXT) | instid1(VALU_DEP_1)
	v_mul_lo_u32 v7, v7, s0
	v_sub_nc_u32_e32 v5, v5, v7
	s_delay_alu instid0(VALU_DEP_1)
	v_mad_u32 v1, v5, s4, v1
	v_mad_u32 v2, v5, s5, v2
	v_mad_u32 v3, v5, s6, v3
	s_branch .LBB37_67
.LBB37_66:
	v_dual_mov_b32 v3, 0 :: v_dual_mov_b32 v2, 0
	v_mov_b32_e32 v1, 0
	s_and_not1_b32 vcc_lo, exec_lo, s2
	s_cbranch_vccz .LBB37_64
.LBB37_67:
	v_cmp_ne_u32_e32 vcc_lo, 1, v6
	v_add_nc_u32_e32 v9, 0x80, v0
	s_cbranch_vccnz .LBB37_73
; %bb.68:
	s_cmp_lg_u32 s26, 0
	s_mov_b32 s2, 0
	s_cbranch_scc0 .LBB37_77
; %bb.69:
	s_min_u32 s3, s27, 15
	v_dual_mov_b32 v5, 0 :: v_dual_mov_b32 v10, v9
	v_dual_mov_b32 v7, 0 :: v_dual_mov_b32 v8, 0
	s_add_co_i32 s4, s3, 1
	s_mov_b64 s[0:1], 0xffffffffffffffe8
	s_and_b32 s4, s4, 30
	s_add_nc_u64 s[0:1], s[12:13], s[0:1]
.LBB37_70:                              ; =>This Inner Loop Header: Depth=1
	s_clause 0x1
	s_load_b128 s[8:11], s[0:1], 0x1c
	s_load_b64 s[6:7], s[0:1], 0x2c
	s_add_co_i32 s4, s4, -2
	s_delay_alu instid0(SALU_CYCLE_1) | instskip(SKIP_2) | instid1(VALU_DEP_1)
	s_cmp_lg_u32 s4, 0
	s_wait_kmcnt 0x0
	v_mul_hi_u32 v11, s9, v10
	v_add_nc_u32_e32 v11, v10, v11
	s_delay_alu instid0(VALU_DEP_1) | instskip(NEXT) | instid1(VALU_DEP_1)
	v_lshrrev_b32_e32 v11, s10, v11
	v_mul_hi_u32 v12, s6, v11
	v_mul_lo_u32 v13, v11, s8
	s_clause 0x1
	s_load_b128 s[16:19], s[0:1], 0xdc
	s_load_b64 s[8:9], s[0:1], 0xec
	s_wait_xcnt 0x0
	s_add_nc_u64 s[0:1], s[0:1], 24
	s_delay_alu instid0(VALU_DEP_1) | instskip(NEXT) | instid1(VALU_DEP_1)
	v_dual_add_nc_u32 v12, v11, v12 :: v_dual_sub_nc_u32 v13, v10, v13
	v_lshrrev_b32_e32 v10, s7, v12
	s_wait_kmcnt 0x0
	s_delay_alu instid0(VALU_DEP_2) | instskip(NEXT) | instid1(VALU_DEP_2)
	v_mad_u32 v5, v13, s16, v5
	v_mul_lo_u32 v12, v10, s11
	v_mad_u32 v8, v13, s18, v8
	v_mad_u32 v7, v13, s17, v7
	s_delay_alu instid0(VALU_DEP_3) | instskip(NEXT) | instid1(VALU_DEP_1)
	v_sub_nc_u32_e32 v11, v11, v12
	v_mad_u32 v5, v11, s19, v5
	s_delay_alu instid0(VALU_DEP_4) | instskip(NEXT) | instid1(VALU_DEP_4)
	v_mad_u32 v8, v11, s9, v8
	v_mad_u32 v7, v11, s8, v7
	s_cbranch_scc1 .LBB37_70
; %bb.71:
	s_bitcmp1_b32 s3, 0
	s_cselect_b32 s3, -1, 0
	s_delay_alu instid0(SALU_CYCLE_1)
	s_and_b32 vcc_lo, exec_lo, s3
	s_cbranch_vccnz .LBB37_74
; %bb.72:
	s_clause 0x1
	s_load_b96 s[4:6], s[0:1], 0x1c
	s_load_b96 s[8:10], s[0:1], 0xdc
	s_wait_kmcnt 0x0
	v_mul_hi_u32 v11, s5, v10
	s_delay_alu instid0(VALU_DEP_1) | instskip(NEXT) | instid1(VALU_DEP_1)
	v_add_nc_u32_e32 v11, v10, v11
	v_lshrrev_b32_e32 v11, s6, v11
	s_delay_alu instid0(VALU_DEP_1) | instskip(NEXT) | instid1(VALU_DEP_1)
	v_mul_lo_u32 v11, v11, s4
	v_sub_nc_u32_e32 v10, v10, v11
	s_delay_alu instid0(VALU_DEP_1)
	v_mad_u32 v5, v10, s8, v5
	v_mad_u32 v7, v10, s9, v7
	;; [unrolled: 1-line block ×3, first 2 shown]
	s_and_not1_b32 vcc_lo, exec_lo, s2
	s_cbranch_vccz .LBB37_75
	s_branch .LBB37_78
.LBB37_73:
	s_mov_b32 s2, -1
                                        ; implicit-def: $vgpr8
                                        ; implicit-def: $vgpr7
                                        ; implicit-def: $vgpr5
.LBB37_74:
	s_delay_alu instid0(SALU_CYCLE_1)
	s_and_not1_b32 vcc_lo, exec_lo, s2
	s_cbranch_vccnz .LBB37_78
.LBB37_75:
	s_clause 0x1
	s_load_b96 s[0:2], s[12:13], 0x4
	s_load_b96 s[4:6], s[12:13], 0xc4
	s_cmp_lt_u32 s26, 2
	s_wait_kmcnt 0x0
	v_mul_hi_u32 v5, s1, v9
	s_delay_alu instid0(VALU_DEP_1) | instskip(NEXT) | instid1(VALU_DEP_1)
	v_add_nc_u32_e32 v5, v9, v5
	v_lshrrev_b32_e32 v10, s2, v5
	s_delay_alu instid0(VALU_DEP_1) | instskip(NEXT) | instid1(VALU_DEP_1)
	v_mul_lo_u32 v5, v10, s0
	v_sub_nc_u32_e32 v7, v9, v5
	s_delay_alu instid0(VALU_DEP_1)
	v_mul_lo_u32 v5, v7, s4
	v_mul_lo_u32 v8, v7, s6
	;; [unrolled: 1-line block ×3, first 2 shown]
	s_cbranch_scc1 .LBB37_78
; %bb.76:
	s_clause 0x1
	s_load_b96 s[0:2], s[12:13], 0x10
	s_load_b96 s[4:6], s[12:13], 0xd0
	s_wait_kmcnt 0x0
	v_mul_hi_u32 v9, s1, v10
	s_delay_alu instid0(VALU_DEP_1) | instskip(NEXT) | instid1(VALU_DEP_1)
	v_add_nc_u32_e32 v9, v10, v9
	v_lshrrev_b32_e32 v9, s2, v9
	s_delay_alu instid0(VALU_DEP_1) | instskip(NEXT) | instid1(VALU_DEP_1)
	v_mul_lo_u32 v9, v9, s0
	v_sub_nc_u32_e32 v9, v10, v9
	s_delay_alu instid0(VALU_DEP_1)
	v_mad_u32 v5, v9, s4, v5
	v_mad_u32 v7, v9, s5, v7
	v_mad_u32 v8, v9, s6, v8
	s_branch .LBB37_78
.LBB37_77:
	v_dual_mov_b32 v8, 0 :: v_dual_mov_b32 v7, 0
	v_mov_b32_e32 v5, 0
	s_and_not1_b32 vcc_lo, exec_lo, s2
	s_cbranch_vccz .LBB37_75
.LBB37_78:
	v_cmp_ne_u32_e32 vcc_lo, 1, v6
	v_add_nc_u32_e32 v11, 0x100, v0
	s_cbranch_vccnz .LBB37_84
; %bb.79:
	s_cmp_lg_u32 s26, 0
	s_mov_b32 s2, 0
	s_cbranch_scc0 .LBB37_88
; %bb.80:
	s_min_u32 s3, s27, 15
	v_dual_mov_b32 v0, 0 :: v_dual_mov_b32 v12, v11
	v_dual_mov_b32 v10, 0 :: v_dual_mov_b32 v9, 0
	s_add_co_i32 s4, s3, 1
	s_mov_b64 s[0:1], 0xffffffffffffffe8
	s_and_b32 s4, s4, 30
	s_add_nc_u64 s[0:1], s[12:13], s[0:1]
.LBB37_81:                              ; =>This Inner Loop Header: Depth=1
	s_clause 0x1
	s_load_b128 s[8:11], s[0:1], 0x1c
	s_load_b64 s[6:7], s[0:1], 0x2c
	s_add_co_i32 s4, s4, -2
	s_delay_alu instid0(SALU_CYCLE_1) | instskip(SKIP_2) | instid1(VALU_DEP_1)
	s_cmp_lg_u32 s4, 0
	s_wait_kmcnt 0x0
	v_mul_hi_u32 v13, s9, v12
	v_add_nc_u32_e32 v13, v12, v13
	s_delay_alu instid0(VALU_DEP_1) | instskip(NEXT) | instid1(VALU_DEP_1)
	v_lshrrev_b32_e32 v13, s10, v13
	v_mul_hi_u32 v14, s6, v13
	v_mul_lo_u32 v15, v13, s8
	s_clause 0x1
	s_load_b128 s[16:19], s[0:1], 0xdc
	s_load_b64 s[8:9], s[0:1], 0xec
	s_wait_xcnt 0x0
	s_add_nc_u64 s[0:1], s[0:1], 24
	s_delay_alu instid0(VALU_DEP_1) | instskip(NEXT) | instid1(VALU_DEP_1)
	v_dual_add_nc_u32 v14, v13, v14 :: v_dual_sub_nc_u32 v15, v12, v15
	v_lshrrev_b32_e32 v12, s7, v14
	s_wait_kmcnt 0x0
	s_delay_alu instid0(VALU_DEP_2) | instskip(NEXT) | instid1(VALU_DEP_2)
	v_mad_u32 v0, v15, s16, v0
	v_mul_lo_u32 v14, v12, s11
	v_mad_u32 v9, v15, s18, v9
	v_mad_u32 v10, v15, s17, v10
	s_delay_alu instid0(VALU_DEP_3) | instskip(NEXT) | instid1(VALU_DEP_1)
	v_sub_nc_u32_e32 v13, v13, v14
	v_mad_u32 v0, v13, s19, v0
	s_delay_alu instid0(VALU_DEP_4) | instskip(NEXT) | instid1(VALU_DEP_4)
	v_mad_u32 v9, v13, s9, v9
	v_mad_u32 v10, v13, s8, v10
	s_cbranch_scc1 .LBB37_81
; %bb.82:
	s_bitcmp1_b32 s3, 0
	s_cselect_b32 s3, -1, 0
	s_delay_alu instid0(SALU_CYCLE_1)
	s_and_b32 vcc_lo, exec_lo, s3
	s_cbranch_vccnz .LBB37_85
; %bb.83:
	s_clause 0x1
	s_load_b96 s[4:6], s[0:1], 0x1c
	s_load_b96 s[8:10], s[0:1], 0xdc
	s_wait_kmcnt 0x0
	v_mul_hi_u32 v13, s5, v12
	s_delay_alu instid0(VALU_DEP_1) | instskip(NEXT) | instid1(VALU_DEP_1)
	v_add_nc_u32_e32 v13, v12, v13
	v_lshrrev_b32_e32 v13, s6, v13
	s_delay_alu instid0(VALU_DEP_1) | instskip(NEXT) | instid1(VALU_DEP_1)
	v_mul_lo_u32 v13, v13, s4
	v_sub_nc_u32_e32 v12, v12, v13
	s_delay_alu instid0(VALU_DEP_1)
	v_mad_u32 v0, v12, s8, v0
	v_mad_u32 v10, v12, s9, v10
	;; [unrolled: 1-line block ×3, first 2 shown]
	s_and_not1_b32 vcc_lo, exec_lo, s2
	s_cbranch_vccz .LBB37_86
	s_branch .LBB37_89
.LBB37_84:
	s_mov_b32 s2, -1
                                        ; implicit-def: $vgpr9
                                        ; implicit-def: $vgpr10
                                        ; implicit-def: $vgpr0
.LBB37_85:
	s_delay_alu instid0(SALU_CYCLE_1)
	s_and_not1_b32 vcc_lo, exec_lo, s2
	s_cbranch_vccnz .LBB37_89
.LBB37_86:
	s_clause 0x1
	s_load_b96 s[0:2], s[12:13], 0x4
	s_load_b96 s[4:6], s[12:13], 0xc4
	s_cmp_lt_u32 s26, 2
	s_wait_kmcnt 0x0
	v_mul_hi_u32 v0, s1, v11
	s_delay_alu instid0(VALU_DEP_1) | instskip(NEXT) | instid1(VALU_DEP_1)
	v_add_nc_u32_e32 v0, v11, v0
	v_lshrrev_b32_e32 v12, s2, v0
	s_delay_alu instid0(VALU_DEP_1) | instskip(NEXT) | instid1(VALU_DEP_1)
	v_mul_lo_u32 v0, v12, s0
	v_sub_nc_u32_e32 v10, v11, v0
	s_delay_alu instid0(VALU_DEP_1)
	v_mul_lo_u32 v0, v10, s4
	v_mul_lo_u32 v9, v10, s6
	;; [unrolled: 1-line block ×3, first 2 shown]
	s_cbranch_scc1 .LBB37_89
; %bb.87:
	s_clause 0x1
	s_load_b96 s[0:2], s[12:13], 0x10
	s_load_b96 s[4:6], s[12:13], 0xd0
	s_wait_kmcnt 0x0
	v_mul_hi_u32 v11, s1, v12
	s_delay_alu instid0(VALU_DEP_1) | instskip(NEXT) | instid1(VALU_DEP_1)
	v_add_nc_u32_e32 v11, v12, v11
	v_lshrrev_b32_e32 v11, s2, v11
	s_delay_alu instid0(VALU_DEP_1) | instskip(NEXT) | instid1(VALU_DEP_1)
	v_mul_lo_u32 v11, v11, s0
	v_sub_nc_u32_e32 v11, v12, v11
	s_delay_alu instid0(VALU_DEP_1)
	v_mad_u32 v0, v11, s4, v0
	v_mad_u32 v10, v11, s5, v10
	;; [unrolled: 1-line block ×3, first 2 shown]
	s_branch .LBB37_89
.LBB37_88:
	v_dual_mov_b32 v9, 0 :: v_dual_mov_b32 v10, 0
	v_mov_b32_e32 v0, 0
	s_and_not1_b32 vcc_lo, exec_lo, s2
	s_cbranch_vccz .LBB37_86
.LBB37_89:
	v_cmp_ne_u32_e32 vcc_lo, 1, v6
	s_cbranch_vccnz .LBB37_95
; %bb.90:
	s_cmp_lg_u32 s26, 0
	s_mov_b32 s2, 0
	s_cbranch_scc0 .LBB37_99
; %bb.91:
	s_min_u32 s3, s27, 15
	v_dual_mov_b32 v6, 0 :: v_dual_mov_b32 v13, v4
	v_dual_mov_b32 v12, 0 :: v_dual_mov_b32 v11, 0
	s_add_co_i32 s4, s3, 1
	s_mov_b64 s[0:1], 0xffffffffffffffe8
	s_and_b32 s4, s4, 30
	s_add_nc_u64 s[0:1], s[12:13], s[0:1]
.LBB37_92:                              ; =>This Inner Loop Header: Depth=1
	s_clause 0x1
	s_load_b128 s[8:11], s[0:1], 0x1c
	s_load_b64 s[6:7], s[0:1], 0x2c
	s_add_co_i32 s4, s4, -2
	s_delay_alu instid0(SALU_CYCLE_1) | instskip(SKIP_2) | instid1(VALU_DEP_1)
	s_cmp_lg_u32 s4, 0
	s_wait_kmcnt 0x0
	v_mul_hi_u32 v14, s9, v13
	v_add_nc_u32_e32 v14, v13, v14
	s_delay_alu instid0(VALU_DEP_1) | instskip(NEXT) | instid1(VALU_DEP_1)
	v_lshrrev_b32_e32 v14, s10, v14
	v_mul_hi_u32 v15, s6, v14
	v_mul_lo_u32 v16, v14, s8
	s_clause 0x1
	s_load_b128 s[16:19], s[0:1], 0xdc
	s_load_b64 s[8:9], s[0:1], 0xec
	s_wait_xcnt 0x0
	s_add_nc_u64 s[0:1], s[0:1], 24
	s_delay_alu instid0(VALU_DEP_1) | instskip(NEXT) | instid1(VALU_DEP_1)
	v_dual_add_nc_u32 v15, v14, v15 :: v_dual_sub_nc_u32 v16, v13, v16
	v_lshrrev_b32_e32 v13, s7, v15
	s_wait_kmcnt 0x0
	s_delay_alu instid0(VALU_DEP_2) | instskip(NEXT) | instid1(VALU_DEP_2)
	v_mad_u32 v6, v16, s16, v6
	v_mul_lo_u32 v15, v13, s11
	v_mad_u32 v11, v16, s18, v11
	v_mad_u32 v12, v16, s17, v12
	s_delay_alu instid0(VALU_DEP_3) | instskip(NEXT) | instid1(VALU_DEP_1)
	v_sub_nc_u32_e32 v14, v14, v15
	v_mad_u32 v6, v14, s19, v6
	s_delay_alu instid0(VALU_DEP_4) | instskip(NEXT) | instid1(VALU_DEP_4)
	v_mad_u32 v11, v14, s9, v11
	v_mad_u32 v12, v14, s8, v12
	s_cbranch_scc1 .LBB37_92
; %bb.93:
	s_bitcmp1_b32 s3, 0
	s_cselect_b32 s3, -1, 0
	s_delay_alu instid0(SALU_CYCLE_1)
	s_and_b32 vcc_lo, exec_lo, s3
	s_cbranch_vccnz .LBB37_96
; %bb.94:
	s_clause 0x1
	s_load_b96 s[4:6], s[0:1], 0x1c
	s_load_b96 s[8:10], s[0:1], 0xdc
	s_wait_kmcnt 0x0
	v_mul_hi_u32 v14, s5, v13
	s_delay_alu instid0(VALU_DEP_1) | instskip(NEXT) | instid1(VALU_DEP_1)
	v_add_nc_u32_e32 v14, v13, v14
	v_lshrrev_b32_e32 v14, s6, v14
	s_delay_alu instid0(VALU_DEP_1) | instskip(NEXT) | instid1(VALU_DEP_1)
	v_mul_lo_u32 v14, v14, s4
	v_sub_nc_u32_e32 v13, v13, v14
	s_delay_alu instid0(VALU_DEP_1)
	v_mad_u32 v6, v13, s8, v6
	v_mad_u32 v12, v13, s9, v12
	;; [unrolled: 1-line block ×3, first 2 shown]
	s_and_not1_b32 vcc_lo, exec_lo, s2
	s_cbranch_vccz .LBB37_97
	s_branch .LBB37_100
.LBB37_95:
	s_mov_b32 s2, -1
                                        ; implicit-def: $vgpr11
                                        ; implicit-def: $vgpr12
                                        ; implicit-def: $vgpr6
.LBB37_96:
	s_delay_alu instid0(SALU_CYCLE_1)
	s_and_not1_b32 vcc_lo, exec_lo, s2
	s_cbranch_vccnz .LBB37_100
.LBB37_97:
	s_clause 0x1
	s_load_b96 s[0:2], s[12:13], 0x4
	s_load_b96 s[4:6], s[12:13], 0xc4
	s_cmp_lt_u32 s26, 2
	s_wait_kmcnt 0x0
	v_mul_hi_u32 v6, s1, v4
	s_delay_alu instid0(VALU_DEP_1) | instskip(NEXT) | instid1(VALU_DEP_1)
	v_add_nc_u32_e32 v6, v4, v6
	v_lshrrev_b32_e32 v13, s2, v6
	s_delay_alu instid0(VALU_DEP_1) | instskip(NEXT) | instid1(VALU_DEP_1)
	v_mul_lo_u32 v6, v13, s0
	v_sub_nc_u32_e32 v4, v4, v6
	s_delay_alu instid0(VALU_DEP_1)
	v_mul_lo_u32 v6, v4, s4
	v_mul_lo_u32 v11, v4, s6
	;; [unrolled: 1-line block ×3, first 2 shown]
	s_cbranch_scc1 .LBB37_100
; %bb.98:
	s_clause 0x1
	s_load_b96 s[0:2], s[12:13], 0x10
	s_load_b96 s[4:6], s[12:13], 0xd0
	s_wait_kmcnt 0x0
	v_mul_hi_u32 v4, s1, v13
	s_delay_alu instid0(VALU_DEP_1) | instskip(NEXT) | instid1(VALU_DEP_1)
	v_add_nc_u32_e32 v4, v13, v4
	v_lshrrev_b32_e32 v4, s2, v4
	s_delay_alu instid0(VALU_DEP_1) | instskip(NEXT) | instid1(VALU_DEP_1)
	v_mul_lo_u32 v4, v4, s0
	v_sub_nc_u32_e32 v4, v13, v4
	s_delay_alu instid0(VALU_DEP_1)
	v_mad_u32 v6, v4, s4, v6
	v_mad_u32 v12, v4, s5, v12
	;; [unrolled: 1-line block ×3, first 2 shown]
	s_branch .LBB37_100
.LBB37_99:
	v_dual_mov_b32 v11, 0 :: v_dual_mov_b32 v12, 0
	v_mov_b32_e32 v6, 0
	s_and_not1_b32 vcc_lo, exec_lo, s2
	s_cbranch_vccz .LBB37_97
.LBB37_100:
	s_clause 0x1
	s_load_b64 s[4:5], s[12:13], 0x198
	s_load_b128 s[0:3], s[12:13], 0x188
	s_wait_kmcnt 0x0
	s_clause 0x3
	global_load_u16 v4, v3, s[4:5]
	global_load_u16 v13, v8, s[4:5]
	;; [unrolled: 1-line block ×4, first 2 shown]
	s_clause 0x3
	global_load_b32 v16, v2, s[2:3]
	global_load_b32 v17, v7, s[2:3]
	;; [unrolled: 1-line block ×4, first 2 shown]
	s_wait_loadcnt 0x7
	s_wait_xcnt 0x3
	v_cvt_f32_f16_e32 v2, v4
	s_wait_loadcnt 0x6
	v_cvt_f32_f16_e32 v3, v13
	s_wait_loadcnt 0x5
	;; [unrolled: 2-line block ×3, first 2 shown]
	s_wait_xcnt 0x2
	v_cvt_f32_f16_e32 v7, v15
	s_wait_loadcnt 0x3
	v_cmp_lt_f32_e32 vcc_lo, 0, v16
	s_wait_loadcnt 0x2
	v_dual_mul_f32 v2, v16, v2 :: v_dual_mul_f32 v3, v17, v3
	s_wait_loadcnt 0x0
	v_dual_mul_f32 v4, v18, v4 :: v_dual_mul_f32 v7, v19, v7
	s_delay_alu instid0(VALU_DEP_2)
	v_cndmask_b32_e32 v2, v2, v16, vcc_lo
	v_cmp_lt_f32_e32 vcc_lo, 0, v17
	v_cndmask_b32_e32 v3, v3, v17, vcc_lo
	v_cmp_lt_f32_e32 vcc_lo, 0, v18
	;; [unrolled: 2-line block ×3, first 2 shown]
	v_cndmask_b32_e32 v7, v7, v19, vcc_lo
	s_clause 0x3
	global_store_b32 v1, v2, s[0:1]
	global_store_b32 v5, v3, s[0:1]
	global_store_b32 v0, v4, s[0:1]
	global_store_b32 v6, v7, s[0:1]
	s_endpgm
	.section	.rodata,"a",@progbits
	.p2align	6, 0x0
	.amdhsa_kernel _ZN2at6native32elementwise_kernel_manual_unrollILi128ELi4EZNS0_12_GLOBAL__N_142type_specialized_broadcast_kernel_launcherILi3EE5applyIZZZNS0_12prelu_kernelERNS_14TensorIteratorEENKUlvE_clEvENKUlvE0_clEvEUlffE_St5arrayIPcLm3EESB_IN3c1010ScalarTypeELm3EE16OffsetCalculatorILi3EjLb0EEEEvlT_T0_T1_T2_EUlibE_EEviSL_
		.amdhsa_group_segment_fixed_size 0
		.amdhsa_private_segment_fixed_size 0
		.amdhsa_kernarg_size 432
		.amdhsa_user_sgpr_count 2
		.amdhsa_user_sgpr_dispatch_ptr 0
		.amdhsa_user_sgpr_queue_ptr 0
		.amdhsa_user_sgpr_kernarg_segment_ptr 1
		.amdhsa_user_sgpr_dispatch_id 0
		.amdhsa_user_sgpr_kernarg_preload_length 0
		.amdhsa_user_sgpr_kernarg_preload_offset 0
		.amdhsa_user_sgpr_private_segment_size 0
		.amdhsa_wavefront_size32 1
		.amdhsa_uses_dynamic_stack 0
		.amdhsa_enable_private_segment 0
		.amdhsa_system_sgpr_workgroup_id_x 1
		.amdhsa_system_sgpr_workgroup_id_y 0
		.amdhsa_system_sgpr_workgroup_id_z 0
		.amdhsa_system_sgpr_workgroup_info 0
		.amdhsa_system_vgpr_workitem_id 0
		.amdhsa_next_free_vgpr 20
		.amdhsa_next_free_sgpr 46
		.amdhsa_named_barrier_count 0
		.amdhsa_reserve_vcc 1
		.amdhsa_float_round_mode_32 0
		.amdhsa_float_round_mode_16_64 0
		.amdhsa_float_denorm_mode_32 3
		.amdhsa_float_denorm_mode_16_64 3
		.amdhsa_fp16_overflow 0
		.amdhsa_memory_ordered 1
		.amdhsa_forward_progress 1
		.amdhsa_inst_pref_size 44
		.amdhsa_round_robin_scheduling 0
		.amdhsa_exception_fp_ieee_invalid_op 0
		.amdhsa_exception_fp_denorm_src 0
		.amdhsa_exception_fp_ieee_div_zero 0
		.amdhsa_exception_fp_ieee_overflow 0
		.amdhsa_exception_fp_ieee_underflow 0
		.amdhsa_exception_fp_ieee_inexact 0
		.amdhsa_exception_int_div_zero 0
	.end_amdhsa_kernel
	.section	.text._ZN2at6native32elementwise_kernel_manual_unrollILi128ELi4EZNS0_12_GLOBAL__N_142type_specialized_broadcast_kernel_launcherILi3EE5applyIZZZNS0_12prelu_kernelERNS_14TensorIteratorEENKUlvE_clEvENKUlvE0_clEvEUlffE_St5arrayIPcLm3EESB_IN3c1010ScalarTypeELm3EE16OffsetCalculatorILi3EjLb0EEEEvlT_T0_T1_T2_EUlibE_EEviSL_,"axG",@progbits,_ZN2at6native32elementwise_kernel_manual_unrollILi128ELi4EZNS0_12_GLOBAL__N_142type_specialized_broadcast_kernel_launcherILi3EE5applyIZZZNS0_12prelu_kernelERNS_14TensorIteratorEENKUlvE_clEvENKUlvE0_clEvEUlffE_St5arrayIPcLm3EESB_IN3c1010ScalarTypeELm3EE16OffsetCalculatorILi3EjLb0EEEEvlT_T0_T1_T2_EUlibE_EEviSL_,comdat
.Lfunc_end37:
	.size	_ZN2at6native32elementwise_kernel_manual_unrollILi128ELi4EZNS0_12_GLOBAL__N_142type_specialized_broadcast_kernel_launcherILi3EE5applyIZZZNS0_12prelu_kernelERNS_14TensorIteratorEENKUlvE_clEvENKUlvE0_clEvEUlffE_St5arrayIPcLm3EESB_IN3c1010ScalarTypeELm3EE16OffsetCalculatorILi3EjLb0EEEEvlT_T0_T1_T2_EUlibE_EEviSL_, .Lfunc_end37-_ZN2at6native32elementwise_kernel_manual_unrollILi128ELi4EZNS0_12_GLOBAL__N_142type_specialized_broadcast_kernel_launcherILi3EE5applyIZZZNS0_12prelu_kernelERNS_14TensorIteratorEENKUlvE_clEvENKUlvE0_clEvEUlffE_St5arrayIPcLm3EESB_IN3c1010ScalarTypeELm3EE16OffsetCalculatorILi3EjLb0EEEEvlT_T0_T1_T2_EUlibE_EEviSL_
                                        ; -- End function
	.set _ZN2at6native32elementwise_kernel_manual_unrollILi128ELi4EZNS0_12_GLOBAL__N_142type_specialized_broadcast_kernel_launcherILi3EE5applyIZZZNS0_12prelu_kernelERNS_14TensorIteratorEENKUlvE_clEvENKUlvE0_clEvEUlffE_St5arrayIPcLm3EESB_IN3c1010ScalarTypeELm3EE16OffsetCalculatorILi3EjLb0EEEEvlT_T0_T1_T2_EUlibE_EEviSL_.num_vgpr, 20
	.set _ZN2at6native32elementwise_kernel_manual_unrollILi128ELi4EZNS0_12_GLOBAL__N_142type_specialized_broadcast_kernel_launcherILi3EE5applyIZZZNS0_12prelu_kernelERNS_14TensorIteratorEENKUlvE_clEvENKUlvE0_clEvEUlffE_St5arrayIPcLm3EESB_IN3c1010ScalarTypeELm3EE16OffsetCalculatorILi3EjLb0EEEEvlT_T0_T1_T2_EUlibE_EEviSL_.num_agpr, 0
	.set _ZN2at6native32elementwise_kernel_manual_unrollILi128ELi4EZNS0_12_GLOBAL__N_142type_specialized_broadcast_kernel_launcherILi3EE5applyIZZZNS0_12prelu_kernelERNS_14TensorIteratorEENKUlvE_clEvENKUlvE0_clEvEUlffE_St5arrayIPcLm3EESB_IN3c1010ScalarTypeELm3EE16OffsetCalculatorILi3EjLb0EEEEvlT_T0_T1_T2_EUlibE_EEviSL_.numbered_sgpr, 46
	.set _ZN2at6native32elementwise_kernel_manual_unrollILi128ELi4EZNS0_12_GLOBAL__N_142type_specialized_broadcast_kernel_launcherILi3EE5applyIZZZNS0_12prelu_kernelERNS_14TensorIteratorEENKUlvE_clEvENKUlvE0_clEvEUlffE_St5arrayIPcLm3EESB_IN3c1010ScalarTypeELm3EE16OffsetCalculatorILi3EjLb0EEEEvlT_T0_T1_T2_EUlibE_EEviSL_.num_named_barrier, 0
	.set _ZN2at6native32elementwise_kernel_manual_unrollILi128ELi4EZNS0_12_GLOBAL__N_142type_specialized_broadcast_kernel_launcherILi3EE5applyIZZZNS0_12prelu_kernelERNS_14TensorIteratorEENKUlvE_clEvENKUlvE0_clEvEUlffE_St5arrayIPcLm3EESB_IN3c1010ScalarTypeELm3EE16OffsetCalculatorILi3EjLb0EEEEvlT_T0_T1_T2_EUlibE_EEviSL_.private_seg_size, 0
	.set _ZN2at6native32elementwise_kernel_manual_unrollILi128ELi4EZNS0_12_GLOBAL__N_142type_specialized_broadcast_kernel_launcherILi3EE5applyIZZZNS0_12prelu_kernelERNS_14TensorIteratorEENKUlvE_clEvENKUlvE0_clEvEUlffE_St5arrayIPcLm3EESB_IN3c1010ScalarTypeELm3EE16OffsetCalculatorILi3EjLb0EEEEvlT_T0_T1_T2_EUlibE_EEviSL_.uses_vcc, 1
	.set _ZN2at6native32elementwise_kernel_manual_unrollILi128ELi4EZNS0_12_GLOBAL__N_142type_specialized_broadcast_kernel_launcherILi3EE5applyIZZZNS0_12prelu_kernelERNS_14TensorIteratorEENKUlvE_clEvENKUlvE0_clEvEUlffE_St5arrayIPcLm3EESB_IN3c1010ScalarTypeELm3EE16OffsetCalculatorILi3EjLb0EEEEvlT_T0_T1_T2_EUlibE_EEviSL_.uses_flat_scratch, 0
	.set _ZN2at6native32elementwise_kernel_manual_unrollILi128ELi4EZNS0_12_GLOBAL__N_142type_specialized_broadcast_kernel_launcherILi3EE5applyIZZZNS0_12prelu_kernelERNS_14TensorIteratorEENKUlvE_clEvENKUlvE0_clEvEUlffE_St5arrayIPcLm3EESB_IN3c1010ScalarTypeELm3EE16OffsetCalculatorILi3EjLb0EEEEvlT_T0_T1_T2_EUlibE_EEviSL_.has_dyn_sized_stack, 0
	.set _ZN2at6native32elementwise_kernel_manual_unrollILi128ELi4EZNS0_12_GLOBAL__N_142type_specialized_broadcast_kernel_launcherILi3EE5applyIZZZNS0_12prelu_kernelERNS_14TensorIteratorEENKUlvE_clEvENKUlvE0_clEvEUlffE_St5arrayIPcLm3EESB_IN3c1010ScalarTypeELm3EE16OffsetCalculatorILi3EjLb0EEEEvlT_T0_T1_T2_EUlibE_EEviSL_.has_recursion, 0
	.set _ZN2at6native32elementwise_kernel_manual_unrollILi128ELi4EZNS0_12_GLOBAL__N_142type_specialized_broadcast_kernel_launcherILi3EE5applyIZZZNS0_12prelu_kernelERNS_14TensorIteratorEENKUlvE_clEvENKUlvE0_clEvEUlffE_St5arrayIPcLm3EESB_IN3c1010ScalarTypeELm3EE16OffsetCalculatorILi3EjLb0EEEEvlT_T0_T1_T2_EUlibE_EEviSL_.has_indirect_call, 0
	.section	.AMDGPU.csdata,"",@progbits
; Kernel info:
; codeLenInByte = 5508
; TotalNumSgprs: 48
; NumVgprs: 20
; ScratchSize: 0
; MemoryBound: 0
; FloatMode: 240
; IeeeMode: 1
; LDSByteSize: 0 bytes/workgroup (compile time only)
; SGPRBlocks: 0
; VGPRBlocks: 1
; NumSGPRsForWavesPerEU: 48
; NumVGPRsForWavesPerEU: 20
; NamedBarCnt: 0
; Occupancy: 16
; WaveLimiterHint : 1
; COMPUTE_PGM_RSRC2:SCRATCH_EN: 0
; COMPUTE_PGM_RSRC2:USER_SGPR: 2
; COMPUTE_PGM_RSRC2:TRAP_HANDLER: 0
; COMPUTE_PGM_RSRC2:TGID_X_EN: 1
; COMPUTE_PGM_RSRC2:TGID_Y_EN: 0
; COMPUTE_PGM_RSRC2:TGID_Z_EN: 0
; COMPUTE_PGM_RSRC2:TIDIG_COMP_CNT: 0
	.section	.text._ZN2at6native32elementwise_kernel_manual_unrollILi128ELi4EZNS0_12_GLOBAL__N_142type_specialized_broadcast_kernel_launcherILi4EE5applyIZZZNS0_12prelu_kernelERNS_14TensorIteratorEENKUlvE_clEvENKUlvE0_clEvEUlffE_St5arrayIPcLm3EESB_IN3c1010ScalarTypeELm3EE16OffsetCalculatorILi3EjLb0EEEEvlT_T0_T1_T2_EUlibE_EEviSL_,"axG",@progbits,_ZN2at6native32elementwise_kernel_manual_unrollILi128ELi4EZNS0_12_GLOBAL__N_142type_specialized_broadcast_kernel_launcherILi4EE5applyIZZZNS0_12prelu_kernelERNS_14TensorIteratorEENKUlvE_clEvENKUlvE0_clEvEUlffE_St5arrayIPcLm3EESB_IN3c1010ScalarTypeELm3EE16OffsetCalculatorILi3EjLb0EEEEvlT_T0_T1_T2_EUlibE_EEviSL_,comdat
	.globl	_ZN2at6native32elementwise_kernel_manual_unrollILi128ELi4EZNS0_12_GLOBAL__N_142type_specialized_broadcast_kernel_launcherILi4EE5applyIZZZNS0_12prelu_kernelERNS_14TensorIteratorEENKUlvE_clEvENKUlvE0_clEvEUlffE_St5arrayIPcLm3EESB_IN3c1010ScalarTypeELm3EE16OffsetCalculatorILi3EjLb0EEEEvlT_T0_T1_T2_EUlibE_EEviSL_ ; -- Begin function _ZN2at6native32elementwise_kernel_manual_unrollILi128ELi4EZNS0_12_GLOBAL__N_142type_specialized_broadcast_kernel_launcherILi4EE5applyIZZZNS0_12prelu_kernelERNS_14TensorIteratorEENKUlvE_clEvENKUlvE0_clEvEUlffE_St5arrayIPcLm3EESB_IN3c1010ScalarTypeELm3EE16OffsetCalculatorILi3EjLb0EEEEvlT_T0_T1_T2_EUlibE_EEviSL_
	.p2align	8
	.type	_ZN2at6native32elementwise_kernel_manual_unrollILi128ELi4EZNS0_12_GLOBAL__N_142type_specialized_broadcast_kernel_launcherILi4EE5applyIZZZNS0_12prelu_kernelERNS_14TensorIteratorEENKUlvE_clEvENKUlvE0_clEvEUlffE_St5arrayIPcLm3EESB_IN3c1010ScalarTypeELm3EE16OffsetCalculatorILi3EjLb0EEEEvlT_T0_T1_T2_EUlibE_EEviSL_,@function
_ZN2at6native32elementwise_kernel_manual_unrollILi128ELi4EZNS0_12_GLOBAL__N_142type_specialized_broadcast_kernel_launcherILi4EE5applyIZZZNS0_12prelu_kernelERNS_14TensorIteratorEENKUlvE_clEvENKUlvE0_clEvEUlffE_St5arrayIPcLm3EESB_IN3c1010ScalarTypeELm3EE16OffsetCalculatorILi3EjLb0EEEEvlT_T0_T1_T2_EUlibE_EEviSL_: ; @_ZN2at6native32elementwise_kernel_manual_unrollILi128ELi4EZNS0_12_GLOBAL__N_142type_specialized_broadcast_kernel_launcherILi4EE5applyIZZZNS0_12prelu_kernelERNS_14TensorIteratorEENKUlvE_clEvENKUlvE0_clEvEUlffE_St5arrayIPcLm3EESB_IN3c1010ScalarTypeELm3EE16OffsetCalculatorILi3EjLb0EEEEvlT_T0_T1_T2_EUlibE_EEviSL_
; %bb.0:
	s_clause 0x1
	s_load_b32 s26, s[0:1], 0x8
	s_load_b32 s33, s[0:1], 0x0
	s_bfe_u32 s2, ttmp6, 0x4000c
	s_and_b32 s3, ttmp6, 15
	s_add_co_i32 s2, s2, 1
	s_getreg_b32 s4, hwreg(HW_REG_IB_STS2, 6, 4)
	s_mul_i32 s2, ttmp9, s2
	s_add_nc_u64 s[12:13], s[0:1], 8
	s_add_co_i32 s3, s3, s2
	s_cmp_eq_u32 s4, 0
	s_mov_b32 s21, 0
	s_cselect_b32 s2, ttmp9, s3
	s_wait_xcnt 0x0
	s_mov_b32 s0, exec_lo
	v_lshl_or_b32 v0, s2, 9, v0
	s_delay_alu instid0(VALU_DEP_1) | instskip(SKIP_2) | instid1(SALU_CYCLE_1)
	v_or_b32_e32 v4, 0x180, v0
	s_wait_kmcnt 0x0
	s_add_co_i32 s27, s26, -1
	s_cmp_gt_u32 s27, 1
	s_cselect_b32 s28, -1, 0
	v_cmpx_le_i32_e64 s33, v4
	s_xor_b32 s29, exec_lo, s0
	s_cbranch_execz .LBB38_54
; %bb.1:
	s_clause 0x5
	s_load_b128 s[4:7], s[12:13], 0x4
	s_load_b64 s[16:17], s[12:13], 0x14
	s_load_b128 s[8:11], s[12:13], 0xc4
	s_load_b64 s[18:19], s[12:13], 0xd4
	s_load_b64 s[14:15], s[12:13], 0x198
	s_load_b128 s[0:3], s[12:13], 0x188
	s_cmp_lg_u32 s26, 0
	s_mov_b32 s23, s21
	s_cselect_b32 s34, -1, 0
	s_min_u32 s31, s27, 15
	s_cmp_gt_u32 s26, 1
	s_cselect_b32 s30, -1, 0
	s_wait_kmcnt 0x0
	s_mov_b32 s20, s5
	s_mov_b32 s22, s16
	s_mov_b32 s5, exec_lo
	v_cmpx_gt_i32_e64 s33, v0
	s_cbranch_execnz .LBB38_5
; %bb.2:
	s_or_b32 exec_lo, exec_lo, s5
	s_delay_alu instid0(SALU_CYCLE_1)
	s_mov_b32 s5, exec_lo
	v_cmpx_gt_i32_e64 s33, v0
	s_cbranch_execnz .LBB38_17
.LBB38_3:
	s_or_b32 exec_lo, exec_lo, s5
	s_delay_alu instid0(SALU_CYCLE_1)
	s_mov_b32 s5, exec_lo
	v_cmpx_gt_i32_e64 s33, v0
	s_cbranch_execnz .LBB38_29
.LBB38_4:
	s_or_b32 exec_lo, exec_lo, s5
	s_delay_alu instid0(SALU_CYCLE_1)
	s_mov_b32 s5, exec_lo
	v_cmpx_gt_i32_e64 s33, v0
	s_cbranch_execnz .LBB38_41
	s_branch .LBB38_53
.LBB38_5:
	s_and_not1_b32 vcc_lo, exec_lo, s28
	s_cbranch_vccnz .LBB38_11
; %bb.6:
	s_and_not1_b32 vcc_lo, exec_lo, s34
	s_cbranch_vccnz .LBB38_12
; %bb.7:
	v_dual_mov_b32 v4, 0 :: v_dual_mov_b32 v1, v0
	v_dual_mov_b32 v6, 0 :: v_dual_mov_b32 v5, 0
	s_add_co_i32 s16, s31, 1
	s_mov_b64 s[24:25], 0xffffffffffffffe8
	s_and_b32 s16, s16, 30
	s_add_nc_u64 s[24:25], s[12:13], s[24:25]
.LBB38_8:                               ; =>This Inner Loop Header: Depth=1
	s_clause 0x1
	s_load_b128 s[36:39], s[24:25], 0x1c
	s_load_b64 s[44:45], s[24:25], 0x2c
	s_add_co_i32 s16, s16, -2
	s_delay_alu instid0(SALU_CYCLE_1) | instskip(SKIP_2) | instid1(VALU_DEP_1)
	s_cmp_lg_u32 s16, 0
	s_wait_kmcnt 0x0
	v_mul_hi_u32 v2, s37, v1
	v_add_nc_u32_e32 v2, v1, v2
	s_delay_alu instid0(VALU_DEP_1) | instskip(NEXT) | instid1(VALU_DEP_1)
	v_lshrrev_b32_e32 v2, s38, v2
	v_mul_hi_u32 v3, s44, v2
	v_mul_lo_u32 v7, v2, s36
	s_clause 0x1
	s_load_b128 s[40:43], s[24:25], 0xdc
	s_load_b64 s[36:37], s[24:25], 0xec
	s_wait_xcnt 0x0
	s_add_nc_u64 s[24:25], s[24:25], 24
	s_delay_alu instid0(VALU_DEP_2) | instskip(NEXT) | instid1(VALU_DEP_2)
	v_add_nc_u32_e32 v3, v2, v3
	v_sub_nc_u32_e32 v7, v1, v7
	s_delay_alu instid0(VALU_DEP_2) | instskip(SKIP_1) | instid1(VALU_DEP_2)
	v_lshrrev_b32_e32 v1, s45, v3
	s_wait_kmcnt 0x0
	v_mad_u32 v4, v7, s40, v4
	s_delay_alu instid0(VALU_DEP_2) | instskip(SKIP_2) | instid1(VALU_DEP_3)
	v_mul_lo_u32 v3, v1, s39
	v_mad_u32 v5, v7, s42, v5
	v_mad_u32 v6, v7, s41, v6
	v_sub_nc_u32_e32 v2, v2, v3
	s_delay_alu instid0(VALU_DEP_1) | instskip(NEXT) | instid1(VALU_DEP_4)
	v_mad_u32 v4, v2, s43, v4
	v_mad_u32 v5, v2, s37, v5
	s_delay_alu instid0(VALU_DEP_4)
	v_mad_u32 v6, v2, s36, v6
	s_cbranch_scc1 .LBB38_8
; %bb.9:
	s_bitcmp1_b32 s31, 0
	s_cselect_b32 s16, -1, 0
	s_delay_alu instid0(SALU_CYCLE_1)
	s_and_b32 vcc_lo, exec_lo, s16
	s_cbranch_vccnz .LBB38_13
; %bb.10:
	s_clause 0x1
	s_load_b96 s[36:38], s[24:25], 0x1c
	s_load_b96 s[40:42], s[24:25], 0xdc
	s_wait_kmcnt 0x0
	v_mul_hi_u32 v2, s37, v1
	s_delay_alu instid0(VALU_DEP_1) | instskip(NEXT) | instid1(VALU_DEP_1)
	v_add_nc_u32_e32 v2, v1, v2
	v_lshrrev_b32_e32 v2, s38, v2
	s_delay_alu instid0(VALU_DEP_1) | instskip(NEXT) | instid1(VALU_DEP_1)
	v_mul_lo_u32 v2, v2, s36
	v_sub_nc_u32_e32 v1, v1, v2
	s_delay_alu instid0(VALU_DEP_1)
	v_mad_u32 v4, v1, s40, v4
	v_mad_u32 v6, v1, s41, v6
	;; [unrolled: 1-line block ×3, first 2 shown]
	s_cbranch_execz .LBB38_14
	s_branch .LBB38_16
.LBB38_11:
                                        ; implicit-def: $vgpr5
                                        ; implicit-def: $vgpr6
                                        ; implicit-def: $vgpr4
	s_branch .LBB38_14
.LBB38_12:
	v_dual_mov_b32 v5, 0 :: v_dual_mov_b32 v6, 0
	v_mov_b32_e32 v4, 0
.LBB38_13:
	s_cbranch_execnz .LBB38_16
.LBB38_14:
	v_mov_b32_e32 v1, 0
	s_and_not1_b32 vcc_lo, exec_lo, s30
	s_delay_alu instid0(VALU_DEP_1) | instskip(NEXT) | instid1(VALU_DEP_1)
	v_mul_u64_e32 v[2:3], s[20:21], v[0:1]
	v_add_nc_u32_e32 v2, v0, v3
	s_delay_alu instid0(VALU_DEP_1) | instskip(NEXT) | instid1(VALU_DEP_1)
	v_lshrrev_b32_e32 v2, s6, v2
	v_mul_lo_u32 v3, v2, s4
	s_delay_alu instid0(VALU_DEP_1) | instskip(NEXT) | instid1(VALU_DEP_1)
	v_sub_nc_u32_e32 v3, v0, v3
	v_mul_lo_u32 v4, v3, s8
	v_mul_lo_u32 v5, v3, s10
	;; [unrolled: 1-line block ×3, first 2 shown]
	s_cbranch_vccnz .LBB38_16
; %bb.15:
	v_mov_b32_e32 v3, v1
	s_delay_alu instid0(VALU_DEP_1) | instskip(NEXT) | instid1(VALU_DEP_1)
	v_mul_u64_e32 v[8:9], s[22:23], v[2:3]
	v_add_nc_u32_e32 v1, v2, v9
	s_delay_alu instid0(VALU_DEP_1) | instskip(NEXT) | instid1(VALU_DEP_1)
	v_lshrrev_b32_e32 v1, s17, v1
	v_mul_lo_u32 v1, v1, s7
	s_delay_alu instid0(VALU_DEP_1) | instskip(NEXT) | instid1(VALU_DEP_1)
	v_sub_nc_u32_e32 v1, v2, v1
	v_mad_u32 v4, v1, s11, v4
	v_mad_u32 v6, v1, s18, v6
	;; [unrolled: 1-line block ×3, first 2 shown]
.LBB38_16:
	global_load_u16 v1, v6, s[2:3]
	global_load_b32 v2, v5, s[14:15]
	v_add_nc_u32_e32 v0, 0x80, v0
	s_wait_loadcnt 0x1
	v_cvt_f32_f16_e32 v3, v1
	v_cmp_lt_f16_e32 vcc_lo, 0, v1
	s_wait_loadcnt 0x0
	s_delay_alu instid0(VALU_DEP_2) | instskip(NEXT) | instid1(VALU_DEP_1)
	v_mul_f32_e32 v2, v2, v3
	v_cndmask_b32_e32 v1, v2, v3, vcc_lo
	global_store_b32 v4, v1, s[0:1]
	s_wait_xcnt 0x0
	s_or_b32 exec_lo, exec_lo, s5
	s_delay_alu instid0(SALU_CYCLE_1)
	s_mov_b32 s5, exec_lo
	v_cmpx_gt_i32_e64 s33, v0
	s_cbranch_execz .LBB38_3
.LBB38_17:
	s_and_not1_b32 vcc_lo, exec_lo, s28
	s_cbranch_vccnz .LBB38_23
; %bb.18:
	s_and_not1_b32 vcc_lo, exec_lo, s34
	s_cbranch_vccnz .LBB38_24
; %bb.19:
	v_dual_mov_b32 v4, 0 :: v_dual_mov_b32 v1, v0
	v_dual_mov_b32 v6, 0 :: v_dual_mov_b32 v5, 0
	s_add_co_i32 s16, s31, 1
	s_mov_b64 s[24:25], 0xffffffffffffffe8
	s_and_b32 s16, s16, 30
	s_add_nc_u64 s[24:25], s[12:13], s[24:25]
.LBB38_20:                              ; =>This Inner Loop Header: Depth=1
	s_clause 0x1
	s_load_b128 s[36:39], s[24:25], 0x1c
	s_load_b64 s[44:45], s[24:25], 0x2c
	s_add_co_i32 s16, s16, -2
	s_delay_alu instid0(SALU_CYCLE_1) | instskip(SKIP_2) | instid1(VALU_DEP_1)
	s_cmp_eq_u32 s16, 0
	s_wait_kmcnt 0x0
	v_mul_hi_u32 v2, s37, v1
	v_add_nc_u32_e32 v2, v1, v2
	s_delay_alu instid0(VALU_DEP_1) | instskip(NEXT) | instid1(VALU_DEP_1)
	v_lshrrev_b32_e32 v2, s38, v2
	v_mul_hi_u32 v3, s44, v2
	v_mul_lo_u32 v7, v2, s36
	s_clause 0x1
	s_load_b128 s[40:43], s[24:25], 0xdc
	s_load_b64 s[36:37], s[24:25], 0xec
	s_wait_xcnt 0x0
	s_add_nc_u64 s[24:25], s[24:25], 24
	s_delay_alu instid0(VALU_DEP_2) | instskip(NEXT) | instid1(VALU_DEP_2)
	v_add_nc_u32_e32 v3, v2, v3
	v_sub_nc_u32_e32 v7, v1, v7
	s_delay_alu instid0(VALU_DEP_2) | instskip(SKIP_1) | instid1(VALU_DEP_2)
	v_lshrrev_b32_e32 v1, s45, v3
	s_wait_kmcnt 0x0
	v_mad_u32 v4, v7, s40, v4
	s_delay_alu instid0(VALU_DEP_2) | instskip(SKIP_2) | instid1(VALU_DEP_3)
	v_mul_lo_u32 v3, v1, s39
	v_mad_u32 v5, v7, s42, v5
	v_mad_u32 v6, v7, s41, v6
	v_sub_nc_u32_e32 v2, v2, v3
	s_delay_alu instid0(VALU_DEP_1) | instskip(NEXT) | instid1(VALU_DEP_4)
	v_mad_u32 v4, v2, s43, v4
	v_mad_u32 v5, v2, s37, v5
	s_delay_alu instid0(VALU_DEP_4)
	v_mad_u32 v6, v2, s36, v6
	s_cbranch_scc0 .LBB38_20
; %bb.21:
	s_bitcmp1_b32 s31, 0
	s_cselect_b32 s16, -1, 0
	s_delay_alu instid0(SALU_CYCLE_1)
	s_and_b32 vcc_lo, exec_lo, s16
	s_cbranch_vccnz .LBB38_25
; %bb.22:
	s_clause 0x1
	s_load_b96 s[36:38], s[24:25], 0x1c
	s_load_b96 s[40:42], s[24:25], 0xdc
	s_wait_kmcnt 0x0
	v_mul_hi_u32 v2, s37, v1
	s_delay_alu instid0(VALU_DEP_1) | instskip(NEXT) | instid1(VALU_DEP_1)
	v_add_nc_u32_e32 v2, v1, v2
	v_lshrrev_b32_e32 v2, s38, v2
	s_delay_alu instid0(VALU_DEP_1) | instskip(NEXT) | instid1(VALU_DEP_1)
	v_mul_lo_u32 v2, v2, s36
	v_sub_nc_u32_e32 v1, v1, v2
	s_delay_alu instid0(VALU_DEP_1)
	v_mad_u32 v4, v1, s40, v4
	v_mad_u32 v6, v1, s41, v6
	;; [unrolled: 1-line block ×3, first 2 shown]
	s_branch .LBB38_25
.LBB38_23:
                                        ; implicit-def: $vgpr5
                                        ; implicit-def: $vgpr6
                                        ; implicit-def: $vgpr4
	s_branch .LBB38_26
.LBB38_24:
	v_dual_mov_b32 v5, 0 :: v_dual_mov_b32 v6, 0
	v_mov_b32_e32 v4, 0
.LBB38_25:
	s_cbranch_execnz .LBB38_28
.LBB38_26:
	v_mov_b32_e32 v1, 0
	s_and_not1_b32 vcc_lo, exec_lo, s30
	s_delay_alu instid0(VALU_DEP_1) | instskip(NEXT) | instid1(VALU_DEP_1)
	v_mul_u64_e32 v[2:3], s[20:21], v[0:1]
	v_add_nc_u32_e32 v2, v0, v3
	s_delay_alu instid0(VALU_DEP_1) | instskip(NEXT) | instid1(VALU_DEP_1)
	v_lshrrev_b32_e32 v2, s6, v2
	v_mul_lo_u32 v3, v2, s4
	s_delay_alu instid0(VALU_DEP_1) | instskip(NEXT) | instid1(VALU_DEP_1)
	v_sub_nc_u32_e32 v3, v0, v3
	v_mul_lo_u32 v4, v3, s8
	v_mul_lo_u32 v5, v3, s10
	;; [unrolled: 1-line block ×3, first 2 shown]
	s_cbranch_vccnz .LBB38_28
; %bb.27:
	v_mov_b32_e32 v3, v1
	s_delay_alu instid0(VALU_DEP_1) | instskip(NEXT) | instid1(VALU_DEP_1)
	v_mul_u64_e32 v[8:9], s[22:23], v[2:3]
	v_add_nc_u32_e32 v1, v2, v9
	s_delay_alu instid0(VALU_DEP_1) | instskip(NEXT) | instid1(VALU_DEP_1)
	v_lshrrev_b32_e32 v1, s17, v1
	v_mul_lo_u32 v1, v1, s7
	s_delay_alu instid0(VALU_DEP_1) | instskip(NEXT) | instid1(VALU_DEP_1)
	v_sub_nc_u32_e32 v1, v2, v1
	v_mad_u32 v4, v1, s11, v4
	v_mad_u32 v6, v1, s18, v6
	;; [unrolled: 1-line block ×3, first 2 shown]
.LBB38_28:
	global_load_u16 v1, v6, s[2:3]
	global_load_b32 v2, v5, s[14:15]
	v_add_nc_u32_e32 v0, 0x80, v0
	s_wait_loadcnt 0x1
	v_cvt_f32_f16_e32 v3, v1
	v_cmp_lt_f16_e32 vcc_lo, 0, v1
	s_wait_loadcnt 0x0
	s_delay_alu instid0(VALU_DEP_2) | instskip(NEXT) | instid1(VALU_DEP_1)
	v_mul_f32_e32 v2, v2, v3
	v_cndmask_b32_e32 v1, v2, v3, vcc_lo
	global_store_b32 v4, v1, s[0:1]
	s_wait_xcnt 0x0
	s_or_b32 exec_lo, exec_lo, s5
	s_delay_alu instid0(SALU_CYCLE_1)
	s_mov_b32 s5, exec_lo
	v_cmpx_gt_i32_e64 s33, v0
	s_cbranch_execz .LBB38_4
.LBB38_29:
	s_and_not1_b32 vcc_lo, exec_lo, s28
	s_cbranch_vccnz .LBB38_35
; %bb.30:
	s_and_not1_b32 vcc_lo, exec_lo, s34
	s_cbranch_vccnz .LBB38_36
; %bb.31:
	v_dual_mov_b32 v4, 0 :: v_dual_mov_b32 v1, v0
	v_dual_mov_b32 v6, 0 :: v_dual_mov_b32 v5, 0
	s_add_co_i32 s16, s31, 1
	s_mov_b64 s[24:25], 0xffffffffffffffe8
	s_and_b32 s16, s16, 30
	s_add_nc_u64 s[24:25], s[12:13], s[24:25]
.LBB38_32:                              ; =>This Inner Loop Header: Depth=1
	s_clause 0x1
	s_load_b128 s[36:39], s[24:25], 0x1c
	s_load_b64 s[44:45], s[24:25], 0x2c
	s_add_co_i32 s16, s16, -2
	s_delay_alu instid0(SALU_CYCLE_1) | instskip(SKIP_2) | instid1(VALU_DEP_1)
	s_cmp_eq_u32 s16, 0
	s_wait_kmcnt 0x0
	v_mul_hi_u32 v2, s37, v1
	v_add_nc_u32_e32 v2, v1, v2
	s_delay_alu instid0(VALU_DEP_1) | instskip(NEXT) | instid1(VALU_DEP_1)
	v_lshrrev_b32_e32 v2, s38, v2
	v_mul_hi_u32 v3, s44, v2
	v_mul_lo_u32 v7, v2, s36
	s_clause 0x1
	s_load_b128 s[40:43], s[24:25], 0xdc
	s_load_b64 s[36:37], s[24:25], 0xec
	s_wait_xcnt 0x0
	s_add_nc_u64 s[24:25], s[24:25], 24
	s_delay_alu instid0(VALU_DEP_2) | instskip(NEXT) | instid1(VALU_DEP_2)
	v_add_nc_u32_e32 v3, v2, v3
	v_sub_nc_u32_e32 v7, v1, v7
	s_delay_alu instid0(VALU_DEP_2) | instskip(SKIP_1) | instid1(VALU_DEP_2)
	v_lshrrev_b32_e32 v1, s45, v3
	s_wait_kmcnt 0x0
	v_mad_u32 v4, v7, s40, v4
	s_delay_alu instid0(VALU_DEP_2) | instskip(SKIP_2) | instid1(VALU_DEP_3)
	v_mul_lo_u32 v3, v1, s39
	v_mad_u32 v5, v7, s42, v5
	v_mad_u32 v6, v7, s41, v6
	v_sub_nc_u32_e32 v2, v2, v3
	s_delay_alu instid0(VALU_DEP_1) | instskip(NEXT) | instid1(VALU_DEP_4)
	v_mad_u32 v4, v2, s43, v4
	v_mad_u32 v5, v2, s37, v5
	s_delay_alu instid0(VALU_DEP_4)
	v_mad_u32 v6, v2, s36, v6
	s_cbranch_scc0 .LBB38_32
; %bb.33:
	s_bitcmp1_b32 s31, 0
	s_cselect_b32 s16, -1, 0
	s_delay_alu instid0(SALU_CYCLE_1)
	s_and_b32 vcc_lo, exec_lo, s16
	s_cbranch_vccnz .LBB38_37
; %bb.34:
	s_clause 0x1
	s_load_b96 s[36:38], s[24:25], 0x1c
	s_load_b96 s[40:42], s[24:25], 0xdc
	s_wait_kmcnt 0x0
	v_mul_hi_u32 v2, s37, v1
	s_delay_alu instid0(VALU_DEP_1) | instskip(NEXT) | instid1(VALU_DEP_1)
	v_add_nc_u32_e32 v2, v1, v2
	v_lshrrev_b32_e32 v2, s38, v2
	s_delay_alu instid0(VALU_DEP_1) | instskip(NEXT) | instid1(VALU_DEP_1)
	v_mul_lo_u32 v2, v2, s36
	v_sub_nc_u32_e32 v1, v1, v2
	s_delay_alu instid0(VALU_DEP_1)
	v_mad_u32 v4, v1, s40, v4
	v_mad_u32 v6, v1, s41, v6
	;; [unrolled: 1-line block ×3, first 2 shown]
	s_branch .LBB38_37
.LBB38_35:
                                        ; implicit-def: $vgpr5
                                        ; implicit-def: $vgpr6
                                        ; implicit-def: $vgpr4
	s_branch .LBB38_38
.LBB38_36:
	v_dual_mov_b32 v5, 0 :: v_dual_mov_b32 v6, 0
	v_mov_b32_e32 v4, 0
.LBB38_37:
	s_cbranch_execnz .LBB38_40
.LBB38_38:
	v_mov_b32_e32 v1, 0
	s_and_not1_b32 vcc_lo, exec_lo, s30
	s_delay_alu instid0(VALU_DEP_1) | instskip(NEXT) | instid1(VALU_DEP_1)
	v_mul_u64_e32 v[2:3], s[20:21], v[0:1]
	v_add_nc_u32_e32 v2, v0, v3
	s_delay_alu instid0(VALU_DEP_1) | instskip(NEXT) | instid1(VALU_DEP_1)
	v_lshrrev_b32_e32 v2, s6, v2
	v_mul_lo_u32 v3, v2, s4
	s_delay_alu instid0(VALU_DEP_1) | instskip(NEXT) | instid1(VALU_DEP_1)
	v_sub_nc_u32_e32 v3, v0, v3
	v_mul_lo_u32 v4, v3, s8
	v_mul_lo_u32 v5, v3, s10
	;; [unrolled: 1-line block ×3, first 2 shown]
	s_cbranch_vccnz .LBB38_40
; %bb.39:
	v_mov_b32_e32 v3, v1
	s_delay_alu instid0(VALU_DEP_1) | instskip(NEXT) | instid1(VALU_DEP_1)
	v_mul_u64_e32 v[8:9], s[22:23], v[2:3]
	v_add_nc_u32_e32 v1, v2, v9
	s_delay_alu instid0(VALU_DEP_1) | instskip(NEXT) | instid1(VALU_DEP_1)
	v_lshrrev_b32_e32 v1, s17, v1
	v_mul_lo_u32 v1, v1, s7
	s_delay_alu instid0(VALU_DEP_1) | instskip(NEXT) | instid1(VALU_DEP_1)
	v_sub_nc_u32_e32 v1, v2, v1
	v_mad_u32 v4, v1, s11, v4
	v_mad_u32 v6, v1, s18, v6
	;; [unrolled: 1-line block ×3, first 2 shown]
.LBB38_40:
	global_load_u16 v1, v6, s[2:3]
	global_load_b32 v2, v5, s[14:15]
	v_add_nc_u32_e32 v0, 0x80, v0
	s_wait_loadcnt 0x1
	v_cvt_f32_f16_e32 v3, v1
	v_cmp_lt_f16_e32 vcc_lo, 0, v1
	s_wait_loadcnt 0x0
	s_delay_alu instid0(VALU_DEP_2) | instskip(NEXT) | instid1(VALU_DEP_1)
	v_mul_f32_e32 v2, v2, v3
	v_cndmask_b32_e32 v1, v2, v3, vcc_lo
	global_store_b32 v4, v1, s[0:1]
	s_wait_xcnt 0x0
	s_or_b32 exec_lo, exec_lo, s5
	s_delay_alu instid0(SALU_CYCLE_1)
	s_mov_b32 s5, exec_lo
	v_cmpx_gt_i32_e64 s33, v0
	s_cbranch_execz .LBB38_53
.LBB38_41:
	s_and_not1_b32 vcc_lo, exec_lo, s28
	s_cbranch_vccnz .LBB38_47
; %bb.42:
	s_and_not1_b32 vcc_lo, exec_lo, s34
	s_cbranch_vccnz .LBB38_48
; %bb.43:
	v_dual_mov_b32 v4, 0 :: v_dual_mov_b32 v1, v0
	v_dual_mov_b32 v5, 0 :: v_dual_mov_b32 v6, 0
	s_add_co_i32 s16, s31, 1
	s_mov_b64 s[24:25], 0xffffffffffffffe8
	s_and_b32 s16, s16, 30
	s_add_nc_u64 s[24:25], s[12:13], s[24:25]
.LBB38_44:                              ; =>This Inner Loop Header: Depth=1
	s_clause 0x1
	s_load_b128 s[36:39], s[24:25], 0x1c
	s_load_b64 s[34:35], s[24:25], 0x2c
	s_add_co_i32 s16, s16, -2
	s_delay_alu instid0(SALU_CYCLE_1) | instskip(SKIP_2) | instid1(VALU_DEP_1)
	s_cmp_eq_u32 s16, 0
	s_wait_kmcnt 0x0
	v_mul_hi_u32 v2, s37, v1
	v_add_nc_u32_e32 v2, v1, v2
	s_delay_alu instid0(VALU_DEP_1) | instskip(NEXT) | instid1(VALU_DEP_1)
	v_lshrrev_b32_e32 v2, s38, v2
	v_mul_hi_u32 v3, s34, v2
	v_mul_lo_u32 v7, v2, s36
	s_clause 0x1
	s_load_b128 s[40:43], s[24:25], 0xdc
	s_load_b64 s[36:37], s[24:25], 0xec
	s_wait_xcnt 0x0
	s_add_nc_u64 s[24:25], s[24:25], 24
	s_delay_alu instid0(VALU_DEP_2) | instskip(NEXT) | instid1(VALU_DEP_2)
	v_add_nc_u32_e32 v3, v2, v3
	v_sub_nc_u32_e32 v7, v1, v7
	s_delay_alu instid0(VALU_DEP_2) | instskip(SKIP_1) | instid1(VALU_DEP_2)
	v_lshrrev_b32_e32 v1, s35, v3
	s_wait_kmcnt 0x0
	v_mad_u32 v4, v7, s40, v4
	s_delay_alu instid0(VALU_DEP_2) | instskip(SKIP_2) | instid1(VALU_DEP_3)
	v_mul_lo_u32 v3, v1, s39
	v_mad_u32 v6, v7, s42, v6
	v_mad_u32 v5, v7, s41, v5
	v_sub_nc_u32_e32 v2, v2, v3
	s_delay_alu instid0(VALU_DEP_1) | instskip(NEXT) | instid1(VALU_DEP_4)
	v_mad_u32 v4, v2, s43, v4
	v_mad_u32 v6, v2, s37, v6
	s_delay_alu instid0(VALU_DEP_4)
	v_mad_u32 v5, v2, s36, v5
	s_cbranch_scc0 .LBB38_44
; %bb.45:
	s_bitcmp1_b32 s31, 0
	s_cselect_b32 s16, -1, 0
	s_delay_alu instid0(SALU_CYCLE_1)
	s_and_b32 vcc_lo, exec_lo, s16
	s_cbranch_vccnz .LBB38_49
; %bb.46:
	s_clause 0x1
	s_load_b96 s[36:38], s[24:25], 0x1c
	s_load_b96 s[40:42], s[24:25], 0xdc
	s_wait_kmcnt 0x0
	v_mul_hi_u32 v2, s37, v1
	s_delay_alu instid0(VALU_DEP_1) | instskip(NEXT) | instid1(VALU_DEP_1)
	v_add_nc_u32_e32 v2, v1, v2
	v_lshrrev_b32_e32 v2, s38, v2
	s_delay_alu instid0(VALU_DEP_1) | instskip(NEXT) | instid1(VALU_DEP_1)
	v_mul_lo_u32 v2, v2, s36
	v_sub_nc_u32_e32 v1, v1, v2
	s_delay_alu instid0(VALU_DEP_1)
	v_mad_u32 v4, v1, s40, v4
	v_mad_u32 v5, v1, s41, v5
	;; [unrolled: 1-line block ×3, first 2 shown]
	s_branch .LBB38_49
.LBB38_47:
                                        ; implicit-def: $vgpr6
                                        ; implicit-def: $vgpr5
                                        ; implicit-def: $vgpr4
	s_branch .LBB38_50
.LBB38_48:
	v_dual_mov_b32 v6, 0 :: v_dual_mov_b32 v5, 0
	v_mov_b32_e32 v4, 0
.LBB38_49:
	s_cbranch_execnz .LBB38_52
.LBB38_50:
	v_mov_b32_e32 v1, 0
	s_and_not1_b32 vcc_lo, exec_lo, s30
	s_delay_alu instid0(VALU_DEP_1) | instskip(NEXT) | instid1(VALU_DEP_1)
	v_mul_u64_e32 v[2:3], s[20:21], v[0:1]
	v_add_nc_u32_e32 v2, v0, v3
	s_delay_alu instid0(VALU_DEP_1) | instskip(NEXT) | instid1(VALU_DEP_1)
	v_lshrrev_b32_e32 v2, s6, v2
	v_mul_lo_u32 v3, v2, s4
	s_delay_alu instid0(VALU_DEP_1) | instskip(NEXT) | instid1(VALU_DEP_1)
	v_sub_nc_u32_e32 v0, v0, v3
	v_mul_lo_u32 v4, v0, s8
	v_mul_lo_u32 v6, v0, s10
	;; [unrolled: 1-line block ×3, first 2 shown]
	s_cbranch_vccnz .LBB38_52
; %bb.51:
	v_mov_b32_e32 v3, v1
	s_delay_alu instid0(VALU_DEP_1) | instskip(NEXT) | instid1(VALU_DEP_1)
	v_mul_u64_e32 v[0:1], s[22:23], v[2:3]
	v_add_nc_u32_e32 v0, v2, v1
	s_delay_alu instid0(VALU_DEP_1) | instskip(NEXT) | instid1(VALU_DEP_1)
	v_lshrrev_b32_e32 v0, s17, v0
	v_mul_lo_u32 v0, v0, s7
	s_delay_alu instid0(VALU_DEP_1) | instskip(NEXT) | instid1(VALU_DEP_1)
	v_sub_nc_u32_e32 v0, v2, v0
	v_mad_u32 v4, v0, s11, v4
	v_mad_u32 v5, v0, s18, v5
	;; [unrolled: 1-line block ×3, first 2 shown]
.LBB38_52:
	global_load_u16 v0, v5, s[2:3]
	global_load_b32 v1, v6, s[14:15]
	s_wait_loadcnt 0x1
	v_cvt_f32_f16_e32 v2, v0
	v_cmp_lt_f16_e32 vcc_lo, 0, v0
	s_wait_loadcnt 0x0
	s_delay_alu instid0(VALU_DEP_2) | instskip(NEXT) | instid1(VALU_DEP_1)
	v_mul_f32_e32 v1, v1, v2
	v_cndmask_b32_e32 v0, v1, v2, vcc_lo
	global_store_b32 v4, v0, s[0:1]
.LBB38_53:
	s_wait_xcnt 0x0
	s_or_b32 exec_lo, exec_lo, s5
                                        ; implicit-def: $vgpr4
                                        ; implicit-def: $vgpr0
.LBB38_54:
	s_and_not1_saveexec_b32 s0, s29
	s_cbranch_execz .LBB38_61
; %bb.55:
	v_cndmask_b32_e64 v6, 0, 1, s28
	s_and_not1_b32 vcc_lo, exec_lo, s28
	s_cbranch_vccnz .LBB38_62
; %bb.56:
	s_cmp_lg_u32 s26, 0
	s_mov_b32 s2, 0
	s_cbranch_scc0 .LBB38_66
; %bb.57:
	s_min_u32 s3, s27, 15
	v_dual_mov_b32 v1, 0 :: v_dual_mov_b32 v5, v0
	v_dual_mov_b32 v2, 0 :: v_dual_mov_b32 v3, 0
	s_add_co_i32 s4, s3, 1
	s_mov_b64 s[0:1], 0xffffffffffffffe8
	s_and_b32 s4, s4, 30
	s_add_nc_u64 s[0:1], s[12:13], s[0:1]
.LBB38_58:                              ; =>This Inner Loop Header: Depth=1
	s_clause 0x1
	s_load_b128 s[8:11], s[0:1], 0x1c
	s_load_b64 s[6:7], s[0:1], 0x2c
	s_add_co_i32 s4, s4, -2
	s_delay_alu instid0(SALU_CYCLE_1) | instskip(SKIP_2) | instid1(VALU_DEP_1)
	s_cmp_lg_u32 s4, 0
	s_wait_kmcnt 0x0
	v_mul_hi_u32 v7, s9, v5
	v_add_nc_u32_e32 v7, v5, v7
	s_delay_alu instid0(VALU_DEP_1) | instskip(NEXT) | instid1(VALU_DEP_1)
	v_lshrrev_b32_e32 v7, s10, v7
	v_mul_hi_u32 v8, s6, v7
	v_mul_lo_u32 v9, v7, s8
	s_clause 0x1
	s_load_b128 s[16:19], s[0:1], 0xdc
	s_load_b64 s[8:9], s[0:1], 0xec
	s_wait_xcnt 0x0
	s_add_nc_u64 s[0:1], s[0:1], 24
	s_delay_alu instid0(VALU_DEP_1) | instskip(NEXT) | instid1(VALU_DEP_1)
	v_dual_add_nc_u32 v8, v7, v8 :: v_dual_sub_nc_u32 v9, v5, v9
	v_lshrrev_b32_e32 v5, s7, v8
	s_wait_kmcnt 0x0
	s_delay_alu instid0(VALU_DEP_2) | instskip(NEXT) | instid1(VALU_DEP_2)
	v_mad_u32 v1, v9, s16, v1
	v_mul_lo_u32 v8, v5, s11
	v_mad_u32 v3, v9, s18, v3
	v_mad_u32 v2, v9, s17, v2
	s_delay_alu instid0(VALU_DEP_3) | instskip(NEXT) | instid1(VALU_DEP_1)
	v_sub_nc_u32_e32 v7, v7, v8
	v_mad_u32 v1, v7, s19, v1
	s_delay_alu instid0(VALU_DEP_4) | instskip(NEXT) | instid1(VALU_DEP_4)
	v_mad_u32 v3, v7, s9, v3
	v_mad_u32 v2, v7, s8, v2
	s_cbranch_scc1 .LBB38_58
; %bb.59:
	s_bitcmp1_b32 s3, 0
	s_cselect_b32 s3, -1, 0
	s_delay_alu instid0(SALU_CYCLE_1)
	s_and_b32 vcc_lo, exec_lo, s3
	s_cbranch_vccnz .LBB38_63
; %bb.60:
	s_clause 0x1
	s_load_b96 s[4:6], s[0:1], 0x1c
	s_load_b96 s[8:10], s[0:1], 0xdc
	s_wait_kmcnt 0x0
	v_mul_hi_u32 v7, s5, v5
	s_delay_alu instid0(VALU_DEP_1) | instskip(NEXT) | instid1(VALU_DEP_1)
	v_add_nc_u32_e32 v7, v5, v7
	v_lshrrev_b32_e32 v7, s6, v7
	s_delay_alu instid0(VALU_DEP_1) | instskip(NEXT) | instid1(VALU_DEP_1)
	v_mul_lo_u32 v7, v7, s4
	v_sub_nc_u32_e32 v5, v5, v7
	s_delay_alu instid0(VALU_DEP_1)
	v_mad_u32 v1, v5, s8, v1
	v_mad_u32 v2, v5, s9, v2
	;; [unrolled: 1-line block ×3, first 2 shown]
	s_and_not1_b32 vcc_lo, exec_lo, s2
	s_cbranch_vccz .LBB38_64
	s_branch .LBB38_67
.LBB38_61:
	s_endpgm
.LBB38_62:
	s_mov_b32 s2, -1
                                        ; implicit-def: $vgpr3
                                        ; implicit-def: $vgpr2
                                        ; implicit-def: $vgpr1
.LBB38_63:
	s_delay_alu instid0(SALU_CYCLE_1)
	s_and_not1_b32 vcc_lo, exec_lo, s2
	s_cbranch_vccnz .LBB38_67
.LBB38_64:
	s_clause 0x1
	s_load_b96 s[0:2], s[12:13], 0x4
	s_load_b96 s[4:6], s[12:13], 0xc4
	s_cmp_lt_u32 s26, 2
	s_wait_kmcnt 0x0
	v_mul_hi_u32 v1, s1, v0
	s_delay_alu instid0(VALU_DEP_1) | instskip(NEXT) | instid1(VALU_DEP_1)
	v_add_nc_u32_e32 v1, v0, v1
	v_lshrrev_b32_e32 v5, s2, v1
	s_delay_alu instid0(VALU_DEP_1) | instskip(NEXT) | instid1(VALU_DEP_1)
	v_mul_lo_u32 v1, v5, s0
	v_sub_nc_u32_e32 v2, v0, v1
	s_delay_alu instid0(VALU_DEP_1)
	v_mul_lo_u32 v1, v2, s4
	v_mul_lo_u32 v3, v2, s6
	;; [unrolled: 1-line block ×3, first 2 shown]
	s_cbranch_scc1 .LBB38_67
; %bb.65:
	s_clause 0x1
	s_load_b96 s[0:2], s[12:13], 0x10
	s_load_b96 s[4:6], s[12:13], 0xd0
	s_wait_kmcnt 0x0
	v_mul_hi_u32 v7, s1, v5
	s_delay_alu instid0(VALU_DEP_1) | instskip(NEXT) | instid1(VALU_DEP_1)
	v_add_nc_u32_e32 v7, v5, v7
	v_lshrrev_b32_e32 v7, s2, v7
	s_delay_alu instid0(VALU_DEP_1) | instskip(NEXT) | instid1(VALU_DEP_1)
	v_mul_lo_u32 v7, v7, s0
	v_sub_nc_u32_e32 v5, v5, v7
	s_delay_alu instid0(VALU_DEP_1)
	v_mad_u32 v1, v5, s4, v1
	v_mad_u32 v2, v5, s5, v2
	;; [unrolled: 1-line block ×3, first 2 shown]
	s_branch .LBB38_67
.LBB38_66:
	v_dual_mov_b32 v3, 0 :: v_dual_mov_b32 v2, 0
	v_mov_b32_e32 v1, 0
	s_and_not1_b32 vcc_lo, exec_lo, s2
	s_cbranch_vccz .LBB38_64
.LBB38_67:
	v_cmp_ne_u32_e32 vcc_lo, 1, v6
	v_add_nc_u32_e32 v9, 0x80, v0
	s_cbranch_vccnz .LBB38_73
; %bb.68:
	s_cmp_lg_u32 s26, 0
	s_mov_b32 s2, 0
	s_cbranch_scc0 .LBB38_77
; %bb.69:
	s_min_u32 s3, s27, 15
	v_dual_mov_b32 v5, 0 :: v_dual_mov_b32 v10, v9
	v_dual_mov_b32 v7, 0 :: v_dual_mov_b32 v8, 0
	s_add_co_i32 s4, s3, 1
	s_mov_b64 s[0:1], 0xffffffffffffffe8
	s_and_b32 s4, s4, 30
	s_add_nc_u64 s[0:1], s[12:13], s[0:1]
.LBB38_70:                              ; =>This Inner Loop Header: Depth=1
	s_clause 0x1
	s_load_b128 s[8:11], s[0:1], 0x1c
	s_load_b64 s[6:7], s[0:1], 0x2c
	s_add_co_i32 s4, s4, -2
	s_delay_alu instid0(SALU_CYCLE_1) | instskip(SKIP_2) | instid1(VALU_DEP_1)
	s_cmp_lg_u32 s4, 0
	s_wait_kmcnt 0x0
	v_mul_hi_u32 v11, s9, v10
	v_add_nc_u32_e32 v11, v10, v11
	s_delay_alu instid0(VALU_DEP_1) | instskip(NEXT) | instid1(VALU_DEP_1)
	v_lshrrev_b32_e32 v11, s10, v11
	v_mul_hi_u32 v12, s6, v11
	v_mul_lo_u32 v13, v11, s8
	s_clause 0x1
	s_load_b128 s[16:19], s[0:1], 0xdc
	s_load_b64 s[8:9], s[0:1], 0xec
	s_wait_xcnt 0x0
	s_add_nc_u64 s[0:1], s[0:1], 24
	s_delay_alu instid0(VALU_DEP_1) | instskip(NEXT) | instid1(VALU_DEP_1)
	v_dual_add_nc_u32 v12, v11, v12 :: v_dual_sub_nc_u32 v13, v10, v13
	v_lshrrev_b32_e32 v10, s7, v12
	s_wait_kmcnt 0x0
	s_delay_alu instid0(VALU_DEP_2) | instskip(NEXT) | instid1(VALU_DEP_2)
	v_mad_u32 v5, v13, s16, v5
	v_mul_lo_u32 v12, v10, s11
	v_mad_u32 v8, v13, s18, v8
	v_mad_u32 v7, v13, s17, v7
	s_delay_alu instid0(VALU_DEP_3) | instskip(NEXT) | instid1(VALU_DEP_1)
	v_sub_nc_u32_e32 v11, v11, v12
	v_mad_u32 v5, v11, s19, v5
	s_delay_alu instid0(VALU_DEP_4) | instskip(NEXT) | instid1(VALU_DEP_4)
	v_mad_u32 v8, v11, s9, v8
	v_mad_u32 v7, v11, s8, v7
	s_cbranch_scc1 .LBB38_70
; %bb.71:
	s_bitcmp1_b32 s3, 0
	s_cselect_b32 s3, -1, 0
	s_delay_alu instid0(SALU_CYCLE_1)
	s_and_b32 vcc_lo, exec_lo, s3
	s_cbranch_vccnz .LBB38_74
; %bb.72:
	s_clause 0x1
	s_load_b96 s[4:6], s[0:1], 0x1c
	s_load_b96 s[8:10], s[0:1], 0xdc
	s_wait_kmcnt 0x0
	v_mul_hi_u32 v11, s5, v10
	s_delay_alu instid0(VALU_DEP_1) | instskip(NEXT) | instid1(VALU_DEP_1)
	v_add_nc_u32_e32 v11, v10, v11
	v_lshrrev_b32_e32 v11, s6, v11
	s_delay_alu instid0(VALU_DEP_1) | instskip(NEXT) | instid1(VALU_DEP_1)
	v_mul_lo_u32 v11, v11, s4
	v_sub_nc_u32_e32 v10, v10, v11
	s_delay_alu instid0(VALU_DEP_1)
	v_mad_u32 v5, v10, s8, v5
	v_mad_u32 v7, v10, s9, v7
	;; [unrolled: 1-line block ×3, first 2 shown]
	s_and_not1_b32 vcc_lo, exec_lo, s2
	s_cbranch_vccz .LBB38_75
	s_branch .LBB38_78
.LBB38_73:
	s_mov_b32 s2, -1
                                        ; implicit-def: $vgpr8
                                        ; implicit-def: $vgpr7
                                        ; implicit-def: $vgpr5
.LBB38_74:
	s_delay_alu instid0(SALU_CYCLE_1)
	s_and_not1_b32 vcc_lo, exec_lo, s2
	s_cbranch_vccnz .LBB38_78
.LBB38_75:
	s_clause 0x1
	s_load_b96 s[0:2], s[12:13], 0x4
	s_load_b96 s[4:6], s[12:13], 0xc4
	s_cmp_lt_u32 s26, 2
	s_wait_kmcnt 0x0
	v_mul_hi_u32 v5, s1, v9
	s_delay_alu instid0(VALU_DEP_1) | instskip(NEXT) | instid1(VALU_DEP_1)
	v_add_nc_u32_e32 v5, v9, v5
	v_lshrrev_b32_e32 v10, s2, v5
	s_delay_alu instid0(VALU_DEP_1) | instskip(NEXT) | instid1(VALU_DEP_1)
	v_mul_lo_u32 v5, v10, s0
	v_sub_nc_u32_e32 v7, v9, v5
	s_delay_alu instid0(VALU_DEP_1)
	v_mul_lo_u32 v5, v7, s4
	v_mul_lo_u32 v8, v7, s6
	;; [unrolled: 1-line block ×3, first 2 shown]
	s_cbranch_scc1 .LBB38_78
; %bb.76:
	s_clause 0x1
	s_load_b96 s[0:2], s[12:13], 0x10
	s_load_b96 s[4:6], s[12:13], 0xd0
	s_wait_kmcnt 0x0
	v_mul_hi_u32 v9, s1, v10
	s_delay_alu instid0(VALU_DEP_1) | instskip(NEXT) | instid1(VALU_DEP_1)
	v_add_nc_u32_e32 v9, v10, v9
	v_lshrrev_b32_e32 v9, s2, v9
	s_delay_alu instid0(VALU_DEP_1) | instskip(NEXT) | instid1(VALU_DEP_1)
	v_mul_lo_u32 v9, v9, s0
	v_sub_nc_u32_e32 v9, v10, v9
	s_delay_alu instid0(VALU_DEP_1)
	v_mad_u32 v5, v9, s4, v5
	v_mad_u32 v7, v9, s5, v7
	;; [unrolled: 1-line block ×3, first 2 shown]
	s_branch .LBB38_78
.LBB38_77:
	v_dual_mov_b32 v8, 0 :: v_dual_mov_b32 v7, 0
	v_mov_b32_e32 v5, 0
	s_and_not1_b32 vcc_lo, exec_lo, s2
	s_cbranch_vccz .LBB38_75
.LBB38_78:
	v_cmp_ne_u32_e32 vcc_lo, 1, v6
	v_add_nc_u32_e32 v11, 0x100, v0
	s_cbranch_vccnz .LBB38_84
; %bb.79:
	s_cmp_lg_u32 s26, 0
	s_mov_b32 s2, 0
	s_cbranch_scc0 .LBB38_88
; %bb.80:
	s_min_u32 s3, s27, 15
	v_dual_mov_b32 v0, 0 :: v_dual_mov_b32 v12, v11
	v_dual_mov_b32 v10, 0 :: v_dual_mov_b32 v9, 0
	s_add_co_i32 s4, s3, 1
	s_mov_b64 s[0:1], 0xffffffffffffffe8
	s_and_b32 s4, s4, 30
	s_add_nc_u64 s[0:1], s[12:13], s[0:1]
.LBB38_81:                              ; =>This Inner Loop Header: Depth=1
	s_clause 0x1
	s_load_b128 s[8:11], s[0:1], 0x1c
	s_load_b64 s[6:7], s[0:1], 0x2c
	s_add_co_i32 s4, s4, -2
	s_delay_alu instid0(SALU_CYCLE_1) | instskip(SKIP_2) | instid1(VALU_DEP_1)
	s_cmp_lg_u32 s4, 0
	s_wait_kmcnt 0x0
	v_mul_hi_u32 v13, s9, v12
	v_add_nc_u32_e32 v13, v12, v13
	s_delay_alu instid0(VALU_DEP_1) | instskip(NEXT) | instid1(VALU_DEP_1)
	v_lshrrev_b32_e32 v13, s10, v13
	v_mul_hi_u32 v14, s6, v13
	v_mul_lo_u32 v15, v13, s8
	s_clause 0x1
	s_load_b128 s[16:19], s[0:1], 0xdc
	s_load_b64 s[8:9], s[0:1], 0xec
	s_wait_xcnt 0x0
	s_add_nc_u64 s[0:1], s[0:1], 24
	s_delay_alu instid0(VALU_DEP_1) | instskip(NEXT) | instid1(VALU_DEP_1)
	v_dual_add_nc_u32 v14, v13, v14 :: v_dual_sub_nc_u32 v15, v12, v15
	v_lshrrev_b32_e32 v12, s7, v14
	s_wait_kmcnt 0x0
	s_delay_alu instid0(VALU_DEP_2) | instskip(NEXT) | instid1(VALU_DEP_2)
	v_mad_u32 v0, v15, s16, v0
	v_mul_lo_u32 v14, v12, s11
	v_mad_u32 v9, v15, s18, v9
	v_mad_u32 v10, v15, s17, v10
	s_delay_alu instid0(VALU_DEP_3) | instskip(NEXT) | instid1(VALU_DEP_1)
	v_sub_nc_u32_e32 v13, v13, v14
	v_mad_u32 v0, v13, s19, v0
	s_delay_alu instid0(VALU_DEP_4) | instskip(NEXT) | instid1(VALU_DEP_4)
	v_mad_u32 v9, v13, s9, v9
	v_mad_u32 v10, v13, s8, v10
	s_cbranch_scc1 .LBB38_81
; %bb.82:
	s_bitcmp1_b32 s3, 0
	s_cselect_b32 s3, -1, 0
	s_delay_alu instid0(SALU_CYCLE_1)
	s_and_b32 vcc_lo, exec_lo, s3
	s_cbranch_vccnz .LBB38_85
; %bb.83:
	s_clause 0x1
	s_load_b96 s[4:6], s[0:1], 0x1c
	s_load_b96 s[8:10], s[0:1], 0xdc
	s_wait_kmcnt 0x0
	v_mul_hi_u32 v13, s5, v12
	s_delay_alu instid0(VALU_DEP_1) | instskip(NEXT) | instid1(VALU_DEP_1)
	v_add_nc_u32_e32 v13, v12, v13
	v_lshrrev_b32_e32 v13, s6, v13
	s_delay_alu instid0(VALU_DEP_1) | instskip(NEXT) | instid1(VALU_DEP_1)
	v_mul_lo_u32 v13, v13, s4
	v_sub_nc_u32_e32 v12, v12, v13
	s_delay_alu instid0(VALU_DEP_1)
	v_mad_u32 v0, v12, s8, v0
	v_mad_u32 v10, v12, s9, v10
	;; [unrolled: 1-line block ×3, first 2 shown]
	s_and_not1_b32 vcc_lo, exec_lo, s2
	s_cbranch_vccz .LBB38_86
	s_branch .LBB38_89
.LBB38_84:
	s_mov_b32 s2, -1
                                        ; implicit-def: $vgpr9
                                        ; implicit-def: $vgpr10
                                        ; implicit-def: $vgpr0
.LBB38_85:
	s_delay_alu instid0(SALU_CYCLE_1)
	s_and_not1_b32 vcc_lo, exec_lo, s2
	s_cbranch_vccnz .LBB38_89
.LBB38_86:
	s_clause 0x1
	s_load_b96 s[0:2], s[12:13], 0x4
	s_load_b96 s[4:6], s[12:13], 0xc4
	s_cmp_lt_u32 s26, 2
	s_wait_kmcnt 0x0
	v_mul_hi_u32 v0, s1, v11
	s_delay_alu instid0(VALU_DEP_1) | instskip(NEXT) | instid1(VALU_DEP_1)
	v_add_nc_u32_e32 v0, v11, v0
	v_lshrrev_b32_e32 v12, s2, v0
	s_delay_alu instid0(VALU_DEP_1) | instskip(NEXT) | instid1(VALU_DEP_1)
	v_mul_lo_u32 v0, v12, s0
	v_sub_nc_u32_e32 v10, v11, v0
	s_delay_alu instid0(VALU_DEP_1)
	v_mul_lo_u32 v0, v10, s4
	v_mul_lo_u32 v9, v10, s6
	;; [unrolled: 1-line block ×3, first 2 shown]
	s_cbranch_scc1 .LBB38_89
; %bb.87:
	s_clause 0x1
	s_load_b96 s[0:2], s[12:13], 0x10
	s_load_b96 s[4:6], s[12:13], 0xd0
	s_wait_kmcnt 0x0
	v_mul_hi_u32 v11, s1, v12
	s_delay_alu instid0(VALU_DEP_1) | instskip(NEXT) | instid1(VALU_DEP_1)
	v_add_nc_u32_e32 v11, v12, v11
	v_lshrrev_b32_e32 v11, s2, v11
	s_delay_alu instid0(VALU_DEP_1) | instskip(NEXT) | instid1(VALU_DEP_1)
	v_mul_lo_u32 v11, v11, s0
	v_sub_nc_u32_e32 v11, v12, v11
	s_delay_alu instid0(VALU_DEP_1)
	v_mad_u32 v0, v11, s4, v0
	v_mad_u32 v10, v11, s5, v10
	;; [unrolled: 1-line block ×3, first 2 shown]
	s_branch .LBB38_89
.LBB38_88:
	v_dual_mov_b32 v9, 0 :: v_dual_mov_b32 v10, 0
	v_mov_b32_e32 v0, 0
	s_and_not1_b32 vcc_lo, exec_lo, s2
	s_cbranch_vccz .LBB38_86
.LBB38_89:
	v_cmp_ne_u32_e32 vcc_lo, 1, v6
	s_cbranch_vccnz .LBB38_95
; %bb.90:
	s_cmp_lg_u32 s26, 0
	s_mov_b32 s2, 0
	s_cbranch_scc0 .LBB38_99
; %bb.91:
	s_min_u32 s3, s27, 15
	v_dual_mov_b32 v6, 0 :: v_dual_mov_b32 v13, v4
	v_dual_mov_b32 v12, 0 :: v_dual_mov_b32 v11, 0
	s_add_co_i32 s4, s3, 1
	s_mov_b64 s[0:1], 0xffffffffffffffe8
	s_and_b32 s4, s4, 30
	s_add_nc_u64 s[0:1], s[12:13], s[0:1]
.LBB38_92:                              ; =>This Inner Loop Header: Depth=1
	s_clause 0x1
	s_load_b128 s[8:11], s[0:1], 0x1c
	s_load_b64 s[6:7], s[0:1], 0x2c
	s_add_co_i32 s4, s4, -2
	s_delay_alu instid0(SALU_CYCLE_1) | instskip(SKIP_2) | instid1(VALU_DEP_1)
	s_cmp_lg_u32 s4, 0
	s_wait_kmcnt 0x0
	v_mul_hi_u32 v14, s9, v13
	v_add_nc_u32_e32 v14, v13, v14
	s_delay_alu instid0(VALU_DEP_1) | instskip(NEXT) | instid1(VALU_DEP_1)
	v_lshrrev_b32_e32 v14, s10, v14
	v_mul_hi_u32 v15, s6, v14
	v_mul_lo_u32 v16, v14, s8
	s_clause 0x1
	s_load_b128 s[16:19], s[0:1], 0xdc
	s_load_b64 s[8:9], s[0:1], 0xec
	s_wait_xcnt 0x0
	s_add_nc_u64 s[0:1], s[0:1], 24
	s_delay_alu instid0(VALU_DEP_1) | instskip(NEXT) | instid1(VALU_DEP_1)
	v_dual_add_nc_u32 v15, v14, v15 :: v_dual_sub_nc_u32 v16, v13, v16
	v_lshrrev_b32_e32 v13, s7, v15
	s_wait_kmcnt 0x0
	s_delay_alu instid0(VALU_DEP_2) | instskip(NEXT) | instid1(VALU_DEP_2)
	v_mad_u32 v6, v16, s16, v6
	v_mul_lo_u32 v15, v13, s11
	v_mad_u32 v11, v16, s18, v11
	v_mad_u32 v12, v16, s17, v12
	s_delay_alu instid0(VALU_DEP_3) | instskip(NEXT) | instid1(VALU_DEP_1)
	v_sub_nc_u32_e32 v14, v14, v15
	v_mad_u32 v6, v14, s19, v6
	s_delay_alu instid0(VALU_DEP_4) | instskip(NEXT) | instid1(VALU_DEP_4)
	v_mad_u32 v11, v14, s9, v11
	v_mad_u32 v12, v14, s8, v12
	s_cbranch_scc1 .LBB38_92
; %bb.93:
	s_bitcmp1_b32 s3, 0
	s_cselect_b32 s3, -1, 0
	s_delay_alu instid0(SALU_CYCLE_1)
	s_and_b32 vcc_lo, exec_lo, s3
	s_cbranch_vccnz .LBB38_96
; %bb.94:
	s_clause 0x1
	s_load_b96 s[4:6], s[0:1], 0x1c
	s_load_b96 s[8:10], s[0:1], 0xdc
	s_wait_kmcnt 0x0
	v_mul_hi_u32 v14, s5, v13
	s_delay_alu instid0(VALU_DEP_1) | instskip(NEXT) | instid1(VALU_DEP_1)
	v_add_nc_u32_e32 v14, v13, v14
	v_lshrrev_b32_e32 v14, s6, v14
	s_delay_alu instid0(VALU_DEP_1) | instskip(NEXT) | instid1(VALU_DEP_1)
	v_mul_lo_u32 v14, v14, s4
	v_sub_nc_u32_e32 v13, v13, v14
	s_delay_alu instid0(VALU_DEP_1)
	v_mad_u32 v6, v13, s8, v6
	v_mad_u32 v12, v13, s9, v12
	v_mad_u32 v11, v13, s10, v11
	s_and_not1_b32 vcc_lo, exec_lo, s2
	s_cbranch_vccz .LBB38_97
	s_branch .LBB38_100
.LBB38_95:
	s_mov_b32 s2, -1
                                        ; implicit-def: $vgpr11
                                        ; implicit-def: $vgpr12
                                        ; implicit-def: $vgpr6
.LBB38_96:
	s_delay_alu instid0(SALU_CYCLE_1)
	s_and_not1_b32 vcc_lo, exec_lo, s2
	s_cbranch_vccnz .LBB38_100
.LBB38_97:
	s_clause 0x1
	s_load_b96 s[0:2], s[12:13], 0x4
	s_load_b96 s[4:6], s[12:13], 0xc4
	s_cmp_lt_u32 s26, 2
	s_wait_kmcnt 0x0
	v_mul_hi_u32 v6, s1, v4
	s_delay_alu instid0(VALU_DEP_1) | instskip(NEXT) | instid1(VALU_DEP_1)
	v_add_nc_u32_e32 v6, v4, v6
	v_lshrrev_b32_e32 v13, s2, v6
	s_delay_alu instid0(VALU_DEP_1) | instskip(NEXT) | instid1(VALU_DEP_1)
	v_mul_lo_u32 v6, v13, s0
	v_sub_nc_u32_e32 v4, v4, v6
	s_delay_alu instid0(VALU_DEP_1)
	v_mul_lo_u32 v6, v4, s4
	v_mul_lo_u32 v11, v4, s6
	;; [unrolled: 1-line block ×3, first 2 shown]
	s_cbranch_scc1 .LBB38_100
; %bb.98:
	s_clause 0x1
	s_load_b96 s[0:2], s[12:13], 0x10
	s_load_b96 s[4:6], s[12:13], 0xd0
	s_wait_kmcnt 0x0
	v_mul_hi_u32 v4, s1, v13
	s_delay_alu instid0(VALU_DEP_1) | instskip(NEXT) | instid1(VALU_DEP_1)
	v_add_nc_u32_e32 v4, v13, v4
	v_lshrrev_b32_e32 v4, s2, v4
	s_delay_alu instid0(VALU_DEP_1) | instskip(NEXT) | instid1(VALU_DEP_1)
	v_mul_lo_u32 v4, v4, s0
	v_sub_nc_u32_e32 v4, v13, v4
	s_delay_alu instid0(VALU_DEP_1)
	v_mad_u32 v6, v4, s4, v6
	v_mad_u32 v12, v4, s5, v12
	;; [unrolled: 1-line block ×3, first 2 shown]
	s_branch .LBB38_100
.LBB38_99:
	v_dual_mov_b32 v11, 0 :: v_dual_mov_b32 v12, 0
	v_mov_b32_e32 v6, 0
	s_and_not1_b32 vcc_lo, exec_lo, s2
	s_cbranch_vccz .LBB38_97
.LBB38_100:
	s_clause 0x1
	s_load_b128 s[0:3], s[12:13], 0x188
	s_load_b64 s[4:5], s[12:13], 0x198
	s_wait_kmcnt 0x0
	s_clause 0x3
	global_load_u16 v4, v2, s[2:3]
	global_load_u16 v13, v7, s[2:3]
	;; [unrolled: 1-line block ×4, first 2 shown]
	s_clause 0x3
	global_load_b32 v16, v3, s[4:5]
	global_load_b32 v17, v8, s[4:5]
	;; [unrolled: 1-line block ×4, first 2 shown]
	s_wait_loadcnt 0x7
	s_wait_xcnt 0x7
	v_cvt_f32_f16_e32 v2, v4
	s_wait_loadcnt 0x6
	s_wait_xcnt 0x3
	v_cvt_f32_f16_e32 v3, v13
	v_cmp_lt_f16_e32 vcc_lo, 0, v4
	s_wait_loadcnt 0x5
	v_cvt_f32_f16_e32 v7, v14
	s_wait_loadcnt 0x4
	s_wait_xcnt 0x2
	v_cvt_f32_f16_e32 v8, v15
	s_wait_loadcnt 0x2
	s_wait_xcnt 0x1
	v_dual_mul_f32 v9, v16, v2 :: v_dual_mul_f32 v10, v17, v3
	s_wait_loadcnt 0x0
	v_dual_mul_f32 v11, v18, v7 :: v_dual_mul_f32 v12, v19, v8
	s_delay_alu instid0(VALU_DEP_2)
	v_cndmask_b32_e32 v2, v9, v2, vcc_lo
	v_cmp_lt_f16_e32 vcc_lo, 0, v13
	v_cndmask_b32_e32 v3, v10, v3, vcc_lo
	v_cmp_lt_f16_e32 vcc_lo, 0, v14
	;; [unrolled: 2-line block ×3, first 2 shown]
	v_cndmask_b32_e32 v7, v12, v8, vcc_lo
	s_clause 0x3
	global_store_b32 v1, v2, s[0:1]
	global_store_b32 v5, v3, s[0:1]
	;; [unrolled: 1-line block ×4, first 2 shown]
	s_endpgm
	.section	.rodata,"a",@progbits
	.p2align	6, 0x0
	.amdhsa_kernel _ZN2at6native32elementwise_kernel_manual_unrollILi128ELi4EZNS0_12_GLOBAL__N_142type_specialized_broadcast_kernel_launcherILi4EE5applyIZZZNS0_12prelu_kernelERNS_14TensorIteratorEENKUlvE_clEvENKUlvE0_clEvEUlffE_St5arrayIPcLm3EESB_IN3c1010ScalarTypeELm3EE16OffsetCalculatorILi3EjLb0EEEEvlT_T0_T1_T2_EUlibE_EEviSL_
		.amdhsa_group_segment_fixed_size 0
		.amdhsa_private_segment_fixed_size 0
		.amdhsa_kernarg_size 432
		.amdhsa_user_sgpr_count 2
		.amdhsa_user_sgpr_dispatch_ptr 0
		.amdhsa_user_sgpr_queue_ptr 0
		.amdhsa_user_sgpr_kernarg_segment_ptr 1
		.amdhsa_user_sgpr_dispatch_id 0
		.amdhsa_user_sgpr_kernarg_preload_length 0
		.amdhsa_user_sgpr_kernarg_preload_offset 0
		.amdhsa_user_sgpr_private_segment_size 0
		.amdhsa_wavefront_size32 1
		.amdhsa_uses_dynamic_stack 0
		.amdhsa_enable_private_segment 0
		.amdhsa_system_sgpr_workgroup_id_x 1
		.amdhsa_system_sgpr_workgroup_id_y 0
		.amdhsa_system_sgpr_workgroup_id_z 0
		.amdhsa_system_sgpr_workgroup_info 0
		.amdhsa_system_vgpr_workitem_id 0
		.amdhsa_next_free_vgpr 20
		.amdhsa_next_free_sgpr 46
		.amdhsa_named_barrier_count 0
		.amdhsa_reserve_vcc 1
		.amdhsa_float_round_mode_32 0
		.amdhsa_float_round_mode_16_64 0
		.amdhsa_float_denorm_mode_32 3
		.amdhsa_float_denorm_mode_16_64 3
		.amdhsa_fp16_overflow 0
		.amdhsa_memory_ordered 1
		.amdhsa_forward_progress 1
		.amdhsa_inst_pref_size 44
		.amdhsa_round_robin_scheduling 0
		.amdhsa_exception_fp_ieee_invalid_op 0
		.amdhsa_exception_fp_denorm_src 0
		.amdhsa_exception_fp_ieee_div_zero 0
		.amdhsa_exception_fp_ieee_overflow 0
		.amdhsa_exception_fp_ieee_underflow 0
		.amdhsa_exception_fp_ieee_inexact 0
		.amdhsa_exception_int_div_zero 0
	.end_amdhsa_kernel
	.section	.text._ZN2at6native32elementwise_kernel_manual_unrollILi128ELi4EZNS0_12_GLOBAL__N_142type_specialized_broadcast_kernel_launcherILi4EE5applyIZZZNS0_12prelu_kernelERNS_14TensorIteratorEENKUlvE_clEvENKUlvE0_clEvEUlffE_St5arrayIPcLm3EESB_IN3c1010ScalarTypeELm3EE16OffsetCalculatorILi3EjLb0EEEEvlT_T0_T1_T2_EUlibE_EEviSL_,"axG",@progbits,_ZN2at6native32elementwise_kernel_manual_unrollILi128ELi4EZNS0_12_GLOBAL__N_142type_specialized_broadcast_kernel_launcherILi4EE5applyIZZZNS0_12prelu_kernelERNS_14TensorIteratorEENKUlvE_clEvENKUlvE0_clEvEUlffE_St5arrayIPcLm3EESB_IN3c1010ScalarTypeELm3EE16OffsetCalculatorILi3EjLb0EEEEvlT_T0_T1_T2_EUlibE_EEviSL_,comdat
.Lfunc_end38:
	.size	_ZN2at6native32elementwise_kernel_manual_unrollILi128ELi4EZNS0_12_GLOBAL__N_142type_specialized_broadcast_kernel_launcherILi4EE5applyIZZZNS0_12prelu_kernelERNS_14TensorIteratorEENKUlvE_clEvENKUlvE0_clEvEUlffE_St5arrayIPcLm3EESB_IN3c1010ScalarTypeELm3EE16OffsetCalculatorILi3EjLb0EEEEvlT_T0_T1_T2_EUlibE_EEviSL_, .Lfunc_end38-_ZN2at6native32elementwise_kernel_manual_unrollILi128ELi4EZNS0_12_GLOBAL__N_142type_specialized_broadcast_kernel_launcherILi4EE5applyIZZZNS0_12prelu_kernelERNS_14TensorIteratorEENKUlvE_clEvENKUlvE0_clEvEUlffE_St5arrayIPcLm3EESB_IN3c1010ScalarTypeELm3EE16OffsetCalculatorILi3EjLb0EEEEvlT_T0_T1_T2_EUlibE_EEviSL_
                                        ; -- End function
	.set _ZN2at6native32elementwise_kernel_manual_unrollILi128ELi4EZNS0_12_GLOBAL__N_142type_specialized_broadcast_kernel_launcherILi4EE5applyIZZZNS0_12prelu_kernelERNS_14TensorIteratorEENKUlvE_clEvENKUlvE0_clEvEUlffE_St5arrayIPcLm3EESB_IN3c1010ScalarTypeELm3EE16OffsetCalculatorILi3EjLb0EEEEvlT_T0_T1_T2_EUlibE_EEviSL_.num_vgpr, 20
	.set _ZN2at6native32elementwise_kernel_manual_unrollILi128ELi4EZNS0_12_GLOBAL__N_142type_specialized_broadcast_kernel_launcherILi4EE5applyIZZZNS0_12prelu_kernelERNS_14TensorIteratorEENKUlvE_clEvENKUlvE0_clEvEUlffE_St5arrayIPcLm3EESB_IN3c1010ScalarTypeELm3EE16OffsetCalculatorILi3EjLb0EEEEvlT_T0_T1_T2_EUlibE_EEviSL_.num_agpr, 0
	.set _ZN2at6native32elementwise_kernel_manual_unrollILi128ELi4EZNS0_12_GLOBAL__N_142type_specialized_broadcast_kernel_launcherILi4EE5applyIZZZNS0_12prelu_kernelERNS_14TensorIteratorEENKUlvE_clEvENKUlvE0_clEvEUlffE_St5arrayIPcLm3EESB_IN3c1010ScalarTypeELm3EE16OffsetCalculatorILi3EjLb0EEEEvlT_T0_T1_T2_EUlibE_EEviSL_.numbered_sgpr, 46
	.set _ZN2at6native32elementwise_kernel_manual_unrollILi128ELi4EZNS0_12_GLOBAL__N_142type_specialized_broadcast_kernel_launcherILi4EE5applyIZZZNS0_12prelu_kernelERNS_14TensorIteratorEENKUlvE_clEvENKUlvE0_clEvEUlffE_St5arrayIPcLm3EESB_IN3c1010ScalarTypeELm3EE16OffsetCalculatorILi3EjLb0EEEEvlT_T0_T1_T2_EUlibE_EEviSL_.num_named_barrier, 0
	.set _ZN2at6native32elementwise_kernel_manual_unrollILi128ELi4EZNS0_12_GLOBAL__N_142type_specialized_broadcast_kernel_launcherILi4EE5applyIZZZNS0_12prelu_kernelERNS_14TensorIteratorEENKUlvE_clEvENKUlvE0_clEvEUlffE_St5arrayIPcLm3EESB_IN3c1010ScalarTypeELm3EE16OffsetCalculatorILi3EjLb0EEEEvlT_T0_T1_T2_EUlibE_EEviSL_.private_seg_size, 0
	.set _ZN2at6native32elementwise_kernel_manual_unrollILi128ELi4EZNS0_12_GLOBAL__N_142type_specialized_broadcast_kernel_launcherILi4EE5applyIZZZNS0_12prelu_kernelERNS_14TensorIteratorEENKUlvE_clEvENKUlvE0_clEvEUlffE_St5arrayIPcLm3EESB_IN3c1010ScalarTypeELm3EE16OffsetCalculatorILi3EjLb0EEEEvlT_T0_T1_T2_EUlibE_EEviSL_.uses_vcc, 1
	.set _ZN2at6native32elementwise_kernel_manual_unrollILi128ELi4EZNS0_12_GLOBAL__N_142type_specialized_broadcast_kernel_launcherILi4EE5applyIZZZNS0_12prelu_kernelERNS_14TensorIteratorEENKUlvE_clEvENKUlvE0_clEvEUlffE_St5arrayIPcLm3EESB_IN3c1010ScalarTypeELm3EE16OffsetCalculatorILi3EjLb0EEEEvlT_T0_T1_T2_EUlibE_EEviSL_.uses_flat_scratch, 0
	.set _ZN2at6native32elementwise_kernel_manual_unrollILi128ELi4EZNS0_12_GLOBAL__N_142type_specialized_broadcast_kernel_launcherILi4EE5applyIZZZNS0_12prelu_kernelERNS_14TensorIteratorEENKUlvE_clEvENKUlvE0_clEvEUlffE_St5arrayIPcLm3EESB_IN3c1010ScalarTypeELm3EE16OffsetCalculatorILi3EjLb0EEEEvlT_T0_T1_T2_EUlibE_EEviSL_.has_dyn_sized_stack, 0
	.set _ZN2at6native32elementwise_kernel_manual_unrollILi128ELi4EZNS0_12_GLOBAL__N_142type_specialized_broadcast_kernel_launcherILi4EE5applyIZZZNS0_12prelu_kernelERNS_14TensorIteratorEENKUlvE_clEvENKUlvE0_clEvEUlffE_St5arrayIPcLm3EESB_IN3c1010ScalarTypeELm3EE16OffsetCalculatorILi3EjLb0EEEEvlT_T0_T1_T2_EUlibE_EEviSL_.has_recursion, 0
	.set _ZN2at6native32elementwise_kernel_manual_unrollILi128ELi4EZNS0_12_GLOBAL__N_142type_specialized_broadcast_kernel_launcherILi4EE5applyIZZZNS0_12prelu_kernelERNS_14TensorIteratorEENKUlvE_clEvENKUlvE0_clEvEUlffE_St5arrayIPcLm3EESB_IN3c1010ScalarTypeELm3EE16OffsetCalculatorILi3EjLb0EEEEvlT_T0_T1_T2_EUlibE_EEviSL_.has_indirect_call, 0
	.section	.AMDGPU.csdata,"",@progbits
; Kernel info:
; codeLenInByte = 5512
; TotalNumSgprs: 48
; NumVgprs: 20
; ScratchSize: 0
; MemoryBound: 0
; FloatMode: 240
; IeeeMode: 1
; LDSByteSize: 0 bytes/workgroup (compile time only)
; SGPRBlocks: 0
; VGPRBlocks: 1
; NumSGPRsForWavesPerEU: 48
; NumVGPRsForWavesPerEU: 20
; NamedBarCnt: 0
; Occupancy: 16
; WaveLimiterHint : 1
; COMPUTE_PGM_RSRC2:SCRATCH_EN: 0
; COMPUTE_PGM_RSRC2:USER_SGPR: 2
; COMPUTE_PGM_RSRC2:TRAP_HANDLER: 0
; COMPUTE_PGM_RSRC2:TGID_X_EN: 1
; COMPUTE_PGM_RSRC2:TGID_Y_EN: 0
; COMPUTE_PGM_RSRC2:TGID_Z_EN: 0
; COMPUTE_PGM_RSRC2:TIDIG_COMP_CNT: 0
	.section	.text._ZN2at6native32elementwise_kernel_manual_unrollILi128ELi4EZNS0_12_GLOBAL__N_142type_specialized_broadcast_kernel_launcherILi5EE5applyIZZZNS0_12prelu_kernelERNS_14TensorIteratorEENKUlvE_clEvENKUlvE0_clEvEUlffE_St5arrayIPcLm3EESB_IN3c1010ScalarTypeELm3EE16OffsetCalculatorILi3EjLb0EEEEvlT_T0_T1_T2_EUlibE_EEviSL_,"axG",@progbits,_ZN2at6native32elementwise_kernel_manual_unrollILi128ELi4EZNS0_12_GLOBAL__N_142type_specialized_broadcast_kernel_launcherILi5EE5applyIZZZNS0_12prelu_kernelERNS_14TensorIteratorEENKUlvE_clEvENKUlvE0_clEvEUlffE_St5arrayIPcLm3EESB_IN3c1010ScalarTypeELm3EE16OffsetCalculatorILi3EjLb0EEEEvlT_T0_T1_T2_EUlibE_EEviSL_,comdat
	.globl	_ZN2at6native32elementwise_kernel_manual_unrollILi128ELi4EZNS0_12_GLOBAL__N_142type_specialized_broadcast_kernel_launcherILi5EE5applyIZZZNS0_12prelu_kernelERNS_14TensorIteratorEENKUlvE_clEvENKUlvE0_clEvEUlffE_St5arrayIPcLm3EESB_IN3c1010ScalarTypeELm3EE16OffsetCalculatorILi3EjLb0EEEEvlT_T0_T1_T2_EUlibE_EEviSL_ ; -- Begin function _ZN2at6native32elementwise_kernel_manual_unrollILi128ELi4EZNS0_12_GLOBAL__N_142type_specialized_broadcast_kernel_launcherILi5EE5applyIZZZNS0_12prelu_kernelERNS_14TensorIteratorEENKUlvE_clEvENKUlvE0_clEvEUlffE_St5arrayIPcLm3EESB_IN3c1010ScalarTypeELm3EE16OffsetCalculatorILi3EjLb0EEEEvlT_T0_T1_T2_EUlibE_EEviSL_
	.p2align	8
	.type	_ZN2at6native32elementwise_kernel_manual_unrollILi128ELi4EZNS0_12_GLOBAL__N_142type_specialized_broadcast_kernel_launcherILi5EE5applyIZZZNS0_12prelu_kernelERNS_14TensorIteratorEENKUlvE_clEvENKUlvE0_clEvEUlffE_St5arrayIPcLm3EESB_IN3c1010ScalarTypeELm3EE16OffsetCalculatorILi3EjLb0EEEEvlT_T0_T1_T2_EUlibE_EEviSL_,@function
_ZN2at6native32elementwise_kernel_manual_unrollILi128ELi4EZNS0_12_GLOBAL__N_142type_specialized_broadcast_kernel_launcherILi5EE5applyIZZZNS0_12prelu_kernelERNS_14TensorIteratorEENKUlvE_clEvENKUlvE0_clEvEUlffE_St5arrayIPcLm3EESB_IN3c1010ScalarTypeELm3EE16OffsetCalculatorILi3EjLb0EEEEvlT_T0_T1_T2_EUlibE_EEviSL_: ; @_ZN2at6native32elementwise_kernel_manual_unrollILi128ELi4EZNS0_12_GLOBAL__N_142type_specialized_broadcast_kernel_launcherILi5EE5applyIZZZNS0_12prelu_kernelERNS_14TensorIteratorEENKUlvE_clEvENKUlvE0_clEvEUlffE_St5arrayIPcLm3EESB_IN3c1010ScalarTypeELm3EE16OffsetCalculatorILi3EjLb0EEEEvlT_T0_T1_T2_EUlibE_EEviSL_
; %bb.0:
	s_clause 0x1
	s_load_b32 s26, s[0:1], 0x8
	s_load_b32 s33, s[0:1], 0x0
	s_bfe_u32 s2, ttmp6, 0x4000c
	s_and_b32 s3, ttmp6, 15
	s_add_co_i32 s2, s2, 1
	s_getreg_b32 s4, hwreg(HW_REG_IB_STS2, 6, 4)
	s_mul_i32 s2, ttmp9, s2
	s_add_nc_u64 s[12:13], s[0:1], 8
	s_add_co_i32 s3, s3, s2
	s_cmp_eq_u32 s4, 0
	s_mov_b32 s21, 0
	s_cselect_b32 s2, ttmp9, s3
	s_wait_xcnt 0x0
	s_mov_b32 s0, exec_lo
	v_lshl_or_b32 v0, s2, 9, v0
	s_delay_alu instid0(VALU_DEP_1) | instskip(SKIP_2) | instid1(SALU_CYCLE_1)
	v_or_b32_e32 v2, 0x180, v0
	s_wait_kmcnt 0x0
	s_add_co_i32 s27, s26, -1
	s_cmp_gt_u32 s27, 1
	s_cselect_b32 s28, -1, 0
	v_cmpx_le_i32_e64 s33, v2
	s_xor_b32 s29, exec_lo, s0
	s_cbranch_execz .LBB39_54
; %bb.1:
	s_clause 0x5
	s_load_b128 s[4:7], s[12:13], 0x4
	s_load_b64 s[16:17], s[12:13], 0x14
	s_load_b128 s[8:11], s[12:13], 0xc4
	s_load_b64 s[18:19], s[12:13], 0xd4
	s_load_b64 s[14:15], s[12:13], 0x198
	s_load_b128 s[0:3], s[12:13], 0x188
	s_cmp_lg_u32 s26, 0
	s_mov_b32 s23, s21
	s_cselect_b32 s34, -1, 0
	s_min_u32 s31, s27, 15
	s_cmp_gt_u32 s26, 1
	s_cselect_b32 s30, -1, 0
	s_wait_kmcnt 0x0
	s_mov_b32 s20, s5
	s_mov_b32 s22, s16
	s_mov_b32 s5, exec_lo
	v_cmpx_gt_i32_e64 s33, v0
	s_cbranch_execnz .LBB39_5
; %bb.2:
	s_or_b32 exec_lo, exec_lo, s5
	s_delay_alu instid0(SALU_CYCLE_1)
	s_mov_b32 s5, exec_lo
	v_cmpx_gt_i32_e64 s33, v0
	s_cbranch_execnz .LBB39_17
.LBB39_3:
	s_or_b32 exec_lo, exec_lo, s5
	s_delay_alu instid0(SALU_CYCLE_1)
	s_mov_b32 s5, exec_lo
	v_cmpx_gt_i32_e64 s33, v0
	s_cbranch_execnz .LBB39_29
.LBB39_4:
	s_or_b32 exec_lo, exec_lo, s5
	s_delay_alu instid0(SALU_CYCLE_1)
	s_mov_b32 s5, exec_lo
	v_cmpx_gt_i32_e64 s33, v0
	s_cbranch_execnz .LBB39_41
	s_branch .LBB39_53
.LBB39_5:
	s_and_not1_b32 vcc_lo, exec_lo, s28
	s_cbranch_vccnz .LBB39_11
; %bb.6:
	s_and_not1_b32 vcc_lo, exec_lo, s34
	s_cbranch_vccnz .LBB39_12
; %bb.7:
	v_dual_mov_b32 v4, 0 :: v_dual_mov_b32 v1, v0
	v_dual_mov_b32 v6, 0 :: v_dual_mov_b32 v5, 0
	s_add_co_i32 s16, s31, 1
	s_mov_b64 s[24:25], 0xffffffffffffffe8
	s_and_b32 s16, s16, 30
	s_add_nc_u64 s[24:25], s[12:13], s[24:25]
.LBB39_8:                               ; =>This Inner Loop Header: Depth=1
	s_clause 0x1
	s_load_b128 s[36:39], s[24:25], 0x1c
	s_load_b64 s[44:45], s[24:25], 0x2c
	s_add_co_i32 s16, s16, -2
	s_delay_alu instid0(SALU_CYCLE_1) | instskip(SKIP_2) | instid1(VALU_DEP_1)
	s_cmp_lg_u32 s16, 0
	s_wait_kmcnt 0x0
	v_mul_hi_u32 v2, s37, v1
	v_add_nc_u32_e32 v2, v1, v2
	s_delay_alu instid0(VALU_DEP_1) | instskip(NEXT) | instid1(VALU_DEP_1)
	v_lshrrev_b32_e32 v2, s38, v2
	v_mul_hi_u32 v3, s44, v2
	v_mul_lo_u32 v7, v2, s36
	s_clause 0x1
	s_load_b128 s[40:43], s[24:25], 0xdc
	s_load_b64 s[36:37], s[24:25], 0xec
	s_wait_xcnt 0x0
	s_add_nc_u64 s[24:25], s[24:25], 24
	s_delay_alu instid0(VALU_DEP_2) | instskip(NEXT) | instid1(VALU_DEP_2)
	v_add_nc_u32_e32 v3, v2, v3
	v_sub_nc_u32_e32 v7, v1, v7
	s_delay_alu instid0(VALU_DEP_2) | instskip(SKIP_1) | instid1(VALU_DEP_2)
	v_lshrrev_b32_e32 v1, s45, v3
	s_wait_kmcnt 0x0
	v_mad_u32 v4, v7, s40, v4
	s_delay_alu instid0(VALU_DEP_2) | instskip(SKIP_2) | instid1(VALU_DEP_3)
	v_mul_lo_u32 v3, v1, s39
	v_mad_u32 v5, v7, s42, v5
	v_mad_u32 v6, v7, s41, v6
	v_sub_nc_u32_e32 v2, v2, v3
	s_delay_alu instid0(VALU_DEP_1) | instskip(NEXT) | instid1(VALU_DEP_4)
	v_mad_u32 v4, v2, s43, v4
	v_mad_u32 v5, v2, s37, v5
	s_delay_alu instid0(VALU_DEP_4)
	v_mad_u32 v6, v2, s36, v6
	s_cbranch_scc1 .LBB39_8
; %bb.9:
	s_bitcmp1_b32 s31, 0
	s_cselect_b32 s16, -1, 0
	s_delay_alu instid0(SALU_CYCLE_1)
	s_and_b32 vcc_lo, exec_lo, s16
	s_cbranch_vccnz .LBB39_13
; %bb.10:
	s_clause 0x1
	s_load_b96 s[36:38], s[24:25], 0x1c
	s_load_b96 s[40:42], s[24:25], 0xdc
	s_wait_kmcnt 0x0
	v_mul_hi_u32 v2, s37, v1
	s_delay_alu instid0(VALU_DEP_1) | instskip(NEXT) | instid1(VALU_DEP_1)
	v_add_nc_u32_e32 v2, v1, v2
	v_lshrrev_b32_e32 v2, s38, v2
	s_delay_alu instid0(VALU_DEP_1) | instskip(NEXT) | instid1(VALU_DEP_1)
	v_mul_lo_u32 v2, v2, s36
	v_sub_nc_u32_e32 v1, v1, v2
	s_delay_alu instid0(VALU_DEP_1)
	v_mad_u32 v4, v1, s40, v4
	v_mad_u32 v6, v1, s41, v6
	;; [unrolled: 1-line block ×3, first 2 shown]
	s_cbranch_execz .LBB39_14
	s_branch .LBB39_16
.LBB39_11:
                                        ; implicit-def: $vgpr5
                                        ; implicit-def: $vgpr6
                                        ; implicit-def: $vgpr4
	s_branch .LBB39_14
.LBB39_12:
	v_dual_mov_b32 v5, 0 :: v_dual_mov_b32 v6, 0
	v_mov_b32_e32 v4, 0
.LBB39_13:
	s_cbranch_execnz .LBB39_16
.LBB39_14:
	v_mov_b32_e32 v1, 0
	s_and_not1_b32 vcc_lo, exec_lo, s30
	s_delay_alu instid0(VALU_DEP_1) | instskip(NEXT) | instid1(VALU_DEP_1)
	v_mul_u64_e32 v[2:3], s[20:21], v[0:1]
	v_add_nc_u32_e32 v2, v0, v3
	s_delay_alu instid0(VALU_DEP_1) | instskip(NEXT) | instid1(VALU_DEP_1)
	v_lshrrev_b32_e32 v2, s6, v2
	v_mul_lo_u32 v3, v2, s4
	s_delay_alu instid0(VALU_DEP_1) | instskip(NEXT) | instid1(VALU_DEP_1)
	v_sub_nc_u32_e32 v3, v0, v3
	v_mul_lo_u32 v4, v3, s8
	v_mul_lo_u32 v5, v3, s10
	;; [unrolled: 1-line block ×3, first 2 shown]
	s_cbranch_vccnz .LBB39_16
; %bb.15:
	v_mov_b32_e32 v3, v1
	s_delay_alu instid0(VALU_DEP_1) | instskip(NEXT) | instid1(VALU_DEP_1)
	v_mul_u64_e32 v[8:9], s[22:23], v[2:3]
	v_add_nc_u32_e32 v1, v2, v9
	s_delay_alu instid0(VALU_DEP_1) | instskip(NEXT) | instid1(VALU_DEP_1)
	v_lshrrev_b32_e32 v1, s17, v1
	v_mul_lo_u32 v1, v1, s7
	s_delay_alu instid0(VALU_DEP_1) | instskip(NEXT) | instid1(VALU_DEP_1)
	v_sub_nc_u32_e32 v1, v2, v1
	v_mad_u32 v4, v1, s11, v4
	v_mad_u32 v6, v1, s18, v6
	v_mad_u32 v5, v1, s19, v5
.LBB39_16:
	global_load_u16 v1, v6, s[2:3]
	global_load_b32 v2, v5, s[14:15]
	v_add_nc_u32_e32 v0, 0x80, v0
	s_wait_loadcnt 0x1
	v_cmp_lt_f16_e32 vcc_lo, 0, v1
	s_wait_loadcnt 0x0
	v_fma_mixlo_f16 v2, v2, v1, 0 op_sel_hi:[0,1,0]
	s_delay_alu instid0(VALU_DEP_1) | instskip(SKIP_3) | instid1(SALU_CYCLE_1)
	v_cndmask_b32_e32 v1, v2, v1, vcc_lo
	global_store_b16 v4, v1, s[0:1]
	s_wait_xcnt 0x0
	s_or_b32 exec_lo, exec_lo, s5
	s_mov_b32 s5, exec_lo
	v_cmpx_gt_i32_e64 s33, v0
	s_cbranch_execz .LBB39_3
.LBB39_17:
	s_and_not1_b32 vcc_lo, exec_lo, s28
	s_cbranch_vccnz .LBB39_23
; %bb.18:
	s_and_not1_b32 vcc_lo, exec_lo, s34
	s_cbranch_vccnz .LBB39_24
; %bb.19:
	v_dual_mov_b32 v4, 0 :: v_dual_mov_b32 v1, v0
	v_dual_mov_b32 v6, 0 :: v_dual_mov_b32 v5, 0
	s_add_co_i32 s16, s31, 1
	s_mov_b64 s[24:25], 0xffffffffffffffe8
	s_and_b32 s16, s16, 30
	s_add_nc_u64 s[24:25], s[12:13], s[24:25]
.LBB39_20:                              ; =>This Inner Loop Header: Depth=1
	s_clause 0x1
	s_load_b128 s[36:39], s[24:25], 0x1c
	s_load_b64 s[44:45], s[24:25], 0x2c
	s_add_co_i32 s16, s16, -2
	s_delay_alu instid0(SALU_CYCLE_1) | instskip(SKIP_2) | instid1(VALU_DEP_1)
	s_cmp_eq_u32 s16, 0
	s_wait_kmcnt 0x0
	v_mul_hi_u32 v2, s37, v1
	v_add_nc_u32_e32 v2, v1, v2
	s_delay_alu instid0(VALU_DEP_1) | instskip(NEXT) | instid1(VALU_DEP_1)
	v_lshrrev_b32_e32 v2, s38, v2
	v_mul_hi_u32 v3, s44, v2
	v_mul_lo_u32 v7, v2, s36
	s_clause 0x1
	s_load_b128 s[40:43], s[24:25], 0xdc
	s_load_b64 s[36:37], s[24:25], 0xec
	s_wait_xcnt 0x0
	s_add_nc_u64 s[24:25], s[24:25], 24
	s_delay_alu instid0(VALU_DEP_2) | instskip(NEXT) | instid1(VALU_DEP_2)
	v_add_nc_u32_e32 v3, v2, v3
	v_sub_nc_u32_e32 v7, v1, v7
	s_delay_alu instid0(VALU_DEP_2) | instskip(SKIP_1) | instid1(VALU_DEP_2)
	v_lshrrev_b32_e32 v1, s45, v3
	s_wait_kmcnt 0x0
	v_mad_u32 v4, v7, s40, v4
	s_delay_alu instid0(VALU_DEP_2) | instskip(SKIP_2) | instid1(VALU_DEP_3)
	v_mul_lo_u32 v3, v1, s39
	v_mad_u32 v5, v7, s42, v5
	v_mad_u32 v6, v7, s41, v6
	v_sub_nc_u32_e32 v2, v2, v3
	s_delay_alu instid0(VALU_DEP_1) | instskip(NEXT) | instid1(VALU_DEP_4)
	v_mad_u32 v4, v2, s43, v4
	v_mad_u32 v5, v2, s37, v5
	s_delay_alu instid0(VALU_DEP_4)
	v_mad_u32 v6, v2, s36, v6
	s_cbranch_scc0 .LBB39_20
; %bb.21:
	s_bitcmp1_b32 s31, 0
	s_cselect_b32 s16, -1, 0
	s_delay_alu instid0(SALU_CYCLE_1)
	s_and_b32 vcc_lo, exec_lo, s16
	s_cbranch_vccnz .LBB39_25
; %bb.22:
	s_clause 0x1
	s_load_b96 s[36:38], s[24:25], 0x1c
	s_load_b96 s[40:42], s[24:25], 0xdc
	s_wait_kmcnt 0x0
	v_mul_hi_u32 v2, s37, v1
	s_delay_alu instid0(VALU_DEP_1) | instskip(NEXT) | instid1(VALU_DEP_1)
	v_add_nc_u32_e32 v2, v1, v2
	v_lshrrev_b32_e32 v2, s38, v2
	s_delay_alu instid0(VALU_DEP_1) | instskip(NEXT) | instid1(VALU_DEP_1)
	v_mul_lo_u32 v2, v2, s36
	v_sub_nc_u32_e32 v1, v1, v2
	s_delay_alu instid0(VALU_DEP_1)
	v_mad_u32 v4, v1, s40, v4
	v_mad_u32 v6, v1, s41, v6
	;; [unrolled: 1-line block ×3, first 2 shown]
	s_branch .LBB39_25
.LBB39_23:
                                        ; implicit-def: $vgpr5
                                        ; implicit-def: $vgpr6
                                        ; implicit-def: $vgpr4
	s_branch .LBB39_26
.LBB39_24:
	v_dual_mov_b32 v5, 0 :: v_dual_mov_b32 v6, 0
	v_mov_b32_e32 v4, 0
.LBB39_25:
	s_cbranch_execnz .LBB39_28
.LBB39_26:
	v_mov_b32_e32 v1, 0
	s_and_not1_b32 vcc_lo, exec_lo, s30
	s_delay_alu instid0(VALU_DEP_1) | instskip(NEXT) | instid1(VALU_DEP_1)
	v_mul_u64_e32 v[2:3], s[20:21], v[0:1]
	v_add_nc_u32_e32 v2, v0, v3
	s_delay_alu instid0(VALU_DEP_1) | instskip(NEXT) | instid1(VALU_DEP_1)
	v_lshrrev_b32_e32 v2, s6, v2
	v_mul_lo_u32 v3, v2, s4
	s_delay_alu instid0(VALU_DEP_1) | instskip(NEXT) | instid1(VALU_DEP_1)
	v_sub_nc_u32_e32 v3, v0, v3
	v_mul_lo_u32 v4, v3, s8
	v_mul_lo_u32 v5, v3, s10
	;; [unrolled: 1-line block ×3, first 2 shown]
	s_cbranch_vccnz .LBB39_28
; %bb.27:
	v_mov_b32_e32 v3, v1
	s_delay_alu instid0(VALU_DEP_1) | instskip(NEXT) | instid1(VALU_DEP_1)
	v_mul_u64_e32 v[8:9], s[22:23], v[2:3]
	v_add_nc_u32_e32 v1, v2, v9
	s_delay_alu instid0(VALU_DEP_1) | instskip(NEXT) | instid1(VALU_DEP_1)
	v_lshrrev_b32_e32 v1, s17, v1
	v_mul_lo_u32 v1, v1, s7
	s_delay_alu instid0(VALU_DEP_1) | instskip(NEXT) | instid1(VALU_DEP_1)
	v_sub_nc_u32_e32 v1, v2, v1
	v_mad_u32 v4, v1, s11, v4
	v_mad_u32 v6, v1, s18, v6
	;; [unrolled: 1-line block ×3, first 2 shown]
.LBB39_28:
	global_load_u16 v1, v6, s[2:3]
	global_load_b32 v2, v5, s[14:15]
	v_add_nc_u32_e32 v0, 0x80, v0
	s_wait_loadcnt 0x1
	v_cmp_lt_f16_e32 vcc_lo, 0, v1
	s_wait_loadcnt 0x0
	v_fma_mixlo_f16 v2, v2, v1, 0 op_sel_hi:[0,1,0]
	s_delay_alu instid0(VALU_DEP_1) | instskip(SKIP_3) | instid1(SALU_CYCLE_1)
	v_cndmask_b32_e32 v1, v2, v1, vcc_lo
	global_store_b16 v4, v1, s[0:1]
	s_wait_xcnt 0x0
	s_or_b32 exec_lo, exec_lo, s5
	s_mov_b32 s5, exec_lo
	v_cmpx_gt_i32_e64 s33, v0
	s_cbranch_execz .LBB39_4
.LBB39_29:
	s_and_not1_b32 vcc_lo, exec_lo, s28
	s_cbranch_vccnz .LBB39_35
; %bb.30:
	s_and_not1_b32 vcc_lo, exec_lo, s34
	s_cbranch_vccnz .LBB39_36
; %bb.31:
	v_dual_mov_b32 v4, 0 :: v_dual_mov_b32 v1, v0
	v_dual_mov_b32 v6, 0 :: v_dual_mov_b32 v5, 0
	s_add_co_i32 s16, s31, 1
	s_mov_b64 s[24:25], 0xffffffffffffffe8
	s_and_b32 s16, s16, 30
	s_add_nc_u64 s[24:25], s[12:13], s[24:25]
.LBB39_32:                              ; =>This Inner Loop Header: Depth=1
	s_clause 0x1
	s_load_b128 s[36:39], s[24:25], 0x1c
	s_load_b64 s[44:45], s[24:25], 0x2c
	s_add_co_i32 s16, s16, -2
	s_delay_alu instid0(SALU_CYCLE_1) | instskip(SKIP_2) | instid1(VALU_DEP_1)
	s_cmp_eq_u32 s16, 0
	s_wait_kmcnt 0x0
	v_mul_hi_u32 v2, s37, v1
	v_add_nc_u32_e32 v2, v1, v2
	s_delay_alu instid0(VALU_DEP_1) | instskip(NEXT) | instid1(VALU_DEP_1)
	v_lshrrev_b32_e32 v2, s38, v2
	v_mul_hi_u32 v3, s44, v2
	v_mul_lo_u32 v7, v2, s36
	s_clause 0x1
	s_load_b128 s[40:43], s[24:25], 0xdc
	s_load_b64 s[36:37], s[24:25], 0xec
	s_wait_xcnt 0x0
	s_add_nc_u64 s[24:25], s[24:25], 24
	s_delay_alu instid0(VALU_DEP_2) | instskip(NEXT) | instid1(VALU_DEP_2)
	v_add_nc_u32_e32 v3, v2, v3
	v_sub_nc_u32_e32 v7, v1, v7
	s_delay_alu instid0(VALU_DEP_2) | instskip(SKIP_1) | instid1(VALU_DEP_2)
	v_lshrrev_b32_e32 v1, s45, v3
	s_wait_kmcnt 0x0
	v_mad_u32 v4, v7, s40, v4
	s_delay_alu instid0(VALU_DEP_2) | instskip(SKIP_2) | instid1(VALU_DEP_3)
	v_mul_lo_u32 v3, v1, s39
	v_mad_u32 v5, v7, s42, v5
	v_mad_u32 v6, v7, s41, v6
	v_sub_nc_u32_e32 v2, v2, v3
	s_delay_alu instid0(VALU_DEP_1) | instskip(NEXT) | instid1(VALU_DEP_4)
	v_mad_u32 v4, v2, s43, v4
	v_mad_u32 v5, v2, s37, v5
	s_delay_alu instid0(VALU_DEP_4)
	v_mad_u32 v6, v2, s36, v6
	s_cbranch_scc0 .LBB39_32
; %bb.33:
	s_bitcmp1_b32 s31, 0
	s_cselect_b32 s16, -1, 0
	s_delay_alu instid0(SALU_CYCLE_1)
	s_and_b32 vcc_lo, exec_lo, s16
	s_cbranch_vccnz .LBB39_37
; %bb.34:
	s_clause 0x1
	s_load_b96 s[36:38], s[24:25], 0x1c
	s_load_b96 s[40:42], s[24:25], 0xdc
	s_wait_kmcnt 0x0
	v_mul_hi_u32 v2, s37, v1
	s_delay_alu instid0(VALU_DEP_1) | instskip(NEXT) | instid1(VALU_DEP_1)
	v_add_nc_u32_e32 v2, v1, v2
	v_lshrrev_b32_e32 v2, s38, v2
	s_delay_alu instid0(VALU_DEP_1) | instskip(NEXT) | instid1(VALU_DEP_1)
	v_mul_lo_u32 v2, v2, s36
	v_sub_nc_u32_e32 v1, v1, v2
	s_delay_alu instid0(VALU_DEP_1)
	v_mad_u32 v4, v1, s40, v4
	v_mad_u32 v6, v1, s41, v6
	;; [unrolled: 1-line block ×3, first 2 shown]
	s_branch .LBB39_37
.LBB39_35:
                                        ; implicit-def: $vgpr5
                                        ; implicit-def: $vgpr6
                                        ; implicit-def: $vgpr4
	s_branch .LBB39_38
.LBB39_36:
	v_dual_mov_b32 v5, 0 :: v_dual_mov_b32 v6, 0
	v_mov_b32_e32 v4, 0
.LBB39_37:
	s_cbranch_execnz .LBB39_40
.LBB39_38:
	v_mov_b32_e32 v1, 0
	s_and_not1_b32 vcc_lo, exec_lo, s30
	s_delay_alu instid0(VALU_DEP_1) | instskip(NEXT) | instid1(VALU_DEP_1)
	v_mul_u64_e32 v[2:3], s[20:21], v[0:1]
	v_add_nc_u32_e32 v2, v0, v3
	s_delay_alu instid0(VALU_DEP_1) | instskip(NEXT) | instid1(VALU_DEP_1)
	v_lshrrev_b32_e32 v2, s6, v2
	v_mul_lo_u32 v3, v2, s4
	s_delay_alu instid0(VALU_DEP_1) | instskip(NEXT) | instid1(VALU_DEP_1)
	v_sub_nc_u32_e32 v3, v0, v3
	v_mul_lo_u32 v4, v3, s8
	v_mul_lo_u32 v5, v3, s10
	;; [unrolled: 1-line block ×3, first 2 shown]
	s_cbranch_vccnz .LBB39_40
; %bb.39:
	v_mov_b32_e32 v3, v1
	s_delay_alu instid0(VALU_DEP_1) | instskip(NEXT) | instid1(VALU_DEP_1)
	v_mul_u64_e32 v[8:9], s[22:23], v[2:3]
	v_add_nc_u32_e32 v1, v2, v9
	s_delay_alu instid0(VALU_DEP_1) | instskip(NEXT) | instid1(VALU_DEP_1)
	v_lshrrev_b32_e32 v1, s17, v1
	v_mul_lo_u32 v1, v1, s7
	s_delay_alu instid0(VALU_DEP_1) | instskip(NEXT) | instid1(VALU_DEP_1)
	v_sub_nc_u32_e32 v1, v2, v1
	v_mad_u32 v4, v1, s11, v4
	v_mad_u32 v6, v1, s18, v6
	;; [unrolled: 1-line block ×3, first 2 shown]
.LBB39_40:
	global_load_u16 v1, v6, s[2:3]
	global_load_b32 v2, v5, s[14:15]
	v_add_nc_u32_e32 v0, 0x80, v0
	s_wait_loadcnt 0x1
	v_cmp_lt_f16_e32 vcc_lo, 0, v1
	s_wait_loadcnt 0x0
	v_fma_mixlo_f16 v2, v2, v1, 0 op_sel_hi:[0,1,0]
	s_delay_alu instid0(VALU_DEP_1) | instskip(SKIP_3) | instid1(SALU_CYCLE_1)
	v_cndmask_b32_e32 v1, v2, v1, vcc_lo
	global_store_b16 v4, v1, s[0:1]
	s_wait_xcnt 0x0
	s_or_b32 exec_lo, exec_lo, s5
	s_mov_b32 s5, exec_lo
	v_cmpx_gt_i32_e64 s33, v0
	s_cbranch_execz .LBB39_53
.LBB39_41:
	s_and_not1_b32 vcc_lo, exec_lo, s28
	s_cbranch_vccnz .LBB39_47
; %bb.42:
	s_and_not1_b32 vcc_lo, exec_lo, s34
	s_cbranch_vccnz .LBB39_48
; %bb.43:
	v_dual_mov_b32 v4, 0 :: v_dual_mov_b32 v1, v0
	v_dual_mov_b32 v6, 0 :: v_dual_mov_b32 v5, 0
	s_add_co_i32 s16, s31, 1
	s_mov_b64 s[24:25], 0xffffffffffffffe8
	s_and_b32 s16, s16, 30
	s_add_nc_u64 s[24:25], s[12:13], s[24:25]
.LBB39_44:                              ; =>This Inner Loop Header: Depth=1
	s_clause 0x1
	s_load_b128 s[36:39], s[24:25], 0x1c
	s_load_b64 s[34:35], s[24:25], 0x2c
	s_add_co_i32 s16, s16, -2
	s_delay_alu instid0(SALU_CYCLE_1) | instskip(SKIP_2) | instid1(VALU_DEP_1)
	s_cmp_eq_u32 s16, 0
	s_wait_kmcnt 0x0
	v_mul_hi_u32 v2, s37, v1
	v_add_nc_u32_e32 v2, v1, v2
	s_delay_alu instid0(VALU_DEP_1) | instskip(NEXT) | instid1(VALU_DEP_1)
	v_lshrrev_b32_e32 v2, s38, v2
	v_mul_hi_u32 v3, s34, v2
	v_mul_lo_u32 v7, v2, s36
	s_clause 0x1
	s_load_b128 s[40:43], s[24:25], 0xdc
	s_load_b64 s[36:37], s[24:25], 0xec
	s_wait_xcnt 0x0
	s_add_nc_u64 s[24:25], s[24:25], 24
	s_delay_alu instid0(VALU_DEP_2) | instskip(NEXT) | instid1(VALU_DEP_2)
	v_add_nc_u32_e32 v3, v2, v3
	v_sub_nc_u32_e32 v7, v1, v7
	s_delay_alu instid0(VALU_DEP_2) | instskip(SKIP_1) | instid1(VALU_DEP_2)
	v_lshrrev_b32_e32 v1, s35, v3
	s_wait_kmcnt 0x0
	v_mad_u32 v4, v7, s40, v4
	s_delay_alu instid0(VALU_DEP_2) | instskip(SKIP_2) | instid1(VALU_DEP_3)
	v_mul_lo_u32 v3, v1, s39
	v_mad_u32 v5, v7, s42, v5
	v_mad_u32 v6, v7, s41, v6
	v_sub_nc_u32_e32 v2, v2, v3
	s_delay_alu instid0(VALU_DEP_1) | instskip(NEXT) | instid1(VALU_DEP_4)
	v_mad_u32 v4, v2, s43, v4
	v_mad_u32 v5, v2, s37, v5
	s_delay_alu instid0(VALU_DEP_4)
	v_mad_u32 v6, v2, s36, v6
	s_cbranch_scc0 .LBB39_44
; %bb.45:
	s_bitcmp1_b32 s31, 0
	s_cselect_b32 s16, -1, 0
	s_delay_alu instid0(SALU_CYCLE_1)
	s_and_b32 vcc_lo, exec_lo, s16
	s_cbranch_vccnz .LBB39_49
; %bb.46:
	s_clause 0x1
	s_load_b96 s[36:38], s[24:25], 0x1c
	s_load_b96 s[40:42], s[24:25], 0xdc
	s_wait_kmcnt 0x0
	v_mul_hi_u32 v2, s37, v1
	s_delay_alu instid0(VALU_DEP_1) | instskip(NEXT) | instid1(VALU_DEP_1)
	v_add_nc_u32_e32 v2, v1, v2
	v_lshrrev_b32_e32 v2, s38, v2
	s_delay_alu instid0(VALU_DEP_1) | instskip(NEXT) | instid1(VALU_DEP_1)
	v_mul_lo_u32 v2, v2, s36
	v_sub_nc_u32_e32 v1, v1, v2
	s_delay_alu instid0(VALU_DEP_1)
	v_mad_u32 v4, v1, s40, v4
	v_mad_u32 v6, v1, s41, v6
	;; [unrolled: 1-line block ×3, first 2 shown]
	s_branch .LBB39_49
.LBB39_47:
                                        ; implicit-def: $vgpr5
                                        ; implicit-def: $vgpr6
                                        ; implicit-def: $vgpr4
	s_branch .LBB39_50
.LBB39_48:
	v_dual_mov_b32 v5, 0 :: v_dual_mov_b32 v6, 0
	v_mov_b32_e32 v4, 0
.LBB39_49:
	s_cbranch_execnz .LBB39_52
.LBB39_50:
	v_mov_b32_e32 v1, 0
	s_and_not1_b32 vcc_lo, exec_lo, s30
	s_delay_alu instid0(VALU_DEP_1) | instskip(NEXT) | instid1(VALU_DEP_1)
	v_mul_u64_e32 v[2:3], s[20:21], v[0:1]
	v_add_nc_u32_e32 v2, v0, v3
	s_delay_alu instid0(VALU_DEP_1) | instskip(NEXT) | instid1(VALU_DEP_1)
	v_lshrrev_b32_e32 v2, s6, v2
	v_mul_lo_u32 v3, v2, s4
	s_delay_alu instid0(VALU_DEP_1) | instskip(NEXT) | instid1(VALU_DEP_1)
	v_sub_nc_u32_e32 v0, v0, v3
	v_mul_lo_u32 v4, v0, s8
	v_mul_lo_u32 v5, v0, s10
	;; [unrolled: 1-line block ×3, first 2 shown]
	s_cbranch_vccnz .LBB39_52
; %bb.51:
	v_mov_b32_e32 v3, v1
	s_delay_alu instid0(VALU_DEP_1) | instskip(NEXT) | instid1(VALU_DEP_1)
	v_mul_u64_e32 v[0:1], s[22:23], v[2:3]
	v_add_nc_u32_e32 v0, v2, v1
	s_delay_alu instid0(VALU_DEP_1) | instskip(NEXT) | instid1(VALU_DEP_1)
	v_lshrrev_b32_e32 v0, s17, v0
	v_mul_lo_u32 v0, v0, s7
	s_delay_alu instid0(VALU_DEP_1) | instskip(NEXT) | instid1(VALU_DEP_1)
	v_sub_nc_u32_e32 v0, v2, v0
	v_mad_u32 v4, v0, s11, v4
	v_mad_u32 v6, v0, s18, v6
	;; [unrolled: 1-line block ×3, first 2 shown]
.LBB39_52:
	global_load_u16 v0, v6, s[2:3]
	global_load_b32 v1, v5, s[14:15]
	s_wait_loadcnt 0x1
	v_cmp_lt_f16_e32 vcc_lo, 0, v0
	s_wait_loadcnt 0x0
	v_fma_mixlo_f16 v1, v1, v0, 0 op_sel_hi:[0,1,0]
	s_delay_alu instid0(VALU_DEP_1)
	v_cndmask_b32_e32 v0, v1, v0, vcc_lo
	global_store_b16 v4, v0, s[0:1]
.LBB39_53:
	s_wait_xcnt 0x0
	s_or_b32 exec_lo, exec_lo, s5
                                        ; implicit-def: $vgpr2
                                        ; implicit-def: $vgpr0
.LBB39_54:
	s_and_not1_saveexec_b32 s0, s29
	s_cbranch_execz .LBB39_61
; %bb.55:
	v_cndmask_b32_e64 v6, 0, 1, s28
	s_and_not1_b32 vcc_lo, exec_lo, s28
	s_cbranch_vccnz .LBB39_62
; %bb.56:
	s_cmp_lg_u32 s26, 0
	s_mov_b32 s2, 0
	s_cbranch_scc0 .LBB39_66
; %bb.57:
	s_min_u32 s3, s27, 15
	v_dual_mov_b32 v1, 0 :: v_dual_mov_b32 v5, v0
	v_dual_mov_b32 v4, 0 :: v_dual_mov_b32 v3, 0
	s_add_co_i32 s4, s3, 1
	s_mov_b64 s[0:1], 0xffffffffffffffe8
	s_and_b32 s4, s4, 30
	s_add_nc_u64 s[0:1], s[12:13], s[0:1]
.LBB39_58:                              ; =>This Inner Loop Header: Depth=1
	s_clause 0x1
	s_load_b128 s[8:11], s[0:1], 0x1c
	s_load_b64 s[6:7], s[0:1], 0x2c
	s_add_co_i32 s4, s4, -2
	s_delay_alu instid0(SALU_CYCLE_1) | instskip(SKIP_2) | instid1(VALU_DEP_1)
	s_cmp_lg_u32 s4, 0
	s_wait_kmcnt 0x0
	v_mul_hi_u32 v7, s9, v5
	v_add_nc_u32_e32 v7, v5, v7
	s_delay_alu instid0(VALU_DEP_1) | instskip(NEXT) | instid1(VALU_DEP_1)
	v_lshrrev_b32_e32 v7, s10, v7
	v_mul_hi_u32 v8, s6, v7
	v_mul_lo_u32 v9, v7, s8
	s_clause 0x1
	s_load_b128 s[16:19], s[0:1], 0xdc
	s_load_b64 s[8:9], s[0:1], 0xec
	s_wait_xcnt 0x0
	s_add_nc_u64 s[0:1], s[0:1], 24
	s_delay_alu instid0(VALU_DEP_1) | instskip(NEXT) | instid1(VALU_DEP_1)
	v_dual_add_nc_u32 v8, v7, v8 :: v_dual_sub_nc_u32 v9, v5, v9
	v_lshrrev_b32_e32 v5, s7, v8
	s_wait_kmcnt 0x0
	s_delay_alu instid0(VALU_DEP_2) | instskip(NEXT) | instid1(VALU_DEP_2)
	v_mad_u32 v1, v9, s16, v1
	v_mul_lo_u32 v8, v5, s11
	v_mad_u32 v3, v9, s18, v3
	v_mad_u32 v4, v9, s17, v4
	s_delay_alu instid0(VALU_DEP_3) | instskip(NEXT) | instid1(VALU_DEP_1)
	v_sub_nc_u32_e32 v7, v7, v8
	v_mad_u32 v1, v7, s19, v1
	s_delay_alu instid0(VALU_DEP_4) | instskip(NEXT) | instid1(VALU_DEP_4)
	v_mad_u32 v3, v7, s9, v3
	v_mad_u32 v4, v7, s8, v4
	s_cbranch_scc1 .LBB39_58
; %bb.59:
	s_bitcmp1_b32 s3, 0
	s_cselect_b32 s3, -1, 0
	s_delay_alu instid0(SALU_CYCLE_1)
	s_and_b32 vcc_lo, exec_lo, s3
	s_cbranch_vccnz .LBB39_63
; %bb.60:
	s_clause 0x1
	s_load_b96 s[4:6], s[0:1], 0x1c
	s_load_b96 s[8:10], s[0:1], 0xdc
	s_wait_kmcnt 0x0
	v_mul_hi_u32 v7, s5, v5
	s_delay_alu instid0(VALU_DEP_1) | instskip(NEXT) | instid1(VALU_DEP_1)
	v_add_nc_u32_e32 v7, v5, v7
	v_lshrrev_b32_e32 v7, s6, v7
	s_delay_alu instid0(VALU_DEP_1) | instskip(NEXT) | instid1(VALU_DEP_1)
	v_mul_lo_u32 v7, v7, s4
	v_sub_nc_u32_e32 v5, v5, v7
	s_delay_alu instid0(VALU_DEP_1)
	v_mad_u32 v1, v5, s8, v1
	v_mad_u32 v4, v5, s9, v4
	;; [unrolled: 1-line block ×3, first 2 shown]
	s_and_not1_b32 vcc_lo, exec_lo, s2
	s_cbranch_vccz .LBB39_64
	s_branch .LBB39_67
.LBB39_61:
	s_endpgm
.LBB39_62:
	s_mov_b32 s2, -1
                                        ; implicit-def: $vgpr3
                                        ; implicit-def: $vgpr4
                                        ; implicit-def: $vgpr1
.LBB39_63:
	s_delay_alu instid0(SALU_CYCLE_1)
	s_and_not1_b32 vcc_lo, exec_lo, s2
	s_cbranch_vccnz .LBB39_67
.LBB39_64:
	s_clause 0x1
	s_load_b96 s[0:2], s[12:13], 0x4
	s_load_b96 s[4:6], s[12:13], 0xc4
	s_cmp_lt_u32 s26, 2
	s_wait_kmcnt 0x0
	v_mul_hi_u32 v1, s1, v0
	s_delay_alu instid0(VALU_DEP_1) | instskip(NEXT) | instid1(VALU_DEP_1)
	v_add_nc_u32_e32 v1, v0, v1
	v_lshrrev_b32_e32 v5, s2, v1
	s_delay_alu instid0(VALU_DEP_1) | instskip(NEXT) | instid1(VALU_DEP_1)
	v_mul_lo_u32 v1, v5, s0
	v_sub_nc_u32_e32 v4, v0, v1
	s_delay_alu instid0(VALU_DEP_1)
	v_mul_lo_u32 v1, v4, s4
	v_mul_lo_u32 v3, v4, s6
	;; [unrolled: 1-line block ×3, first 2 shown]
	s_cbranch_scc1 .LBB39_67
; %bb.65:
	s_clause 0x1
	s_load_b96 s[0:2], s[12:13], 0x10
	s_load_b96 s[4:6], s[12:13], 0xd0
	s_wait_kmcnt 0x0
	v_mul_hi_u32 v7, s1, v5
	s_delay_alu instid0(VALU_DEP_1) | instskip(NEXT) | instid1(VALU_DEP_1)
	v_add_nc_u32_e32 v7, v5, v7
	v_lshrrev_b32_e32 v7, s2, v7
	s_delay_alu instid0(VALU_DEP_1) | instskip(NEXT) | instid1(VALU_DEP_1)
	v_mul_lo_u32 v7, v7, s0
	v_sub_nc_u32_e32 v5, v5, v7
	s_delay_alu instid0(VALU_DEP_1)
	v_mad_u32 v1, v5, s4, v1
	v_mad_u32 v4, v5, s5, v4
	;; [unrolled: 1-line block ×3, first 2 shown]
	s_branch .LBB39_67
.LBB39_66:
	v_dual_mov_b32 v3, 0 :: v_dual_mov_b32 v4, 0
	v_mov_b32_e32 v1, 0
	s_and_not1_b32 vcc_lo, exec_lo, s2
	s_cbranch_vccz .LBB39_64
.LBB39_67:
	v_cmp_ne_u32_e32 vcc_lo, 1, v6
	v_add_nc_u32_e32 v9, 0x80, v0
	s_cbranch_vccnz .LBB39_73
; %bb.68:
	s_cmp_lg_u32 s26, 0
	s_mov_b32 s2, 0
	s_cbranch_scc0 .LBB39_77
; %bb.69:
	s_min_u32 s3, s27, 15
	v_dual_mov_b32 v5, 0 :: v_dual_mov_b32 v10, v9
	v_dual_mov_b32 v8, 0 :: v_dual_mov_b32 v7, 0
	s_add_co_i32 s4, s3, 1
	s_mov_b64 s[0:1], 0xffffffffffffffe8
	s_and_b32 s4, s4, 30
	s_add_nc_u64 s[0:1], s[12:13], s[0:1]
.LBB39_70:                              ; =>This Inner Loop Header: Depth=1
	s_clause 0x1
	s_load_b128 s[8:11], s[0:1], 0x1c
	s_load_b64 s[6:7], s[0:1], 0x2c
	s_add_co_i32 s4, s4, -2
	s_delay_alu instid0(SALU_CYCLE_1) | instskip(SKIP_2) | instid1(VALU_DEP_1)
	s_cmp_lg_u32 s4, 0
	s_wait_kmcnt 0x0
	v_mul_hi_u32 v11, s9, v10
	v_add_nc_u32_e32 v11, v10, v11
	s_delay_alu instid0(VALU_DEP_1) | instskip(NEXT) | instid1(VALU_DEP_1)
	v_lshrrev_b32_e32 v11, s10, v11
	v_mul_hi_u32 v12, s6, v11
	v_mul_lo_u32 v13, v11, s8
	s_clause 0x1
	s_load_b128 s[16:19], s[0:1], 0xdc
	s_load_b64 s[8:9], s[0:1], 0xec
	s_wait_xcnt 0x0
	s_add_nc_u64 s[0:1], s[0:1], 24
	s_delay_alu instid0(VALU_DEP_1) | instskip(NEXT) | instid1(VALU_DEP_1)
	v_dual_add_nc_u32 v12, v11, v12 :: v_dual_sub_nc_u32 v13, v10, v13
	v_lshrrev_b32_e32 v10, s7, v12
	s_wait_kmcnt 0x0
	s_delay_alu instid0(VALU_DEP_2) | instskip(NEXT) | instid1(VALU_DEP_2)
	v_mad_u32 v5, v13, s16, v5
	v_mul_lo_u32 v12, v10, s11
	v_mad_u32 v7, v13, s18, v7
	v_mad_u32 v8, v13, s17, v8
	s_delay_alu instid0(VALU_DEP_3) | instskip(NEXT) | instid1(VALU_DEP_1)
	v_sub_nc_u32_e32 v11, v11, v12
	v_mad_u32 v5, v11, s19, v5
	s_delay_alu instid0(VALU_DEP_4) | instskip(NEXT) | instid1(VALU_DEP_4)
	v_mad_u32 v7, v11, s9, v7
	v_mad_u32 v8, v11, s8, v8
	s_cbranch_scc1 .LBB39_70
; %bb.71:
	s_bitcmp1_b32 s3, 0
	s_cselect_b32 s3, -1, 0
	s_delay_alu instid0(SALU_CYCLE_1)
	s_and_b32 vcc_lo, exec_lo, s3
	s_cbranch_vccnz .LBB39_74
; %bb.72:
	s_clause 0x1
	s_load_b96 s[4:6], s[0:1], 0x1c
	s_load_b96 s[8:10], s[0:1], 0xdc
	s_wait_kmcnt 0x0
	v_mul_hi_u32 v11, s5, v10
	s_delay_alu instid0(VALU_DEP_1) | instskip(NEXT) | instid1(VALU_DEP_1)
	v_add_nc_u32_e32 v11, v10, v11
	v_lshrrev_b32_e32 v11, s6, v11
	s_delay_alu instid0(VALU_DEP_1) | instskip(NEXT) | instid1(VALU_DEP_1)
	v_mul_lo_u32 v11, v11, s4
	v_sub_nc_u32_e32 v10, v10, v11
	s_delay_alu instid0(VALU_DEP_1)
	v_mad_u32 v5, v10, s8, v5
	v_mad_u32 v8, v10, s9, v8
	;; [unrolled: 1-line block ×3, first 2 shown]
	s_and_not1_b32 vcc_lo, exec_lo, s2
	s_cbranch_vccz .LBB39_75
	s_branch .LBB39_78
.LBB39_73:
	s_mov_b32 s2, -1
                                        ; implicit-def: $vgpr7
                                        ; implicit-def: $vgpr8
                                        ; implicit-def: $vgpr5
.LBB39_74:
	s_delay_alu instid0(SALU_CYCLE_1)
	s_and_not1_b32 vcc_lo, exec_lo, s2
	s_cbranch_vccnz .LBB39_78
.LBB39_75:
	s_clause 0x1
	s_load_b96 s[0:2], s[12:13], 0x4
	s_load_b96 s[4:6], s[12:13], 0xc4
	s_cmp_lt_u32 s26, 2
	s_wait_kmcnt 0x0
	v_mul_hi_u32 v5, s1, v9
	s_delay_alu instid0(VALU_DEP_1) | instskip(NEXT) | instid1(VALU_DEP_1)
	v_add_nc_u32_e32 v5, v9, v5
	v_lshrrev_b32_e32 v10, s2, v5
	s_delay_alu instid0(VALU_DEP_1) | instskip(NEXT) | instid1(VALU_DEP_1)
	v_mul_lo_u32 v5, v10, s0
	v_sub_nc_u32_e32 v8, v9, v5
	s_delay_alu instid0(VALU_DEP_1)
	v_mul_lo_u32 v5, v8, s4
	v_mul_lo_u32 v7, v8, s6
	;; [unrolled: 1-line block ×3, first 2 shown]
	s_cbranch_scc1 .LBB39_78
; %bb.76:
	s_clause 0x1
	s_load_b96 s[0:2], s[12:13], 0x10
	s_load_b96 s[4:6], s[12:13], 0xd0
	s_wait_kmcnt 0x0
	v_mul_hi_u32 v9, s1, v10
	s_delay_alu instid0(VALU_DEP_1) | instskip(NEXT) | instid1(VALU_DEP_1)
	v_add_nc_u32_e32 v9, v10, v9
	v_lshrrev_b32_e32 v9, s2, v9
	s_delay_alu instid0(VALU_DEP_1) | instskip(NEXT) | instid1(VALU_DEP_1)
	v_mul_lo_u32 v9, v9, s0
	v_sub_nc_u32_e32 v9, v10, v9
	s_delay_alu instid0(VALU_DEP_1)
	v_mad_u32 v5, v9, s4, v5
	v_mad_u32 v8, v9, s5, v8
	;; [unrolled: 1-line block ×3, first 2 shown]
	s_branch .LBB39_78
.LBB39_77:
	v_dual_mov_b32 v7, 0 :: v_dual_mov_b32 v8, 0
	v_mov_b32_e32 v5, 0
	s_and_not1_b32 vcc_lo, exec_lo, s2
	s_cbranch_vccz .LBB39_75
.LBB39_78:
	v_cmp_ne_u32_e32 vcc_lo, 1, v6
	v_add_nc_u32_e32 v11, 0x100, v0
	s_cbranch_vccnz .LBB39_84
; %bb.79:
	s_cmp_lg_u32 s26, 0
	s_mov_b32 s2, 0
	s_cbranch_scc0 .LBB39_88
; %bb.80:
	s_min_u32 s3, s27, 15
	v_dual_mov_b32 v0, 0 :: v_dual_mov_b32 v12, v11
	v_dual_mov_b32 v9, 0 :: v_dual_mov_b32 v10, 0
	s_add_co_i32 s4, s3, 1
	s_mov_b64 s[0:1], 0xffffffffffffffe8
	s_and_b32 s4, s4, 30
	s_add_nc_u64 s[0:1], s[12:13], s[0:1]
.LBB39_81:                              ; =>This Inner Loop Header: Depth=1
	s_clause 0x1
	s_load_b128 s[8:11], s[0:1], 0x1c
	s_load_b64 s[6:7], s[0:1], 0x2c
	s_add_co_i32 s4, s4, -2
	s_delay_alu instid0(SALU_CYCLE_1) | instskip(SKIP_2) | instid1(VALU_DEP_1)
	s_cmp_lg_u32 s4, 0
	s_wait_kmcnt 0x0
	v_mul_hi_u32 v13, s9, v12
	v_add_nc_u32_e32 v13, v12, v13
	s_delay_alu instid0(VALU_DEP_1) | instskip(NEXT) | instid1(VALU_DEP_1)
	v_lshrrev_b32_e32 v13, s10, v13
	v_mul_hi_u32 v14, s6, v13
	v_mul_lo_u32 v15, v13, s8
	s_clause 0x1
	s_load_b128 s[16:19], s[0:1], 0xdc
	s_load_b64 s[8:9], s[0:1], 0xec
	s_wait_xcnt 0x0
	s_add_nc_u64 s[0:1], s[0:1], 24
	s_delay_alu instid0(VALU_DEP_1) | instskip(NEXT) | instid1(VALU_DEP_1)
	v_dual_add_nc_u32 v14, v13, v14 :: v_dual_sub_nc_u32 v15, v12, v15
	v_lshrrev_b32_e32 v12, s7, v14
	s_wait_kmcnt 0x0
	s_delay_alu instid0(VALU_DEP_2) | instskip(NEXT) | instid1(VALU_DEP_2)
	v_mad_u32 v0, v15, s16, v0
	v_mul_lo_u32 v14, v12, s11
	v_mad_u32 v10, v15, s18, v10
	v_mad_u32 v9, v15, s17, v9
	s_delay_alu instid0(VALU_DEP_3) | instskip(NEXT) | instid1(VALU_DEP_1)
	v_sub_nc_u32_e32 v13, v13, v14
	v_mad_u32 v0, v13, s19, v0
	s_delay_alu instid0(VALU_DEP_4) | instskip(NEXT) | instid1(VALU_DEP_4)
	v_mad_u32 v10, v13, s9, v10
	v_mad_u32 v9, v13, s8, v9
	s_cbranch_scc1 .LBB39_81
; %bb.82:
	s_bitcmp1_b32 s3, 0
	s_cselect_b32 s3, -1, 0
	s_delay_alu instid0(SALU_CYCLE_1)
	s_and_b32 vcc_lo, exec_lo, s3
	s_cbranch_vccnz .LBB39_85
; %bb.83:
	s_clause 0x1
	s_load_b96 s[4:6], s[0:1], 0x1c
	s_load_b96 s[8:10], s[0:1], 0xdc
	s_wait_kmcnt 0x0
	v_mul_hi_u32 v13, s5, v12
	s_delay_alu instid0(VALU_DEP_1) | instskip(NEXT) | instid1(VALU_DEP_1)
	v_add_nc_u32_e32 v13, v12, v13
	v_lshrrev_b32_e32 v13, s6, v13
	s_delay_alu instid0(VALU_DEP_1) | instskip(NEXT) | instid1(VALU_DEP_1)
	v_mul_lo_u32 v13, v13, s4
	v_sub_nc_u32_e32 v12, v12, v13
	s_delay_alu instid0(VALU_DEP_1)
	v_mad_u32 v0, v12, s8, v0
	v_mad_u32 v9, v12, s9, v9
	;; [unrolled: 1-line block ×3, first 2 shown]
	s_and_not1_b32 vcc_lo, exec_lo, s2
	s_cbranch_vccz .LBB39_86
	s_branch .LBB39_89
.LBB39_84:
	s_mov_b32 s2, -1
                                        ; implicit-def: $vgpr10
                                        ; implicit-def: $vgpr9
                                        ; implicit-def: $vgpr0
.LBB39_85:
	s_delay_alu instid0(SALU_CYCLE_1)
	s_and_not1_b32 vcc_lo, exec_lo, s2
	s_cbranch_vccnz .LBB39_89
.LBB39_86:
	s_clause 0x1
	s_load_b96 s[0:2], s[12:13], 0x4
	s_load_b96 s[4:6], s[12:13], 0xc4
	s_cmp_lt_u32 s26, 2
	s_wait_kmcnt 0x0
	v_mul_hi_u32 v0, s1, v11
	s_delay_alu instid0(VALU_DEP_1) | instskip(NEXT) | instid1(VALU_DEP_1)
	v_add_nc_u32_e32 v0, v11, v0
	v_lshrrev_b32_e32 v12, s2, v0
	s_delay_alu instid0(VALU_DEP_1) | instskip(NEXT) | instid1(VALU_DEP_1)
	v_mul_lo_u32 v0, v12, s0
	v_sub_nc_u32_e32 v9, v11, v0
	s_delay_alu instid0(VALU_DEP_1)
	v_mul_lo_u32 v0, v9, s4
	v_mul_lo_u32 v10, v9, s6
	;; [unrolled: 1-line block ×3, first 2 shown]
	s_cbranch_scc1 .LBB39_89
; %bb.87:
	s_clause 0x1
	s_load_b96 s[0:2], s[12:13], 0x10
	s_load_b96 s[4:6], s[12:13], 0xd0
	s_wait_kmcnt 0x0
	v_mul_hi_u32 v11, s1, v12
	s_delay_alu instid0(VALU_DEP_1) | instskip(NEXT) | instid1(VALU_DEP_1)
	v_add_nc_u32_e32 v11, v12, v11
	v_lshrrev_b32_e32 v11, s2, v11
	s_delay_alu instid0(VALU_DEP_1) | instskip(NEXT) | instid1(VALU_DEP_1)
	v_mul_lo_u32 v11, v11, s0
	v_sub_nc_u32_e32 v11, v12, v11
	s_delay_alu instid0(VALU_DEP_1)
	v_mad_u32 v0, v11, s4, v0
	v_mad_u32 v9, v11, s5, v9
	;; [unrolled: 1-line block ×3, first 2 shown]
	s_branch .LBB39_89
.LBB39_88:
	v_dual_mov_b32 v10, 0 :: v_dual_mov_b32 v9, 0
	v_mov_b32_e32 v0, 0
	s_and_not1_b32 vcc_lo, exec_lo, s2
	s_cbranch_vccz .LBB39_86
.LBB39_89:
	v_cmp_ne_u32_e32 vcc_lo, 1, v6
	s_cbranch_vccnz .LBB39_95
; %bb.90:
	s_cmp_lg_u32 s26, 0
	s_mov_b32 s2, 0
	s_cbranch_scc0 .LBB39_99
; %bb.91:
	s_min_u32 s3, s27, 15
	v_dual_mov_b32 v6, 0 :: v_dual_mov_b32 v13, v2
	v_dual_mov_b32 v11, 0 :: v_dual_mov_b32 v12, 0
	s_add_co_i32 s4, s3, 1
	s_mov_b64 s[0:1], 0xffffffffffffffe8
	s_and_b32 s4, s4, 30
	s_add_nc_u64 s[0:1], s[12:13], s[0:1]
.LBB39_92:                              ; =>This Inner Loop Header: Depth=1
	s_clause 0x1
	s_load_b128 s[8:11], s[0:1], 0x1c
	s_load_b64 s[6:7], s[0:1], 0x2c
	s_add_co_i32 s4, s4, -2
	s_delay_alu instid0(SALU_CYCLE_1) | instskip(SKIP_2) | instid1(VALU_DEP_1)
	s_cmp_lg_u32 s4, 0
	s_wait_kmcnt 0x0
	v_mul_hi_u32 v14, s9, v13
	v_add_nc_u32_e32 v14, v13, v14
	s_delay_alu instid0(VALU_DEP_1) | instskip(NEXT) | instid1(VALU_DEP_1)
	v_lshrrev_b32_e32 v14, s10, v14
	v_mul_hi_u32 v15, s6, v14
	v_mul_lo_u32 v16, v14, s8
	s_clause 0x1
	s_load_b128 s[16:19], s[0:1], 0xdc
	s_load_b64 s[8:9], s[0:1], 0xec
	s_wait_xcnt 0x0
	s_add_nc_u64 s[0:1], s[0:1], 24
	s_delay_alu instid0(VALU_DEP_1) | instskip(NEXT) | instid1(VALU_DEP_1)
	v_dual_add_nc_u32 v15, v14, v15 :: v_dual_sub_nc_u32 v16, v13, v16
	v_lshrrev_b32_e32 v13, s7, v15
	s_wait_kmcnt 0x0
	s_delay_alu instid0(VALU_DEP_2) | instskip(NEXT) | instid1(VALU_DEP_2)
	v_mad_u32 v6, v16, s16, v6
	v_mul_lo_u32 v15, v13, s11
	v_mad_u32 v12, v16, s18, v12
	v_mad_u32 v11, v16, s17, v11
	s_delay_alu instid0(VALU_DEP_3) | instskip(NEXT) | instid1(VALU_DEP_1)
	v_sub_nc_u32_e32 v14, v14, v15
	v_mad_u32 v6, v14, s19, v6
	s_delay_alu instid0(VALU_DEP_4) | instskip(NEXT) | instid1(VALU_DEP_4)
	v_mad_u32 v12, v14, s9, v12
	v_mad_u32 v11, v14, s8, v11
	s_cbranch_scc1 .LBB39_92
; %bb.93:
	s_bitcmp1_b32 s3, 0
	s_cselect_b32 s3, -1, 0
	s_delay_alu instid0(SALU_CYCLE_1)
	s_and_b32 vcc_lo, exec_lo, s3
	s_cbranch_vccnz .LBB39_96
; %bb.94:
	s_clause 0x1
	s_load_b96 s[4:6], s[0:1], 0x1c
	s_load_b96 s[8:10], s[0:1], 0xdc
	s_wait_kmcnt 0x0
	v_mul_hi_u32 v14, s5, v13
	s_delay_alu instid0(VALU_DEP_1) | instskip(NEXT) | instid1(VALU_DEP_1)
	v_add_nc_u32_e32 v14, v13, v14
	v_lshrrev_b32_e32 v14, s6, v14
	s_delay_alu instid0(VALU_DEP_1) | instskip(NEXT) | instid1(VALU_DEP_1)
	v_mul_lo_u32 v14, v14, s4
	v_sub_nc_u32_e32 v13, v13, v14
	s_delay_alu instid0(VALU_DEP_1)
	v_mad_u32 v6, v13, s8, v6
	v_mad_u32 v11, v13, s9, v11
	;; [unrolled: 1-line block ×3, first 2 shown]
	s_and_not1_b32 vcc_lo, exec_lo, s2
	s_cbranch_vccz .LBB39_97
	s_branch .LBB39_100
.LBB39_95:
	s_mov_b32 s2, -1
                                        ; implicit-def: $vgpr12
                                        ; implicit-def: $vgpr11
                                        ; implicit-def: $vgpr6
.LBB39_96:
	s_delay_alu instid0(SALU_CYCLE_1)
	s_and_not1_b32 vcc_lo, exec_lo, s2
	s_cbranch_vccnz .LBB39_100
.LBB39_97:
	s_clause 0x1
	s_load_b96 s[0:2], s[12:13], 0x4
	s_load_b96 s[4:6], s[12:13], 0xc4
	s_cmp_lt_u32 s26, 2
	s_wait_kmcnt 0x0
	v_mul_hi_u32 v6, s1, v2
	s_delay_alu instid0(VALU_DEP_1) | instskip(NEXT) | instid1(VALU_DEP_1)
	v_add_nc_u32_e32 v6, v2, v6
	v_lshrrev_b32_e32 v13, s2, v6
	s_delay_alu instid0(VALU_DEP_1) | instskip(NEXT) | instid1(VALU_DEP_1)
	v_mul_lo_u32 v6, v13, s0
	v_sub_nc_u32_e32 v2, v2, v6
	s_delay_alu instid0(VALU_DEP_1)
	v_mul_lo_u32 v6, v2, s4
	v_mul_lo_u32 v12, v2, s6
	;; [unrolled: 1-line block ×3, first 2 shown]
	s_cbranch_scc1 .LBB39_100
; %bb.98:
	s_clause 0x1
	s_load_b96 s[0:2], s[12:13], 0x10
	s_load_b96 s[4:6], s[12:13], 0xd0
	s_wait_kmcnt 0x0
	v_mul_hi_u32 v2, s1, v13
	s_delay_alu instid0(VALU_DEP_1) | instskip(NEXT) | instid1(VALU_DEP_1)
	v_add_nc_u32_e32 v2, v13, v2
	v_lshrrev_b32_e32 v2, s2, v2
	s_delay_alu instid0(VALU_DEP_1) | instskip(NEXT) | instid1(VALU_DEP_1)
	v_mul_lo_u32 v2, v2, s0
	v_sub_nc_u32_e32 v2, v13, v2
	s_delay_alu instid0(VALU_DEP_1)
	v_mad_u32 v6, v2, s4, v6
	v_mad_u32 v11, v2, s5, v11
	;; [unrolled: 1-line block ×3, first 2 shown]
	s_branch .LBB39_100
.LBB39_99:
	v_dual_mov_b32 v12, 0 :: v_dual_mov_b32 v11, 0
	v_mov_b32_e32 v6, 0
	s_and_not1_b32 vcc_lo, exec_lo, s2
	s_cbranch_vccz .LBB39_97
.LBB39_100:
	s_clause 0x1
	s_load_b128 s[0:3], s[12:13], 0x188
	s_load_b64 s[4:5], s[12:13], 0x198
	s_wait_kmcnt 0x0
	global_load_u16 v2, v4, s[2:3]
	global_load_b32 v13, v3, s[4:5]
	global_load_u16 v14, v8, s[2:3]
	global_load_b32 v15, v7, s[4:5]
	;; [unrolled: 2-line block ×4, first 2 shown]
	s_wait_loadcnt 0x7
	v_cmp_lt_f16_e32 vcc_lo, 0, v2
	s_wait_loadcnt 0x6
	s_wait_xcnt 0x6
	v_fma_mixlo_f16 v3, v13, v2, 0 op_sel_hi:[0,1,0]
	s_wait_loadcnt 0x4
	v_fma_mixlo_f16 v4, v15, v14, 0 op_sel_hi:[0,1,0]
	s_wait_loadcnt 0x2
	s_wait_xcnt 0x4
	v_fma_mixlo_f16 v7, v17, v16, 0 op_sel_hi:[0,1,0]
	v_cndmask_b32_e32 v2, v3, v2, vcc_lo
	v_cmp_lt_f16_e32 vcc_lo, 0, v14
	s_wait_loadcnt 0x0
	v_fma_mixlo_f16 v8, v19, v18, 0 op_sel_hi:[0,1,0]
	v_cndmask_b32_e32 v3, v4, v14, vcc_lo
	v_cmp_lt_f16_e32 vcc_lo, 0, v16
	v_cndmask_b32_e32 v4, v7, v16, vcc_lo
	v_cmp_lt_f16_e32 vcc_lo, 0, v18
	v_cndmask_b32_e32 v7, v8, v18, vcc_lo
	s_clause 0x3
	global_store_b16 v1, v2, s[0:1]
	global_store_b16 v5, v3, s[0:1]
	;; [unrolled: 1-line block ×4, first 2 shown]
	s_endpgm
	.section	.rodata,"a",@progbits
	.p2align	6, 0x0
	.amdhsa_kernel _ZN2at6native32elementwise_kernel_manual_unrollILi128ELi4EZNS0_12_GLOBAL__N_142type_specialized_broadcast_kernel_launcherILi5EE5applyIZZZNS0_12prelu_kernelERNS_14TensorIteratorEENKUlvE_clEvENKUlvE0_clEvEUlffE_St5arrayIPcLm3EESB_IN3c1010ScalarTypeELm3EE16OffsetCalculatorILi3EjLb0EEEEvlT_T0_T1_T2_EUlibE_EEviSL_
		.amdhsa_group_segment_fixed_size 0
		.amdhsa_private_segment_fixed_size 0
		.amdhsa_kernarg_size 432
		.amdhsa_user_sgpr_count 2
		.amdhsa_user_sgpr_dispatch_ptr 0
		.amdhsa_user_sgpr_queue_ptr 0
		.amdhsa_user_sgpr_kernarg_segment_ptr 1
		.amdhsa_user_sgpr_dispatch_id 0
		.amdhsa_user_sgpr_kernarg_preload_length 0
		.amdhsa_user_sgpr_kernarg_preload_offset 0
		.amdhsa_user_sgpr_private_segment_size 0
		.amdhsa_wavefront_size32 1
		.amdhsa_uses_dynamic_stack 0
		.amdhsa_enable_private_segment 0
		.amdhsa_system_sgpr_workgroup_id_x 1
		.amdhsa_system_sgpr_workgroup_id_y 0
		.amdhsa_system_sgpr_workgroup_id_z 0
		.amdhsa_system_sgpr_workgroup_info 0
		.amdhsa_system_vgpr_workitem_id 0
		.amdhsa_next_free_vgpr 20
		.amdhsa_next_free_sgpr 46
		.amdhsa_named_barrier_count 0
		.amdhsa_reserve_vcc 1
		.amdhsa_float_round_mode_32 0
		.amdhsa_float_round_mode_16_64 0
		.amdhsa_float_denorm_mode_32 3
		.amdhsa_float_denorm_mode_16_64 3
		.amdhsa_fp16_overflow 0
		.amdhsa_memory_ordered 1
		.amdhsa_forward_progress 1
		.amdhsa_inst_pref_size 43
		.amdhsa_round_robin_scheduling 0
		.amdhsa_exception_fp_ieee_invalid_op 0
		.amdhsa_exception_fp_denorm_src 0
		.amdhsa_exception_fp_ieee_div_zero 0
		.amdhsa_exception_fp_ieee_overflow 0
		.amdhsa_exception_fp_ieee_underflow 0
		.amdhsa_exception_fp_ieee_inexact 0
		.amdhsa_exception_int_div_zero 0
	.end_amdhsa_kernel
	.section	.text._ZN2at6native32elementwise_kernel_manual_unrollILi128ELi4EZNS0_12_GLOBAL__N_142type_specialized_broadcast_kernel_launcherILi5EE5applyIZZZNS0_12prelu_kernelERNS_14TensorIteratorEENKUlvE_clEvENKUlvE0_clEvEUlffE_St5arrayIPcLm3EESB_IN3c1010ScalarTypeELm3EE16OffsetCalculatorILi3EjLb0EEEEvlT_T0_T1_T2_EUlibE_EEviSL_,"axG",@progbits,_ZN2at6native32elementwise_kernel_manual_unrollILi128ELi4EZNS0_12_GLOBAL__N_142type_specialized_broadcast_kernel_launcherILi5EE5applyIZZZNS0_12prelu_kernelERNS_14TensorIteratorEENKUlvE_clEvENKUlvE0_clEvEUlffE_St5arrayIPcLm3EESB_IN3c1010ScalarTypeELm3EE16OffsetCalculatorILi3EjLb0EEEEvlT_T0_T1_T2_EUlibE_EEviSL_,comdat
.Lfunc_end39:
	.size	_ZN2at6native32elementwise_kernel_manual_unrollILi128ELi4EZNS0_12_GLOBAL__N_142type_specialized_broadcast_kernel_launcherILi5EE5applyIZZZNS0_12prelu_kernelERNS_14TensorIteratorEENKUlvE_clEvENKUlvE0_clEvEUlffE_St5arrayIPcLm3EESB_IN3c1010ScalarTypeELm3EE16OffsetCalculatorILi3EjLb0EEEEvlT_T0_T1_T2_EUlibE_EEviSL_, .Lfunc_end39-_ZN2at6native32elementwise_kernel_manual_unrollILi128ELi4EZNS0_12_GLOBAL__N_142type_specialized_broadcast_kernel_launcherILi5EE5applyIZZZNS0_12prelu_kernelERNS_14TensorIteratorEENKUlvE_clEvENKUlvE0_clEvEUlffE_St5arrayIPcLm3EESB_IN3c1010ScalarTypeELm3EE16OffsetCalculatorILi3EjLb0EEEEvlT_T0_T1_T2_EUlibE_EEviSL_
                                        ; -- End function
	.set _ZN2at6native32elementwise_kernel_manual_unrollILi128ELi4EZNS0_12_GLOBAL__N_142type_specialized_broadcast_kernel_launcherILi5EE5applyIZZZNS0_12prelu_kernelERNS_14TensorIteratorEENKUlvE_clEvENKUlvE0_clEvEUlffE_St5arrayIPcLm3EESB_IN3c1010ScalarTypeELm3EE16OffsetCalculatorILi3EjLb0EEEEvlT_T0_T1_T2_EUlibE_EEviSL_.num_vgpr, 20
	.set _ZN2at6native32elementwise_kernel_manual_unrollILi128ELi4EZNS0_12_GLOBAL__N_142type_specialized_broadcast_kernel_launcherILi5EE5applyIZZZNS0_12prelu_kernelERNS_14TensorIteratorEENKUlvE_clEvENKUlvE0_clEvEUlffE_St5arrayIPcLm3EESB_IN3c1010ScalarTypeELm3EE16OffsetCalculatorILi3EjLb0EEEEvlT_T0_T1_T2_EUlibE_EEviSL_.num_agpr, 0
	.set _ZN2at6native32elementwise_kernel_manual_unrollILi128ELi4EZNS0_12_GLOBAL__N_142type_specialized_broadcast_kernel_launcherILi5EE5applyIZZZNS0_12prelu_kernelERNS_14TensorIteratorEENKUlvE_clEvENKUlvE0_clEvEUlffE_St5arrayIPcLm3EESB_IN3c1010ScalarTypeELm3EE16OffsetCalculatorILi3EjLb0EEEEvlT_T0_T1_T2_EUlibE_EEviSL_.numbered_sgpr, 46
	.set _ZN2at6native32elementwise_kernel_manual_unrollILi128ELi4EZNS0_12_GLOBAL__N_142type_specialized_broadcast_kernel_launcherILi5EE5applyIZZZNS0_12prelu_kernelERNS_14TensorIteratorEENKUlvE_clEvENKUlvE0_clEvEUlffE_St5arrayIPcLm3EESB_IN3c1010ScalarTypeELm3EE16OffsetCalculatorILi3EjLb0EEEEvlT_T0_T1_T2_EUlibE_EEviSL_.num_named_barrier, 0
	.set _ZN2at6native32elementwise_kernel_manual_unrollILi128ELi4EZNS0_12_GLOBAL__N_142type_specialized_broadcast_kernel_launcherILi5EE5applyIZZZNS0_12prelu_kernelERNS_14TensorIteratorEENKUlvE_clEvENKUlvE0_clEvEUlffE_St5arrayIPcLm3EESB_IN3c1010ScalarTypeELm3EE16OffsetCalculatorILi3EjLb0EEEEvlT_T0_T1_T2_EUlibE_EEviSL_.private_seg_size, 0
	.set _ZN2at6native32elementwise_kernel_manual_unrollILi128ELi4EZNS0_12_GLOBAL__N_142type_specialized_broadcast_kernel_launcherILi5EE5applyIZZZNS0_12prelu_kernelERNS_14TensorIteratorEENKUlvE_clEvENKUlvE0_clEvEUlffE_St5arrayIPcLm3EESB_IN3c1010ScalarTypeELm3EE16OffsetCalculatorILi3EjLb0EEEEvlT_T0_T1_T2_EUlibE_EEviSL_.uses_vcc, 1
	.set _ZN2at6native32elementwise_kernel_manual_unrollILi128ELi4EZNS0_12_GLOBAL__N_142type_specialized_broadcast_kernel_launcherILi5EE5applyIZZZNS0_12prelu_kernelERNS_14TensorIteratorEENKUlvE_clEvENKUlvE0_clEvEUlffE_St5arrayIPcLm3EESB_IN3c1010ScalarTypeELm3EE16OffsetCalculatorILi3EjLb0EEEEvlT_T0_T1_T2_EUlibE_EEviSL_.uses_flat_scratch, 0
	.set _ZN2at6native32elementwise_kernel_manual_unrollILi128ELi4EZNS0_12_GLOBAL__N_142type_specialized_broadcast_kernel_launcherILi5EE5applyIZZZNS0_12prelu_kernelERNS_14TensorIteratorEENKUlvE_clEvENKUlvE0_clEvEUlffE_St5arrayIPcLm3EESB_IN3c1010ScalarTypeELm3EE16OffsetCalculatorILi3EjLb0EEEEvlT_T0_T1_T2_EUlibE_EEviSL_.has_dyn_sized_stack, 0
	.set _ZN2at6native32elementwise_kernel_manual_unrollILi128ELi4EZNS0_12_GLOBAL__N_142type_specialized_broadcast_kernel_launcherILi5EE5applyIZZZNS0_12prelu_kernelERNS_14TensorIteratorEENKUlvE_clEvENKUlvE0_clEvEUlffE_St5arrayIPcLm3EESB_IN3c1010ScalarTypeELm3EE16OffsetCalculatorILi3EjLb0EEEEvlT_T0_T1_T2_EUlibE_EEviSL_.has_recursion, 0
	.set _ZN2at6native32elementwise_kernel_manual_unrollILi128ELi4EZNS0_12_GLOBAL__N_142type_specialized_broadcast_kernel_launcherILi5EE5applyIZZZNS0_12prelu_kernelERNS_14TensorIteratorEENKUlvE_clEvENKUlvE0_clEvEUlffE_St5arrayIPcLm3EESB_IN3c1010ScalarTypeELm3EE16OffsetCalculatorILi3EjLb0EEEEvlT_T0_T1_T2_EUlibE_EEviSL_.has_indirect_call, 0
	.section	.AMDGPU.csdata,"",@progbits
; Kernel info:
; codeLenInByte = 5476
; TotalNumSgprs: 48
; NumVgprs: 20
; ScratchSize: 0
; MemoryBound: 0
; FloatMode: 240
; IeeeMode: 1
; LDSByteSize: 0 bytes/workgroup (compile time only)
; SGPRBlocks: 0
; VGPRBlocks: 1
; NumSGPRsForWavesPerEU: 48
; NumVGPRsForWavesPerEU: 20
; NamedBarCnt: 0
; Occupancy: 16
; WaveLimiterHint : 1
; COMPUTE_PGM_RSRC2:SCRATCH_EN: 0
; COMPUTE_PGM_RSRC2:USER_SGPR: 2
; COMPUTE_PGM_RSRC2:TRAP_HANDLER: 0
; COMPUTE_PGM_RSRC2:TGID_X_EN: 1
; COMPUTE_PGM_RSRC2:TGID_Y_EN: 0
; COMPUTE_PGM_RSRC2:TGID_Z_EN: 0
; COMPUTE_PGM_RSRC2:TIDIG_COMP_CNT: 0
	.section	.text._ZN2at6native32elementwise_kernel_manual_unrollILi128ELi4EZNS0_15gpu_kernel_implIZZZNS0_12prelu_kernelERNS_14TensorIteratorEENKUlvE_clEvENKUlvE0_clEvEUlffE_EEvRNS_18TensorIteratorBaseERKT_EUlibE0_EEviT1_,"axG",@progbits,_ZN2at6native32elementwise_kernel_manual_unrollILi128ELi4EZNS0_15gpu_kernel_implIZZZNS0_12prelu_kernelERNS_14TensorIteratorEENKUlvE_clEvENKUlvE0_clEvEUlffE_EEvRNS_18TensorIteratorBaseERKT_EUlibE0_EEviT1_,comdat
	.globl	_ZN2at6native32elementwise_kernel_manual_unrollILi128ELi4EZNS0_15gpu_kernel_implIZZZNS0_12prelu_kernelERNS_14TensorIteratorEENKUlvE_clEvENKUlvE0_clEvEUlffE_EEvRNS_18TensorIteratorBaseERKT_EUlibE0_EEviT1_ ; -- Begin function _ZN2at6native32elementwise_kernel_manual_unrollILi128ELi4EZNS0_15gpu_kernel_implIZZZNS0_12prelu_kernelERNS_14TensorIteratorEENKUlvE_clEvENKUlvE0_clEvEUlffE_EEvRNS_18TensorIteratorBaseERKT_EUlibE0_EEviT1_
	.p2align	8
	.type	_ZN2at6native32elementwise_kernel_manual_unrollILi128ELi4EZNS0_15gpu_kernel_implIZZZNS0_12prelu_kernelERNS_14TensorIteratorEENKUlvE_clEvENKUlvE0_clEvEUlffE_EEvRNS_18TensorIteratorBaseERKT_EUlibE0_EEviT1_,@function
_ZN2at6native32elementwise_kernel_manual_unrollILi128ELi4EZNS0_15gpu_kernel_implIZZZNS0_12prelu_kernelERNS_14TensorIteratorEENKUlvE_clEvENKUlvE0_clEvEUlffE_EEvRNS_18TensorIteratorBaseERKT_EUlibE0_EEviT1_: ; @_ZN2at6native32elementwise_kernel_manual_unrollILi128ELi4EZNS0_15gpu_kernel_implIZZZNS0_12prelu_kernelERNS_14TensorIteratorEENKUlvE_clEvENKUlvE0_clEvEUlffE_EEvRNS_18TensorIteratorBaseERKT_EUlibE0_EEviT1_
; %bb.0:
	s_clause 0x1
	s_load_b32 s26, s[0:1], 0x8
	s_load_b32 s36, s[0:1], 0x0
	s_bfe_u32 s2, ttmp6, 0x4000c
	s_and_b32 s3, ttmp6, 15
	s_add_co_i32 s2, s2, 1
	s_getreg_b32 s4, hwreg(HW_REG_IB_STS2, 6, 4)
	s_mul_i32 s2, ttmp9, s2
	s_mov_b32 s28, 0
	s_add_co_i32 s3, s3, s2
	s_cmp_eq_u32 s4, 0
	s_mov_b32 s25, -1
	s_cselect_b32 s2, ttmp9, s3
	s_mov_b32 s8, 0
	v_lshl_or_b32 v0, s2, 9, v0
	s_add_nc_u64 s[2:3], s[0:1], 8
	s_wait_xcnt 0x0
	s_mov_b32 s0, exec_lo
	s_delay_alu instid0(VALU_DEP_1) | instskip(SKIP_2) | instid1(SALU_CYCLE_1)
	v_or_b32_e32 v1, 0x180, v0
	s_wait_kmcnt 0x0
	s_add_co_i32 s27, s26, -1
	s_cmp_gt_u32 s27, 1
	s_cselect_b32 s29, -1, 0
	v_cmpx_le_i32_e64 s36, v1
	s_xor_b32 s30, exec_lo, s0
	s_cbranch_execz .LBB40_1589
; %bb.1:
	v_mov_b32_e32 v1, 0
	s_cmp_lg_u32 s26, 0
	s_mov_b32 s19, 0
	s_cselect_b32 s37, -1, 0
	s_min_u32 s35, s27, 15
	s_clause 0x1
	global_load_u16 v2, v1, s[2:3] offset:417
	global_load_i8 v3, v1, s[2:3] offset:419
	s_clause 0x5
	s_load_b128 s[8:11], s[2:3], 0x4
	s_load_b64 s[0:1], s[2:3], 0x14
	s_load_b128 s[12:15], s[2:3], 0xc4
	s_load_b64 s[20:21], s[2:3], 0xd4
	s_load_b64 s[16:17], s[2:3], 0x198
	s_load_b128 s[4:7], s[2:3], 0x188
	s_cmp_gt_u32 s26, 1
	s_mov_b32 s23, s19
	s_mov_b32 s40, s19
	;; [unrolled: 1-line block ×3, first 2 shown]
	s_cselect_b32 s34, -1, 0
	s_mov_b32 s38, s19
	s_mov_b32 s41, exec_lo
	s_wait_kmcnt 0x0
	s_mov_b32 s18, s9
	s_mov_b32 s22, s0
	s_wait_loadcnt 0x1
	v_readfirstlane_b32 s31, v2
	s_wait_loadcnt 0x0
	v_readfirstlane_b32 s9, v3
	s_lshr_b32 s33, s31, 8
	v_cmpx_gt_i32_e64 s36, v0
	s_cbranch_execz .LBB40_392
; %bb.2:
	s_and_not1_b32 vcc_lo, exec_lo, s29
	s_cbranch_vccnz .LBB40_8
; %bb.3:
	s_and_not1_b32 vcc_lo, exec_lo, s37
	s_cbranch_vccnz .LBB40_9
; %bb.4:
	v_dual_mov_b32 v2, 0 :: v_dual_mov_b32 v1, v0
	v_dual_mov_b32 v6, 0 :: v_dual_mov_b32 v4, 0
	s_add_co_i32 s0, s35, 1
	s_mov_b64 s[24:25], 0xffffffffffffffe8
	s_and_b32 s0, s0, 30
	s_add_nc_u64 s[24:25], s[2:3], s[24:25]
.LBB40_5:                               ; =>This Inner Loop Header: Depth=1
	s_clause 0x3
	s_load_b128 s[44:47], s[24:25], 0x1c
	s_load_b64 s[38:39], s[24:25], 0x2c
	s_load_b128 s[48:51], s[24:25], 0xdc
	s_load_b64 s[42:43], s[24:25], 0xec
	s_add_co_i32 s0, s0, -2
	s_wait_xcnt 0x0
	s_add_nc_u64 s[24:25], s[24:25], 24
	s_cmp_lg_u32 s0, 0
	s_wait_kmcnt 0x0
	v_mul_hi_u32 v3, s45, v1
	s_delay_alu instid0(VALU_DEP_1) | instskip(NEXT) | instid1(VALU_DEP_1)
	v_add_nc_u32_e32 v3, v1, v3
	v_lshrrev_b32_e32 v3, s46, v3
	s_delay_alu instid0(VALU_DEP_1) | instskip(SKIP_1) | instid1(VALU_DEP_1)
	v_mul_hi_u32 v5, s38, v3
	v_mul_lo_u32 v7, v3, s44
	v_dual_add_nc_u32 v5, v3, v5 :: v_dual_sub_nc_u32 v7, v1, v7
	s_delay_alu instid0(VALU_DEP_1) | instskip(NEXT) | instid1(VALU_DEP_2)
	v_lshrrev_b32_e32 v1, s39, v5
	v_mad_u32 v2, v7, s48, v2
	v_mad_u32 v4, v7, s50, v4
	;; [unrolled: 1-line block ×3, first 2 shown]
	s_delay_alu instid0(VALU_DEP_4) | instskip(NEXT) | instid1(VALU_DEP_1)
	v_mul_lo_u32 v5, v1, s47
	v_sub_nc_u32_e32 v3, v3, v5
	s_delay_alu instid0(VALU_DEP_1)
	v_mad_u32 v2, v3, s51, v2
	v_mad_u32 v4, v3, s43, v4
	;; [unrolled: 1-line block ×3, first 2 shown]
	s_cbranch_scc1 .LBB40_5
; %bb.6:
	s_bitcmp1_b32 s35, 0
	s_cselect_b32 s0, -1, 0
	s_delay_alu instid0(SALU_CYCLE_1)
	s_and_b32 vcc_lo, exec_lo, s0
	s_cbranch_vccnz .LBB40_10
; %bb.7:
	s_clause 0x1
	s_load_b96 s[44:46], s[24:25], 0x1c
	s_load_b96 s[48:50], s[24:25], 0xdc
	s_wait_kmcnt 0x0
	v_mul_hi_u32 v3, s45, v1
	s_delay_alu instid0(VALU_DEP_1) | instskip(NEXT) | instid1(VALU_DEP_1)
	v_add_nc_u32_e32 v3, v1, v3
	v_lshrrev_b32_e32 v3, s46, v3
	s_delay_alu instid0(VALU_DEP_1) | instskip(NEXT) | instid1(VALU_DEP_1)
	v_mul_lo_u32 v3, v3, s44
	v_sub_nc_u32_e32 v1, v1, v3
	s_delay_alu instid0(VALU_DEP_1)
	v_mad_u32 v2, v1, s48, v2
	v_mad_u32 v6, v1, s49, v6
	;; [unrolled: 1-line block ×3, first 2 shown]
	s_cbranch_execz .LBB40_11
	s_branch .LBB40_13
.LBB40_8:
                                        ; implicit-def: $vgpr4
                                        ; implicit-def: $vgpr6
                                        ; implicit-def: $vgpr2
	s_branch .LBB40_11
.LBB40_9:
	v_dual_mov_b32 v4, 0 :: v_dual_mov_b32 v6, 0
	v_mov_b32_e32 v2, 0
.LBB40_10:
	s_cbranch_execnz .LBB40_13
.LBB40_11:
	v_mov_b32_e32 v1, 0
	s_and_not1_b32 vcc_lo, exec_lo, s34
	s_delay_alu instid0(VALU_DEP_1) | instskip(NEXT) | instid1(VALU_DEP_1)
	v_mul_u64_e32 v[2:3], s[18:19], v[0:1]
	v_add_nc_u32_e32 v2, v0, v3
	s_delay_alu instid0(VALU_DEP_1) | instskip(NEXT) | instid1(VALU_DEP_1)
	v_lshrrev_b32_e32 v8, s10, v2
	v_mul_lo_u32 v2, v8, s8
	s_delay_alu instid0(VALU_DEP_1) | instskip(NEXT) | instid1(VALU_DEP_1)
	v_sub_nc_u32_e32 v3, v0, v2
	v_mul_lo_u32 v2, v3, s12
	v_mul_lo_u32 v4, v3, s14
	;; [unrolled: 1-line block ×3, first 2 shown]
	s_cbranch_vccnz .LBB40_13
; %bb.12:
	v_mov_b32_e32 v9, v1
	s_delay_alu instid0(VALU_DEP_1) | instskip(NEXT) | instid1(VALU_DEP_1)
	v_mul_u64_e32 v[10:11], s[22:23], v[8:9]
	v_add_nc_u32_e32 v1, v8, v11
	s_delay_alu instid0(VALU_DEP_1) | instskip(NEXT) | instid1(VALU_DEP_1)
	v_lshrrev_b32_e32 v1, s1, v1
	v_mul_lo_u32 v1, v1, s11
	s_delay_alu instid0(VALU_DEP_1) | instskip(NEXT) | instid1(VALU_DEP_1)
	v_sub_nc_u32_e32 v1, v8, v1
	v_mad_u32 v2, v1, s15, v2
	v_mad_u32 v6, v1, s20, v6
	v_mad_u32 v4, v1, s21, v4
.LBB40_13:
	v_mov_b32_e32 v7, 0
	s_and_b32 s0, s33, 0xff
	s_delay_alu instid0(SALU_CYCLE_1) | instskip(NEXT) | instid1(VALU_DEP_1)
	s_cmp_lt_i32 s0, 11
	v_add_nc_u64_e32 v[6:7], s[6:7], v[6:7]
	s_cbranch_scc1 .LBB40_20
; %bb.14:
	s_and_b32 s25, 0xffff, s0
	s_delay_alu instid0(SALU_CYCLE_1)
	s_cmp_gt_i32 s25, 25
	s_cbranch_scc0 .LBB40_29
; %bb.15:
	s_cmp_gt_i32 s25, 28
	s_cbranch_scc0 .LBB40_78
; %bb.16:
	;; [unrolled: 3-line block ×4, first 2 shown]
	s_cmp_eq_u32 s25, 46
	s_mov_b32 s39, 0
	s_cbranch_scc0 .LBB40_86
; %bb.19:
	global_load_b32 v1, v[6:7], off
	s_mov_b32 s38, -1
	s_mov_b32 s24, 0
	s_wait_loadcnt 0x0
	v_lshlrev_b32_e32 v1, 16, v1
	s_branch .LBB40_88
.LBB40_20:
	s_mov_b32 s24, 0
	s_mov_b32 s38, 0
                                        ; implicit-def: $vgpr1
	s_cbranch_execnz .LBB40_154
.LBB40_21:
	s_and_not1_b32 vcc_lo, exec_lo, s38
	s_cbranch_vccnz .LBB40_201
.LBB40_22:
	v_mov_b32_e32 v5, 0
	s_and_b32 s0, s9, 0xff
	s_delay_alu instid0(SALU_CYCLE_1) | instskip(NEXT) | instid1(VALU_DEP_1)
	s_cmp_lt_i32 s0, 11
	v_add_nc_u64_e32 v[4:5], s[16:17], v[4:5]
	s_cbranch_scc1 .LBB40_30
; %bb.23:
	s_and_b32 s38, 0xffff, s0
	s_delay_alu instid0(SALU_CYCLE_1)
	s_cmp_gt_i32 s38, 25
	s_cbranch_scc0 .LBB40_79
; %bb.24:
	s_cmp_gt_i32 s38, 28
	s_cbranch_scc0 .LBB40_81
; %bb.25:
	;; [unrolled: 3-line block ×4, first 2 shown]
	s_cmp_eq_u32 s38, 46
	s_mov_b32 s40, 0
	s_cbranch_scc0 .LBB40_202
; %bb.28:
	global_load_b32 v3, v[4:5], off
	s_mov_b32 s39, -1
	s_mov_b32 s25, 0
	s_wait_loadcnt 0x0
	v_lshlrev_b32_e32 v6, 16, v3
	s_branch .LBB40_204
.LBB40_29:
	s_mov_b32 s24, 0
	s_mov_b32 s38, 0
                                        ; implicit-def: $vgpr1
	s_cbranch_execnz .LBB40_119
	s_branch .LBB40_153
.LBB40_30:
	s_mov_b32 s25, 0
	s_mov_b32 s39, 0
                                        ; implicit-def: $vgpr6
	s_cbranch_execnz .LBB40_341
.LBB40_31:
	s_and_not1_b32 vcc_lo, exec_lo, s39
	s_cbranch_vccnz .LBB40_389
.LBB40_32:
	s_wait_loadcnt 0x0
	s_delay_alu instid0(VALU_DEP_1) | instskip(SKIP_3) | instid1(VALU_DEP_2)
	v_dual_mov_b32 v3, 0 :: v_dual_mul_f32 v4, v1, v6
	v_cmp_lt_f32_e32 vcc_lo, 0, v1
	s_and_b32 s38, s31, 0xff
	s_mov_b32 s0, 0
	v_add_nc_u64_e32 v[2:3], s[4:5], v[2:3]
	s_mov_b32 s39, -1
	v_cndmask_b32_e32 v4, v4, v1, vcc_lo
	s_cmp_lt_i32 s38, 11
	s_mov_b32 s40, 0
	s_cbranch_scc1 .LBB40_39
; %bb.33:
	s_and_b32 s39, 0xffff, s38
	s_delay_alu instid0(SALU_CYCLE_1)
	s_cmp_gt_i32 s39, 25
	s_cbranch_scc0 .LBB40_82
; %bb.34:
	s_cmp_gt_i32 s39, 28
	s_cbranch_scc0 .LBB40_85
; %bb.35:
	s_cmp_gt_i32 s39, 43
	s_cbranch_scc0 .LBB40_92
; %bb.36:
	s_cmp_gt_i32 s39, 45
	s_cbranch_scc0 .LBB40_207
; %bb.37:
	s_mov_b32 s42, 0
	s_mov_b32 s0, -1
	s_cmp_eq_u32 s39, 46
	s_cbranch_scc0 .LBB40_208
; %bb.38:
	v_bfe_u32 v1, v4, 16, 1
	v_cmp_o_f32_e32 vcc_lo, v4, v4
	s_mov_b32 s40, -1
	s_mov_b32 s0, 0
	s_delay_alu instid0(VALU_DEP_2) | instskip(NEXT) | instid1(VALU_DEP_1)
	v_add3_u32 v1, v4, v1, 0x7fff
	v_lshrrev_b32_e32 v1, 16, v1
	s_delay_alu instid0(VALU_DEP_1)
	v_cndmask_b32_e32 v1, 0x7fc0, v1, vcc_lo
	global_store_b32 v[2:3], v1, off
	s_branch .LBB40_208
.LBB40_39:
	s_and_b32 vcc_lo, exec_lo, s39
	s_cbranch_vccz .LBB40_277
; %bb.40:
	s_and_b32 s38, 0xffff, s38
	s_mov_b32 s39, -1
	s_cmp_lt_i32 s38, 5
	s_cbranch_scc1 .LBB40_61
; %bb.41:
	s_cmp_lt_i32 s38, 8
	s_cbranch_scc1 .LBB40_51
; %bb.42:
	;; [unrolled: 3-line block ×3, first 2 shown]
	s_cmp_gt_i32 s38, 9
	s_cbranch_scc0 .LBB40_45
; %bb.44:
	s_wait_xcnt 0x0
	v_cvt_f64_f32_e32 v[6:7], v4
	v_mov_b32_e32 v8, 0
	s_mov_b32 s39, 0
	s_delay_alu instid0(VALU_DEP_1)
	v_mov_b32_e32 v9, v8
	global_store_b128 v[2:3], v[6:9], off
.LBB40_45:
	s_and_not1_b32 vcc_lo, exec_lo, s39
	s_cbranch_vccnz .LBB40_47
; %bb.46:
	s_wait_xcnt 0x0
	v_mov_b32_e32 v5, 0
	global_store_b64 v[2:3], v[4:5], off
.LBB40_47:
	s_mov_b32 s39, 0
.LBB40_48:
	s_delay_alu instid0(SALU_CYCLE_1)
	s_and_not1_b32 vcc_lo, exec_lo, s39
	s_cbranch_vccnz .LBB40_50
; %bb.49:
	s_wait_xcnt 0x0
	v_cvt_f16_f32_e32 v1, v4
	s_delay_alu instid0(VALU_DEP_1)
	v_and_b32_e32 v1, 0xffff, v1
	global_store_b32 v[2:3], v1, off
.LBB40_50:
	s_mov_b32 s39, 0
.LBB40_51:
	s_delay_alu instid0(SALU_CYCLE_1)
	s_and_not1_b32 vcc_lo, exec_lo, s39
	s_cbranch_vccnz .LBB40_60
; %bb.52:
	s_cmp_lt_i32 s38, 6
	s_mov_b32 s39, -1
	s_cbranch_scc1 .LBB40_58
; %bb.53:
	s_cmp_gt_i32 s38, 6
	s_cbranch_scc0 .LBB40_55
; %bb.54:
	s_wait_xcnt 0x0
	v_cvt_f64_f32_e32 v[6:7], v4
	s_mov_b32 s39, 0
	global_store_b64 v[2:3], v[6:7], off
.LBB40_55:
	s_and_not1_b32 vcc_lo, exec_lo, s39
	s_cbranch_vccnz .LBB40_57
; %bb.56:
	global_store_b32 v[2:3], v4, off
.LBB40_57:
	s_mov_b32 s39, 0
.LBB40_58:
	s_delay_alu instid0(SALU_CYCLE_1)
	s_and_not1_b32 vcc_lo, exec_lo, s39
	s_cbranch_vccnz .LBB40_60
; %bb.59:
	s_wait_xcnt 0x0
	v_cvt_f16_f32_e32 v1, v4
	global_store_b16 v[2:3], v1, off
.LBB40_60:
	s_mov_b32 s39, 0
.LBB40_61:
	s_delay_alu instid0(SALU_CYCLE_1)
	s_and_not1_b32 vcc_lo, exec_lo, s39
	s_cbranch_vccnz .LBB40_77
; %bb.62:
	s_cmp_lt_i32 s38, 2
	s_mov_b32 s39, -1
	s_cbranch_scc1 .LBB40_72
; %bb.63:
	s_cmp_lt_i32 s38, 3
	s_cbranch_scc1 .LBB40_69
; %bb.64:
	s_cmp_gt_i32 s38, 3
	s_cbranch_scc0 .LBB40_66
; %bb.65:
	s_wait_xcnt 0x0
	v_trunc_f32_e32 v1, v4
	s_mov_b32 s39, 0
	s_delay_alu instid0(VALU_DEP_1) | instskip(SKIP_1) | instid1(VALU_DEP_2)
	v_mul_f32_e64 v5, 0x2f800000, |v1|
	v_ashrrev_i32_e32 v6, 31, v1
	v_floor_f32_e32 v5, v5
	s_delay_alu instid0(VALU_DEP_1) | instskip(SKIP_1) | instid1(VALU_DEP_2)
	v_fma_f32 v7, 0xcf800000, v5, |v1|
	v_cvt_u32_f32_e32 v1, v5
	v_cvt_u32_f32_e32 v5, v7
	s_delay_alu instid0(VALU_DEP_2) | instskip(NEXT) | instid1(VALU_DEP_2)
	v_dual_mov_b32 v7, v6 :: v_dual_bitop2_b32 v9, v1, v6 bitop3:0x14
	v_xor_b32_e32 v8, v5, v6
	s_delay_alu instid0(VALU_DEP_1)
	v_sub_nc_u64_e32 v[6:7], v[8:9], v[6:7]
	global_store_b64 v[2:3], v[6:7], off
.LBB40_66:
	s_and_not1_b32 vcc_lo, exec_lo, s39
	s_cbranch_vccnz .LBB40_68
; %bb.67:
	s_wait_xcnt 0x0
	v_cvt_i32_f32_e32 v1, v4
	global_store_b32 v[2:3], v1, off
.LBB40_68:
	s_mov_b32 s39, 0
.LBB40_69:
	s_delay_alu instid0(SALU_CYCLE_1)
	s_and_not1_b32 vcc_lo, exec_lo, s39
	s_cbranch_vccnz .LBB40_71
; %bb.70:
	s_wait_xcnt 0x0
	v_cvt_i32_f32_e32 v1, v4
	global_store_b16 v[2:3], v1, off
.LBB40_71:
	s_mov_b32 s39, 0
.LBB40_72:
	s_delay_alu instid0(SALU_CYCLE_1)
	s_and_not1_b32 vcc_lo, exec_lo, s39
	s_cbranch_vccnz .LBB40_77
; %bb.73:
	s_cmp_gt_i32 s38, 0
	s_mov_b32 s38, -1
	s_cbranch_scc0 .LBB40_75
; %bb.74:
	s_wait_xcnt 0x0
	v_cvt_i32_f32_e32 v1, v4
	s_mov_b32 s38, 0
	global_store_b8 v[2:3], v1, off
.LBB40_75:
	s_and_not1_b32 vcc_lo, exec_lo, s38
	s_cbranch_vccnz .LBB40_77
; %bb.76:
	s_wait_xcnt 0x0
	v_trunc_f32_e32 v1, v4
	s_delay_alu instid0(VALU_DEP_1) | instskip(NEXT) | instid1(VALU_DEP_1)
	v_mul_f32_e64 v4, 0x2f800000, |v1|
	v_floor_f32_e32 v4, v4
	s_delay_alu instid0(VALU_DEP_1) | instskip(SKIP_1) | instid1(VALU_DEP_2)
	v_fma_f32 v4, 0xcf800000, v4, |v1|
	v_ashrrev_i32_e32 v1, 31, v1
	v_cvt_u32_f32_e32 v4, v4
	s_delay_alu instid0(VALU_DEP_1) | instskip(NEXT) | instid1(VALU_DEP_1)
	v_xor_b32_e32 v4, v4, v1
	v_sub_nc_u32_e32 v1, v4, v1
	global_store_b8 v[2:3], v1, off
.LBB40_77:
	s_branch .LBB40_278
.LBB40_78:
	s_mov_b32 s39, -1
	s_mov_b32 s24, 0
	s_mov_b32 s38, 0
                                        ; implicit-def: $vgpr1
	s_branch .LBB40_100
.LBB40_79:
	s_mov_b32 s40, -1
	s_mov_b32 s25, 0
	s_mov_b32 s39, 0
                                        ; implicit-def: $vgpr6
	s_branch .LBB40_305
.LBB40_80:
	s_mov_b32 s39, -1
	s_mov_b32 s24, 0
	s_mov_b32 s38, 0
                                        ; implicit-def: $vgpr1
	s_branch .LBB40_95
.LBB40_81:
	s_mov_b32 s40, -1
	s_mov_b32 s25, 0
	s_mov_b32 s39, 0
                                        ; implicit-def: $vgpr6
	s_branch .LBB40_286
.LBB40_82:
	s_mov_b32 s42, -1
	s_branch .LBB40_235
.LBB40_83:
	s_mov_b32 s39, -1
	s_mov_b32 s24, 0
	s_branch .LBB40_87
.LBB40_84:
	s_mov_b32 s40, -1
	s_mov_b32 s25, 0
	s_mov_b32 s39, 0
                                        ; implicit-def: $vgpr6
	s_branch .LBB40_281
.LBB40_85:
	s_mov_b32 s42, -1
	s_branch .LBB40_218
.LBB40_86:
	s_mov_b32 s24, -1
.LBB40_87:
	s_mov_b32 s38, 0
                                        ; implicit-def: $vgpr1
.LBB40_88:
	s_and_b32 vcc_lo, exec_lo, s39
	s_cbranch_vccz .LBB40_94
; %bb.89:
	s_cmp_eq_u32 s25, 44
	s_cbranch_scc0 .LBB40_93
; %bb.90:
	global_load_u8 v1, v[6:7], off
	s_mov_b32 s24, 0
	s_mov_b32 s38, -1
	s_wait_loadcnt 0x0
	v_lshlrev_b32_e32 v3, 23, v1
	v_cmp_ne_u32_e32 vcc_lo, 0xff, v1
	s_delay_alu instid0(VALU_DEP_2) | instskip(SKIP_1) | instid1(VALU_DEP_2)
	v_cndmask_b32_e32 v3, 0x7f800001, v3, vcc_lo
	v_cmp_ne_u32_e32 vcc_lo, 0, v1
	v_cndmask_b32_e32 v1, 0x400000, v3, vcc_lo
	s_branch .LBB40_94
.LBB40_91:
	s_mov_b32 s40, -1
	s_mov_b32 s25, 0
	s_branch .LBB40_203
.LBB40_92:
	s_mov_b32 s42, -1
	s_branch .LBB40_214
.LBB40_93:
	s_mov_b32 s24, -1
                                        ; implicit-def: $vgpr1
.LBB40_94:
	s_mov_b32 s39, 0
.LBB40_95:
	s_delay_alu instid0(SALU_CYCLE_1)
	s_and_b32 vcc_lo, exec_lo, s39
	s_cbranch_vccz .LBB40_99
; %bb.96:
	s_cmp_eq_u32 s25, 29
	s_cbranch_scc0 .LBB40_98
; %bb.97:
	global_load_b64 v[8:9], v[6:7], off
	s_mov_b32 s38, -1
	s_mov_b32 s24, 0
	s_mov_b32 s39, 0
	s_wait_loadcnt 0x0
	v_clz_i32_u32_e32 v1, v9
	s_delay_alu instid0(VALU_DEP_1) | instskip(NEXT) | instid1(VALU_DEP_1)
	v_min_u32_e32 v1, 32, v1
	v_lshlrev_b64_e32 v[8:9], v1, v[8:9]
	v_sub_nc_u32_e32 v1, 32, v1
	s_delay_alu instid0(VALU_DEP_2) | instskip(NEXT) | instid1(VALU_DEP_1)
	v_min_u32_e32 v3, 1, v8
	v_or_b32_e32 v3, v9, v3
	s_delay_alu instid0(VALU_DEP_1) | instskip(NEXT) | instid1(VALU_DEP_1)
	v_cvt_f32_u32_e32 v3, v3
	v_ldexp_f32 v1, v3, v1
	s_branch .LBB40_100
.LBB40_98:
	s_mov_b32 s24, -1
                                        ; implicit-def: $vgpr1
.LBB40_99:
	s_mov_b32 s39, 0
.LBB40_100:
	s_delay_alu instid0(SALU_CYCLE_1)
	s_and_b32 vcc_lo, exec_lo, s39
	s_cbranch_vccz .LBB40_118
; %bb.101:
	s_cmp_lt_i32 s25, 27
	s_cbranch_scc1 .LBB40_104
; %bb.102:
	s_cmp_gt_i32 s25, 27
	s_cbranch_scc0 .LBB40_105
; %bb.103:
	global_load_b32 v1, v[6:7], off
	s_mov_b32 s38, 0
	s_wait_loadcnt 0x0
	v_cvt_f32_u32_e32 v1, v1
	s_branch .LBB40_106
.LBB40_104:
	s_mov_b32 s38, -1
                                        ; implicit-def: $vgpr1
	s_branch .LBB40_109
.LBB40_105:
	s_mov_b32 s38, -1
                                        ; implicit-def: $vgpr1
.LBB40_106:
	s_delay_alu instid0(SALU_CYCLE_1)
	s_and_not1_b32 vcc_lo, exec_lo, s38
	s_cbranch_vccnz .LBB40_108
; %bb.107:
	global_load_u16 v1, v[6:7], off
	s_wait_loadcnt 0x0
	v_cvt_f32_u32_e32 v1, v1
.LBB40_108:
	s_mov_b32 s38, 0
.LBB40_109:
	s_delay_alu instid0(SALU_CYCLE_1)
	s_and_not1_b32 vcc_lo, exec_lo, s38
	s_cbranch_vccnz .LBB40_117
; %bb.110:
	global_load_u8 v3, v[6:7], off
	s_mov_b32 s38, 0
	s_mov_b32 s39, exec_lo
	s_wait_loadcnt 0x0
	v_cmpx_lt_i16_e32 0x7f, v3
	s_xor_b32 s39, exec_lo, s39
	s_cbranch_execz .LBB40_130
; %bb.111:
	s_mov_b32 s38, -1
	s_mov_b32 s40, exec_lo
	v_cmpx_eq_u16_e32 0x80, v3
; %bb.112:
	s_xor_b32 s38, exec_lo, -1
; %bb.113:
	s_or_b32 exec_lo, exec_lo, s40
	s_delay_alu instid0(SALU_CYCLE_1)
	s_and_b32 s38, s38, exec_lo
	s_or_saveexec_b32 s39, s39
	v_mov_b32_e32 v1, 0x7f800001
	s_xor_b32 exec_lo, exec_lo, s39
	s_cbranch_execnz .LBB40_131
.LBB40_114:
	s_or_b32 exec_lo, exec_lo, s39
	s_and_saveexec_b32 s39, s38
	s_cbranch_execz .LBB40_116
.LBB40_115:
	v_and_b32_e32 v1, 0xffff, v3
	s_delay_alu instid0(VALU_DEP_1) | instskip(SKIP_1) | instid1(VALU_DEP_2)
	v_and_b32_e32 v5, 7, v1
	v_bfe_u32 v10, v1, 3, 4
	v_clz_i32_u32_e32 v8, v5
	s_delay_alu instid0(VALU_DEP_2) | instskip(NEXT) | instid1(VALU_DEP_2)
	v_cmp_eq_u32_e32 vcc_lo, 0, v10
	v_min_u32_e32 v8, 32, v8
	s_delay_alu instid0(VALU_DEP_1) | instskip(NEXT) | instid1(VALU_DEP_1)
	v_subrev_nc_u32_e32 v9, 28, v8
	v_dual_lshlrev_b32 v1, v9, v1 :: v_dual_sub_nc_u32 v8, 29, v8
	s_delay_alu instid0(VALU_DEP_1) | instskip(NEXT) | instid1(VALU_DEP_1)
	v_dual_lshlrev_b32 v3, 24, v3 :: v_dual_bitop2_b32 v1, 7, v1 bitop3:0x40
	v_dual_cndmask_b32 v8, v10, v8 :: v_dual_cndmask_b32 v1, v5, v1
	s_delay_alu instid0(VALU_DEP_2) | instskip(NEXT) | instid1(VALU_DEP_2)
	v_and_b32_e32 v3, 0x80000000, v3
	v_lshl_add_u32 v5, v8, 23, 0x3b800000
	s_delay_alu instid0(VALU_DEP_3) | instskip(NEXT) | instid1(VALU_DEP_1)
	v_lshlrev_b32_e32 v1, 20, v1
	v_or3_b32 v1, v3, v5, v1
.LBB40_116:
	s_or_b32 exec_lo, exec_lo, s39
.LBB40_117:
	s_mov_b32 s38, -1
.LBB40_118:
	s_branch .LBB40_153
.LBB40_119:
	s_cmp_gt_i32 s25, 22
	s_cbranch_scc0 .LBB40_129
; %bb.120:
	s_cmp_lt_i32 s25, 24
	s_cbranch_scc1 .LBB40_132
; %bb.121:
	s_cmp_gt_i32 s25, 24
	s_cbranch_scc0 .LBB40_133
; %bb.122:
	global_load_u8 v3, v[6:7], off
	s_mov_b32 s38, 0
	s_mov_b32 s39, exec_lo
	s_wait_loadcnt 0x0
	v_cmpx_lt_i16_e32 0x7f, v3
	s_xor_b32 s39, exec_lo, s39
	s_cbranch_execz .LBB40_145
; %bb.123:
	s_mov_b32 s38, -1
	s_mov_b32 s40, exec_lo
	v_cmpx_eq_u16_e32 0x80, v3
; %bb.124:
	s_xor_b32 s38, exec_lo, -1
; %bb.125:
	s_or_b32 exec_lo, exec_lo, s40
	s_delay_alu instid0(SALU_CYCLE_1)
	s_and_b32 s38, s38, exec_lo
	s_or_saveexec_b32 s39, s39
	v_mov_b32_e32 v1, 0x7f800001
	s_xor_b32 exec_lo, exec_lo, s39
	s_cbranch_execnz .LBB40_146
.LBB40_126:
	s_or_b32 exec_lo, exec_lo, s39
	s_and_saveexec_b32 s39, s38
	s_cbranch_execz .LBB40_128
.LBB40_127:
	v_and_b32_e32 v1, 0xffff, v3
	s_delay_alu instid0(VALU_DEP_1) | instskip(SKIP_1) | instid1(VALU_DEP_2)
	v_and_b32_e32 v5, 3, v1
	v_bfe_u32 v10, v1, 2, 5
	v_clz_i32_u32_e32 v8, v5
	s_delay_alu instid0(VALU_DEP_2) | instskip(NEXT) | instid1(VALU_DEP_2)
	v_cmp_eq_u32_e32 vcc_lo, 0, v10
	v_min_u32_e32 v8, 32, v8
	s_delay_alu instid0(VALU_DEP_1) | instskip(NEXT) | instid1(VALU_DEP_1)
	v_subrev_nc_u32_e32 v9, 29, v8
	v_dual_lshlrev_b32 v1, v9, v1 :: v_dual_sub_nc_u32 v8, 30, v8
	s_delay_alu instid0(VALU_DEP_1) | instskip(NEXT) | instid1(VALU_DEP_1)
	v_dual_lshlrev_b32 v3, 24, v3 :: v_dual_bitop2_b32 v1, 3, v1 bitop3:0x40
	v_dual_cndmask_b32 v8, v10, v8 :: v_dual_cndmask_b32 v1, v5, v1
	s_delay_alu instid0(VALU_DEP_2) | instskip(NEXT) | instid1(VALU_DEP_2)
	v_and_b32_e32 v3, 0x80000000, v3
	v_lshl_add_u32 v5, v8, 23, 0x37800000
	s_delay_alu instid0(VALU_DEP_3) | instskip(NEXT) | instid1(VALU_DEP_1)
	v_lshlrev_b32_e32 v1, 21, v1
	v_or3_b32 v1, v3, v5, v1
.LBB40_128:
	s_or_b32 exec_lo, exec_lo, s39
	s_mov_b32 s38, 0
	s_branch .LBB40_134
.LBB40_129:
	s_mov_b32 s39, -1
                                        ; implicit-def: $vgpr1
	s_branch .LBB40_140
.LBB40_130:
	s_or_saveexec_b32 s39, s39
	v_mov_b32_e32 v1, 0x7f800001
	s_xor_b32 exec_lo, exec_lo, s39
	s_cbranch_execz .LBB40_114
.LBB40_131:
	v_cmp_ne_u16_e32 vcc_lo, 0, v3
	v_mov_b32_e32 v1, 0
	s_and_not1_b32 s38, s38, exec_lo
	s_and_b32 s40, vcc_lo, exec_lo
	s_delay_alu instid0(SALU_CYCLE_1)
	s_or_b32 s38, s38, s40
	s_or_b32 exec_lo, exec_lo, s39
	s_and_saveexec_b32 s39, s38
	s_cbranch_execnz .LBB40_115
	s_branch .LBB40_116
.LBB40_132:
	s_mov_b32 s38, -1
                                        ; implicit-def: $vgpr1
	s_branch .LBB40_137
.LBB40_133:
	s_mov_b32 s38, -1
                                        ; implicit-def: $vgpr1
.LBB40_134:
	s_delay_alu instid0(SALU_CYCLE_1)
	s_and_b32 vcc_lo, exec_lo, s38
	s_cbranch_vccz .LBB40_136
; %bb.135:
	global_load_u8 v1, v[6:7], off
	s_wait_loadcnt 0x0
	v_lshlrev_b32_e32 v1, 24, v1
	s_delay_alu instid0(VALU_DEP_1) | instskip(NEXT) | instid1(VALU_DEP_1)
	v_and_b32_e32 v3, 0x7f000000, v1
	v_clz_i32_u32_e32 v5, v3
	v_add_nc_u32_e32 v9, 0x1000000, v3
	v_cmp_ne_u32_e32 vcc_lo, 0, v3
	s_delay_alu instid0(VALU_DEP_3) | instskip(NEXT) | instid1(VALU_DEP_1)
	v_min_u32_e32 v5, 32, v5
	v_sub_nc_u32_e64 v5, v5, 4 clamp
	s_delay_alu instid0(VALU_DEP_1) | instskip(NEXT) | instid1(VALU_DEP_1)
	v_dual_lshlrev_b32 v8, v5, v3 :: v_dual_lshlrev_b32 v5, 23, v5
	v_lshrrev_b32_e32 v8, 4, v8
	s_delay_alu instid0(VALU_DEP_1) | instskip(SKIP_1) | instid1(VALU_DEP_2)
	v_sub_nc_u32_e32 v5, v8, v5
	v_ashrrev_i32_e32 v8, 8, v9
	v_add_nc_u32_e32 v5, 0x3c000000, v5
	s_delay_alu instid0(VALU_DEP_1) | instskip(NEXT) | instid1(VALU_DEP_1)
	v_and_or_b32 v5, 0x7f800000, v8, v5
	v_cndmask_b32_e32 v3, 0, v5, vcc_lo
	s_delay_alu instid0(VALU_DEP_1)
	v_and_or_b32 v1, 0x80000000, v1, v3
.LBB40_136:
	s_mov_b32 s38, 0
.LBB40_137:
	s_delay_alu instid0(SALU_CYCLE_1)
	s_and_not1_b32 vcc_lo, exec_lo, s38
	s_cbranch_vccnz .LBB40_139
; %bb.138:
	global_load_u8 v1, v[6:7], off
	s_wait_loadcnt 0x0
	v_lshlrev_b32_e32 v3, 25, v1
	v_lshlrev_b16 v1, 8, v1
	s_delay_alu instid0(VALU_DEP_1) | instskip(SKIP_1) | instid1(VALU_DEP_2)
	v_and_or_b32 v8, 0x7f00, v1, 0.5
	v_bfe_i32 v1, v1, 0, 16
	v_dual_add_f32 v8, -0.5, v8 :: v_dual_lshrrev_b32 v5, 4, v3
	v_cmp_gt_u32_e32 vcc_lo, 0x8000000, v3
	s_delay_alu instid0(VALU_DEP_2) | instskip(NEXT) | instid1(VALU_DEP_1)
	v_or_b32_e32 v5, 0x70000000, v5
	v_mul_f32_e32 v5, 0x7800000, v5
	s_delay_alu instid0(VALU_DEP_1) | instskip(NEXT) | instid1(VALU_DEP_1)
	v_cndmask_b32_e32 v3, v5, v8, vcc_lo
	v_and_or_b32 v1, 0x80000000, v1, v3
.LBB40_139:
	s_mov_b32 s39, 0
	s_mov_b32 s38, -1
.LBB40_140:
	s_and_not1_b32 vcc_lo, exec_lo, s39
	s_cbranch_vccnz .LBB40_153
; %bb.141:
	s_cmp_gt_i32 s25, 14
	s_cbranch_scc0 .LBB40_144
; %bb.142:
	s_cmp_eq_u32 s25, 15
	s_cbranch_scc0 .LBB40_147
; %bb.143:
	global_load_u16 v1, v[6:7], off
	s_mov_b32 s38, -1
	s_mov_b32 s24, 0
	s_wait_loadcnt 0x0
	v_lshlrev_b32_e32 v1, 16, v1
	s_branch .LBB40_148
.LBB40_144:
	s_mov_b32 s39, -1
                                        ; implicit-def: $vgpr1
	s_branch .LBB40_149
.LBB40_145:
	s_or_saveexec_b32 s39, s39
	v_mov_b32_e32 v1, 0x7f800001
	s_xor_b32 exec_lo, exec_lo, s39
	s_cbranch_execz .LBB40_126
.LBB40_146:
	v_cmp_ne_u16_e32 vcc_lo, 0, v3
	v_mov_b32_e32 v1, 0
	s_and_not1_b32 s38, s38, exec_lo
	s_and_b32 s40, vcc_lo, exec_lo
	s_delay_alu instid0(SALU_CYCLE_1)
	s_or_b32 s38, s38, s40
	s_or_b32 exec_lo, exec_lo, s39
	s_and_saveexec_b32 s39, s38
	s_cbranch_execnz .LBB40_127
	s_branch .LBB40_128
.LBB40_147:
	s_mov_b32 s24, -1
                                        ; implicit-def: $vgpr1
.LBB40_148:
	s_mov_b32 s39, 0
.LBB40_149:
	s_delay_alu instid0(SALU_CYCLE_1)
	s_and_b32 vcc_lo, exec_lo, s39
	s_cbranch_vccz .LBB40_153
; %bb.150:
	s_cmp_eq_u32 s25, 11
	s_cbranch_scc0 .LBB40_152
; %bb.151:
	global_load_u8 v1, v[6:7], off
	s_mov_b32 s24, 0
	s_mov_b32 s38, -1
	s_wait_loadcnt 0x0
	v_cmp_ne_u16_e32 vcc_lo, 0, v1
	v_cndmask_b32_e64 v1, 0, 1.0, vcc_lo
	s_branch .LBB40_153
.LBB40_152:
	s_mov_b32 s24, -1
                                        ; implicit-def: $vgpr1
.LBB40_153:
	s_branch .LBB40_21
.LBB40_154:
	s_and_b32 s0, 0xffff, s0
	s_delay_alu instid0(SALU_CYCLE_1)
	s_cmp_lt_i32 s0, 5
	s_cbranch_scc1 .LBB40_159
; %bb.155:
	s_cmp_lt_i32 s0, 8
	s_cbranch_scc1 .LBB40_160
; %bb.156:
	;; [unrolled: 3-line block ×3, first 2 shown]
	s_cmp_gt_i32 s0, 9
	s_cbranch_scc0 .LBB40_162
; %bb.158:
	global_load_b64 v[8:9], v[6:7], off
	s_mov_b32 s25, 0
	s_wait_loadcnt 0x0
	v_cvt_f32_f64_e32 v1, v[8:9]
	s_branch .LBB40_163
.LBB40_159:
                                        ; implicit-def: $vgpr1
	s_branch .LBB40_181
.LBB40_160:
	s_mov_b32 s25, -1
                                        ; implicit-def: $vgpr1
	s_branch .LBB40_169
.LBB40_161:
	s_mov_b32 s25, -1
                                        ; implicit-def: $vgpr1
	s_branch .LBB40_166
.LBB40_162:
	s_mov_b32 s25, -1
                                        ; implicit-def: $vgpr1
.LBB40_163:
	s_delay_alu instid0(SALU_CYCLE_1)
	s_and_not1_b32 vcc_lo, exec_lo, s25
	s_cbranch_vccnz .LBB40_165
; %bb.164:
	global_load_b32 v1, v[6:7], off
.LBB40_165:
	s_mov_b32 s25, 0
.LBB40_166:
	s_delay_alu instid0(SALU_CYCLE_1)
	s_and_not1_b32 vcc_lo, exec_lo, s25
	s_cbranch_vccnz .LBB40_168
; %bb.167:
	s_wait_loadcnt 0x0
	global_load_b32 v1, v[6:7], off
	s_wait_loadcnt 0x0
	v_cvt_f32_f16_e32 v1, v1
.LBB40_168:
	s_mov_b32 s25, 0
.LBB40_169:
	s_delay_alu instid0(SALU_CYCLE_1)
	s_and_not1_b32 vcc_lo, exec_lo, s25
	s_cbranch_vccnz .LBB40_180
; %bb.170:
	s_cmp_lt_i32 s0, 6
	s_cbranch_scc1 .LBB40_173
; %bb.171:
	s_cmp_gt_i32 s0, 6
	s_cbranch_scc0 .LBB40_174
; %bb.172:
	global_load_b64 v[8:9], v[6:7], off
	s_mov_b32 s25, 0
	s_wait_loadcnt 0x0
	v_cvt_f32_f64_e32 v1, v[8:9]
	s_branch .LBB40_175
.LBB40_173:
	s_mov_b32 s25, -1
                                        ; implicit-def: $vgpr1
	s_branch .LBB40_178
.LBB40_174:
	s_mov_b32 s25, -1
                                        ; implicit-def: $vgpr1
.LBB40_175:
	s_delay_alu instid0(SALU_CYCLE_1)
	s_and_not1_b32 vcc_lo, exec_lo, s25
	s_cbranch_vccnz .LBB40_177
; %bb.176:
	s_wait_loadcnt 0x0
	global_load_b32 v1, v[6:7], off
.LBB40_177:
	s_mov_b32 s25, 0
.LBB40_178:
	s_delay_alu instid0(SALU_CYCLE_1)
	s_and_not1_b32 vcc_lo, exec_lo, s25
	s_cbranch_vccnz .LBB40_180
; %bb.179:
	s_wait_loadcnt 0x0
	global_load_u16 v1, v[6:7], off
	s_wait_loadcnt 0x0
	v_cvt_f32_f16_e32 v1, v1
.LBB40_180:
	s_cbranch_execnz .LBB40_200
.LBB40_181:
	s_cmp_lt_i32 s0, 2
	s_cbranch_scc1 .LBB40_185
; %bb.182:
	s_cmp_lt_i32 s0, 3
	s_cbranch_scc1 .LBB40_186
; %bb.183:
	s_cmp_gt_i32 s0, 3
	s_cbranch_scc0 .LBB40_187
; %bb.184:
	global_load_b64 v[8:9], v[6:7], off
	s_mov_b32 s25, 0
	s_wait_loadcnt 0x0
	v_xor_b32_e32 v1, v8, v9
	v_cls_i32_e32 v3, v9
	s_delay_alu instid0(VALU_DEP_2) | instskip(NEXT) | instid1(VALU_DEP_1)
	v_ashrrev_i32_e32 v1, 31, v1
	v_add_nc_u32_e32 v1, 32, v1
	s_delay_alu instid0(VALU_DEP_1) | instskip(NEXT) | instid1(VALU_DEP_1)
	v_add_min_u32_e64 v1, v3, -1, v1
	v_lshlrev_b64_e32 v[8:9], v1, v[8:9]
	v_sub_nc_u32_e32 v1, 32, v1
	s_delay_alu instid0(VALU_DEP_2) | instskip(NEXT) | instid1(VALU_DEP_1)
	v_min_u32_e32 v3, 1, v8
	v_or_b32_e32 v3, v9, v3
	s_delay_alu instid0(VALU_DEP_1) | instskip(NEXT) | instid1(VALU_DEP_1)
	v_cvt_f32_i32_e32 v3, v3
	v_ldexp_f32 v1, v3, v1
	s_branch .LBB40_188
.LBB40_185:
	s_mov_b32 s25, -1
                                        ; implicit-def: $vgpr1
	s_branch .LBB40_194
.LBB40_186:
	s_mov_b32 s25, -1
                                        ; implicit-def: $vgpr1
	s_branch .LBB40_191
.LBB40_187:
	s_mov_b32 s25, -1
                                        ; implicit-def: $vgpr1
.LBB40_188:
	s_delay_alu instid0(SALU_CYCLE_1)
	s_and_not1_b32 vcc_lo, exec_lo, s25
	s_cbranch_vccnz .LBB40_190
; %bb.189:
	s_wait_loadcnt 0x0
	global_load_b32 v1, v[6:7], off
	s_wait_loadcnt 0x0
	v_cvt_f32_i32_e32 v1, v1
.LBB40_190:
	s_mov_b32 s25, 0
.LBB40_191:
	s_delay_alu instid0(SALU_CYCLE_1)
	s_and_not1_b32 vcc_lo, exec_lo, s25
	s_cbranch_vccnz .LBB40_193
; %bb.192:
	s_wait_loadcnt 0x0
	global_load_i16 v1, v[6:7], off
	s_wait_loadcnt 0x0
	v_cvt_f32_i32_e32 v1, v1
.LBB40_193:
	s_mov_b32 s25, 0
.LBB40_194:
	s_delay_alu instid0(SALU_CYCLE_1)
	s_and_not1_b32 vcc_lo, exec_lo, s25
	s_cbranch_vccnz .LBB40_200
; %bb.195:
	s_cmp_gt_i32 s0, 0
	s_mov_b32 s0, 0
	s_cbranch_scc0 .LBB40_197
; %bb.196:
	s_wait_loadcnt 0x0
	global_load_i8 v1, v[6:7], off
	s_wait_loadcnt 0x0
	v_cvt_f32_i32_e32 v1, v1
	s_branch .LBB40_198
.LBB40_197:
	s_mov_b32 s0, -1
                                        ; implicit-def: $vgpr1
.LBB40_198:
	s_delay_alu instid0(SALU_CYCLE_1)
	s_and_not1_b32 vcc_lo, exec_lo, s0
	s_cbranch_vccnz .LBB40_200
; %bb.199:
	s_wait_loadcnt 0x0
	global_load_u8 v1, v[6:7], off
	s_wait_loadcnt 0x0
	v_cvt_f32_ubyte0_e32 v1, v1
.LBB40_200:
	s_branch .LBB40_22
.LBB40_201:
	s_mov_b32 s0, 0
	s_mov_b32 s25, 0
	s_branch .LBB40_390
.LBB40_202:
	s_mov_b32 s25, -1
.LBB40_203:
	s_mov_b32 s39, 0
                                        ; implicit-def: $vgpr6
.LBB40_204:
	s_and_b32 vcc_lo, exec_lo, s40
	s_cbranch_vccz .LBB40_280
; %bb.205:
	s_cmp_eq_u32 s38, 44
	s_cbranch_scc0 .LBB40_279
; %bb.206:
	global_load_u8 v3, v[4:5], off
	s_mov_b32 s25, 0
	s_mov_b32 s39, -1
	s_wait_loadcnt 0x0
	v_lshlrev_b32_e32 v6, 23, v3
	v_cmp_ne_u32_e32 vcc_lo, 0xff, v3
	s_delay_alu instid0(VALU_DEP_2) | instskip(SKIP_1) | instid1(VALU_DEP_2)
	v_cndmask_b32_e32 v6, 0x7f800001, v6, vcc_lo
	v_cmp_ne_u32_e32 vcc_lo, 0, v3
	v_cndmask_b32_e32 v6, 0x400000, v6, vcc_lo
	s_branch .LBB40_280
.LBB40_207:
	s_mov_b32 s42, -1
.LBB40_208:
	s_delay_alu instid0(SALU_CYCLE_1)
	s_and_b32 vcc_lo, exec_lo, s42
	s_cbranch_vccz .LBB40_213
; %bb.209:
	s_cmp_eq_u32 s39, 44
	s_mov_b32 s0, -1
	s_cbranch_scc0 .LBB40_213
; %bb.210:
	v_bfe_u32 v5, v4, 23, 8
	s_wait_xcnt 0x0
	v_mov_b32_e32 v1, 0xff
	s_mov_b32 s40, exec_lo
	s_delay_alu instid0(VALU_DEP_2)
	v_cmpx_ne_u32_e32 0xff, v5
	s_cbranch_execz .LBB40_212
; %bb.211:
	v_and_b32_e32 v1, 0x400000, v4
	v_and_or_b32 v5, 0x3fffff, v4, v5
	s_delay_alu instid0(VALU_DEP_2) | instskip(NEXT) | instid1(VALU_DEP_2)
	v_cmp_ne_u32_e32 vcc_lo, 0, v1
	v_cmp_ne_u32_e64 s0, 0, v5
	v_lshrrev_b32_e32 v1, 23, v4
	s_and_b32 s0, vcc_lo, s0
	s_delay_alu instid0(SALU_CYCLE_1) | instskip(NEXT) | instid1(VALU_DEP_1)
	v_cndmask_b32_e64 v5, 0, 1, s0
	v_add_nc_u32_e32 v1, v1, v5
.LBB40_212:
	s_or_b32 exec_lo, exec_lo, s40
	s_mov_b32 s40, -1
	s_mov_b32 s0, 0
	global_store_b8 v[2:3], v1, off
.LBB40_213:
	s_mov_b32 s42, 0
.LBB40_214:
	s_delay_alu instid0(SALU_CYCLE_1)
	s_and_b32 vcc_lo, exec_lo, s42
	s_cbranch_vccz .LBB40_217
; %bb.215:
	s_cmp_eq_u32 s39, 29
	s_mov_b32 s0, -1
	s_cbranch_scc0 .LBB40_217
; %bb.216:
	s_wait_xcnt 0x0
	v_trunc_f32_e32 v1, v4
	s_mov_b32 s40, -1
	s_mov_b32 s0, 0
	s_mov_b32 s42, 0
	s_delay_alu instid0(VALU_DEP_1) | instskip(NEXT) | instid1(VALU_DEP_1)
	v_mul_f32_e32 v5, 0x2f800000, v1
	v_floor_f32_e32 v5, v5
	s_delay_alu instid0(VALU_DEP_1) | instskip(SKIP_1) | instid1(VALU_DEP_2)
	v_fmamk_f32 v1, v5, 0xcf800000, v1
	v_cvt_u32_f32_e32 v7, v5
	v_cvt_u32_f32_e32 v6, v1
	global_store_b64 v[2:3], v[6:7], off
	s_branch .LBB40_218
.LBB40_217:
	s_mov_b32 s42, 0
.LBB40_218:
	s_delay_alu instid0(SALU_CYCLE_1)
	s_and_b32 vcc_lo, exec_lo, s42
	s_cbranch_vccz .LBB40_234
; %bb.219:
	s_cmp_lt_i32 s39, 27
	s_mov_b32 s40, -1
	s_cbranch_scc1 .LBB40_225
; %bb.220:
	s_wait_xcnt 0x0
	v_cvt_u32_f32_e32 v1, v4
	s_cmp_gt_i32 s39, 27
	s_cbranch_scc0 .LBB40_222
; %bb.221:
	s_mov_b32 s40, 0
	global_store_b32 v[2:3], v1, off
.LBB40_222:
	s_and_not1_b32 vcc_lo, exec_lo, s40
	s_cbranch_vccnz .LBB40_224
; %bb.223:
	global_store_b16 v[2:3], v1, off
.LBB40_224:
	s_mov_b32 s40, 0
.LBB40_225:
	s_delay_alu instid0(SALU_CYCLE_1)
	s_and_not1_b32 vcc_lo, exec_lo, s40
	s_cbranch_vccnz .LBB40_233
; %bb.226:
	s_wait_xcnt 0x0
	v_and_b32_e32 v1, 0x7fffffff, v4
	v_mov_b32_e32 v5, 0x80
	s_mov_b32 s40, exec_lo
	s_delay_alu instid0(VALU_DEP_2)
	v_cmpx_gt_u32_e32 0x43800000, v1
	s_cbranch_execz .LBB40_232
; %bb.227:
	v_cmp_lt_u32_e32 vcc_lo, 0x3bffffff, v1
	s_mov_b32 s42, 0
                                        ; implicit-def: $vgpr1
	s_and_saveexec_b32 s43, vcc_lo
	s_delay_alu instid0(SALU_CYCLE_1)
	s_xor_b32 s43, exec_lo, s43
	s_cbranch_execz .LBB40_432
; %bb.228:
	v_bfe_u32 v1, v4, 20, 1
	s_mov_b32 s42, exec_lo
	s_delay_alu instid0(VALU_DEP_1) | instskip(NEXT) | instid1(VALU_DEP_1)
	v_add3_u32 v1, v4, v1, 0x487ffff
	v_lshrrev_b32_e32 v1, 20, v1
	s_and_not1_saveexec_b32 s43, s43
	s_cbranch_execnz .LBB40_433
.LBB40_229:
	s_or_b32 exec_lo, exec_lo, s43
	v_mov_b32_e32 v5, 0
	s_and_saveexec_b32 s43, s42
.LBB40_230:
	v_lshrrev_b32_e32 v5, 24, v4
	s_delay_alu instid0(VALU_DEP_1)
	v_and_or_b32 v5, 0x80, v5, v1
.LBB40_231:
	s_or_b32 exec_lo, exec_lo, s43
.LBB40_232:
	s_delay_alu instid0(SALU_CYCLE_1)
	s_or_b32 exec_lo, exec_lo, s40
	global_store_b8 v[2:3], v5, off
.LBB40_233:
	s_mov_b32 s40, -1
.LBB40_234:
	s_mov_b32 s42, 0
.LBB40_235:
	s_delay_alu instid0(SALU_CYCLE_1)
	s_and_b32 vcc_lo, exec_lo, s42
	s_cbranch_vccz .LBB40_276
; %bb.236:
	s_cmp_gt_i32 s39, 22
	s_mov_b32 s42, -1
	s_cbranch_scc0 .LBB40_268
; %bb.237:
	s_cmp_lt_i32 s39, 24
	s_mov_b32 s40, -1
	s_cbranch_scc1 .LBB40_257
; %bb.238:
	s_cmp_gt_i32 s39, 24
	s_cbranch_scc0 .LBB40_246
; %bb.239:
	s_wait_xcnt 0x0
	v_and_b32_e32 v1, 0x7fffffff, v4
	v_mov_b32_e32 v5, 0x80
	s_mov_b32 s40, exec_lo
	s_delay_alu instid0(VALU_DEP_2)
	v_cmpx_gt_u32_e32 0x47800000, v1
	s_cbranch_execz .LBB40_245
; %bb.240:
	v_cmp_lt_u32_e32 vcc_lo, 0x37ffffff, v1
	s_mov_b32 s42, 0
                                        ; implicit-def: $vgpr1
	s_and_saveexec_b32 s43, vcc_lo
	s_delay_alu instid0(SALU_CYCLE_1)
	s_xor_b32 s43, exec_lo, s43
	s_cbranch_execz .LBB40_551
; %bb.241:
	v_bfe_u32 v1, v4, 21, 1
	s_mov_b32 s42, exec_lo
	s_delay_alu instid0(VALU_DEP_1) | instskip(NEXT) | instid1(VALU_DEP_1)
	v_add3_u32 v1, v4, v1, 0x88fffff
	v_lshrrev_b32_e32 v1, 21, v1
	s_and_not1_saveexec_b32 s43, s43
	s_cbranch_execnz .LBB40_552
.LBB40_242:
	s_or_b32 exec_lo, exec_lo, s43
	v_mov_b32_e32 v5, 0
	s_and_saveexec_b32 s43, s42
.LBB40_243:
	v_lshrrev_b32_e32 v5, 24, v4
	s_delay_alu instid0(VALU_DEP_1)
	v_and_or_b32 v5, 0x80, v5, v1
.LBB40_244:
	s_or_b32 exec_lo, exec_lo, s43
.LBB40_245:
	s_delay_alu instid0(SALU_CYCLE_1)
	s_or_b32 exec_lo, exec_lo, s40
	s_mov_b32 s40, 0
	global_store_b8 v[2:3], v5, off
.LBB40_246:
	s_and_b32 vcc_lo, exec_lo, s40
	s_cbranch_vccz .LBB40_256
; %bb.247:
	s_wait_xcnt 0x0
	v_and_b32_e32 v5, 0x7fffffff, v4
	s_mov_b32 s40, exec_lo
                                        ; implicit-def: $vgpr1
	s_delay_alu instid0(VALU_DEP_1)
	v_cmpx_gt_u32_e32 0x43f00000, v5
	s_xor_b32 s40, exec_lo, s40
	s_cbranch_execz .LBB40_253
; %bb.248:
	s_mov_b32 s42, exec_lo
                                        ; implicit-def: $vgpr1
	v_cmpx_lt_u32_e32 0x3c7fffff, v5
	s_xor_b32 s42, exec_lo, s42
; %bb.249:
	v_bfe_u32 v1, v4, 20, 1
	s_delay_alu instid0(VALU_DEP_1) | instskip(NEXT) | instid1(VALU_DEP_1)
	v_add3_u32 v1, v4, v1, 0x407ffff
	v_and_b32_e32 v5, 0xff00000, v1
	v_lshrrev_b32_e32 v1, 20, v1
	s_delay_alu instid0(VALU_DEP_2) | instskip(NEXT) | instid1(VALU_DEP_2)
	v_cmp_ne_u32_e32 vcc_lo, 0x7f00000, v5
	v_cndmask_b32_e32 v1, 0x7e, v1, vcc_lo
; %bb.250:
	s_and_not1_saveexec_b32 s42, s42
; %bb.251:
	v_add_f32_e64 v1, 0x46800000, |v4|
; %bb.252:
	s_or_b32 exec_lo, exec_lo, s42
                                        ; implicit-def: $vgpr5
.LBB40_253:
	s_and_not1_saveexec_b32 s40, s40
; %bb.254:
	v_mov_b32_e32 v1, 0x7f
	v_cmp_lt_u32_e32 vcc_lo, 0x7f800000, v5
	s_delay_alu instid0(VALU_DEP_2)
	v_cndmask_b32_e32 v1, 0x7e, v1, vcc_lo
; %bb.255:
	s_or_b32 exec_lo, exec_lo, s40
	v_lshrrev_b32_e32 v5, 24, v4
	s_delay_alu instid0(VALU_DEP_1)
	v_and_or_b32 v1, 0x80, v5, v1
	global_store_b8 v[2:3], v1, off
.LBB40_256:
	s_mov_b32 s40, 0
.LBB40_257:
	s_delay_alu instid0(SALU_CYCLE_1)
	s_and_not1_b32 vcc_lo, exec_lo, s40
	s_cbranch_vccnz .LBB40_267
; %bb.258:
	s_wait_xcnt 0x0
	v_and_b32_e32 v5, 0x7fffffff, v4
	s_mov_b32 s40, exec_lo
                                        ; implicit-def: $vgpr1
	s_delay_alu instid0(VALU_DEP_1)
	v_cmpx_gt_u32_e32 0x47800000, v5
	s_xor_b32 s40, exec_lo, s40
	s_cbranch_execz .LBB40_264
; %bb.259:
	s_mov_b32 s42, exec_lo
                                        ; implicit-def: $vgpr1
	v_cmpx_lt_u32_e32 0x387fffff, v5
	s_xor_b32 s42, exec_lo, s42
; %bb.260:
	v_bfe_u32 v1, v4, 21, 1
	s_delay_alu instid0(VALU_DEP_1) | instskip(NEXT) | instid1(VALU_DEP_1)
	v_add3_u32 v1, v4, v1, 0x80fffff
	v_lshrrev_b32_e32 v1, 21, v1
; %bb.261:
	s_and_not1_saveexec_b32 s42, s42
; %bb.262:
	v_add_f32_e64 v1, 0x43000000, |v4|
; %bb.263:
	s_or_b32 exec_lo, exec_lo, s42
                                        ; implicit-def: $vgpr5
.LBB40_264:
	s_and_not1_saveexec_b32 s40, s40
; %bb.265:
	v_mov_b32_e32 v1, 0x7f
	v_cmp_lt_u32_e32 vcc_lo, 0x7f800000, v5
	s_delay_alu instid0(VALU_DEP_2)
	v_cndmask_b32_e32 v1, 0x7c, v1, vcc_lo
; %bb.266:
	s_or_b32 exec_lo, exec_lo, s40
	v_lshrrev_b32_e32 v5, 24, v4
	s_delay_alu instid0(VALU_DEP_1)
	v_and_or_b32 v1, 0x80, v5, v1
	global_store_b8 v[2:3], v1, off
.LBB40_267:
	s_mov_b32 s42, 0
	s_mov_b32 s40, -1
.LBB40_268:
	s_and_not1_b32 vcc_lo, exec_lo, s42
	s_cbranch_vccnz .LBB40_276
; %bb.269:
	s_cmp_gt_i32 s39, 14
	s_mov_b32 s42, -1
	s_cbranch_scc0 .LBB40_273
; %bb.270:
	s_cmp_eq_u32 s39, 15
	s_mov_b32 s0, -1
	s_cbranch_scc0 .LBB40_272
; %bb.271:
	s_wait_xcnt 0x0
	v_bfe_u32 v1, v4, 16, 1
	v_cmp_o_f32_e32 vcc_lo, v4, v4
	s_mov_b32 s40, -1
	s_mov_b32 s0, 0
	s_delay_alu instid0(VALU_DEP_2) | instskip(NEXT) | instid1(VALU_DEP_1)
	v_add3_u32 v1, v4, v1, 0x7fff
	v_lshrrev_b32_e32 v1, 16, v1
	s_delay_alu instid0(VALU_DEP_1)
	v_cndmask_b32_e32 v1, 0x7fc0, v1, vcc_lo
	global_store_b16 v[2:3], v1, off
.LBB40_272:
	s_mov_b32 s42, 0
.LBB40_273:
	s_delay_alu instid0(SALU_CYCLE_1)
	s_and_b32 vcc_lo, exec_lo, s42
	s_cbranch_vccz .LBB40_276
; %bb.274:
	s_cmp_eq_u32 s39, 11
	s_mov_b32 s0, -1
	s_cbranch_scc0 .LBB40_276
; %bb.275:
	v_cmp_neq_f32_e32 vcc_lo, 0, v4
	s_mov_b32 s0, 0
	s_mov_b32 s40, -1
	s_wait_xcnt 0x0
	v_cndmask_b32_e64 v1, 0, 1, vcc_lo
	global_store_b8 v[2:3], v1, off
.LBB40_276:
.LBB40_277:
	s_and_not1_b32 vcc_lo, exec_lo, s40
	s_cbranch_vccnz .LBB40_390
.LBB40_278:
	v_add_nc_u32_e32 v0, 0x80, v0
	s_mov_b32 s42, -1
	s_branch .LBB40_391
.LBB40_279:
	s_mov_b32 s25, -1
                                        ; implicit-def: $vgpr6
.LBB40_280:
	s_mov_b32 s40, 0
.LBB40_281:
	s_delay_alu instid0(SALU_CYCLE_1)
	s_and_b32 vcc_lo, exec_lo, s40
	s_cbranch_vccz .LBB40_285
; %bb.282:
	s_cmp_eq_u32 s38, 29
	s_cbranch_scc0 .LBB40_284
; %bb.283:
	global_load_b64 v[6:7], v[4:5], off
	s_mov_b32 s39, -1
	s_mov_b32 s25, 0
	s_mov_b32 s40, 0
	s_wait_loadcnt 0x0
	v_clz_i32_u32_e32 v3, v7
	s_delay_alu instid0(VALU_DEP_1) | instskip(NEXT) | instid1(VALU_DEP_1)
	v_min_u32_e32 v3, 32, v3
	v_lshlrev_b64_e32 v[6:7], v3, v[6:7]
	v_sub_nc_u32_e32 v3, 32, v3
	s_delay_alu instid0(VALU_DEP_2) | instskip(NEXT) | instid1(VALU_DEP_1)
	v_min_u32_e32 v6, 1, v6
	v_or_b32_e32 v6, v7, v6
	s_delay_alu instid0(VALU_DEP_1) | instskip(NEXT) | instid1(VALU_DEP_1)
	v_cvt_f32_u32_e32 v6, v6
	v_ldexp_f32 v6, v6, v3
	s_branch .LBB40_286
.LBB40_284:
	s_mov_b32 s25, -1
                                        ; implicit-def: $vgpr6
.LBB40_285:
	s_mov_b32 s40, 0
.LBB40_286:
	s_delay_alu instid0(SALU_CYCLE_1)
	s_and_b32 vcc_lo, exec_lo, s40
	s_cbranch_vccz .LBB40_304
; %bb.287:
	s_cmp_lt_i32 s38, 27
	s_cbranch_scc1 .LBB40_290
; %bb.288:
	s_cmp_gt_i32 s38, 27
	s_cbranch_scc0 .LBB40_291
; %bb.289:
	global_load_b32 v3, v[4:5], off
	s_mov_b32 s39, 0
	s_wait_loadcnt 0x0
	v_cvt_f32_u32_e32 v6, v3
	s_branch .LBB40_292
.LBB40_290:
	s_mov_b32 s39, -1
                                        ; implicit-def: $vgpr6
	s_branch .LBB40_295
.LBB40_291:
	s_mov_b32 s39, -1
                                        ; implicit-def: $vgpr6
.LBB40_292:
	s_delay_alu instid0(SALU_CYCLE_1)
	s_and_not1_b32 vcc_lo, exec_lo, s39
	s_cbranch_vccnz .LBB40_294
; %bb.293:
	global_load_u16 v3, v[4:5], off
	s_wait_loadcnt 0x0
	v_cvt_f32_u32_e32 v6, v3
.LBB40_294:
	s_mov_b32 s39, 0
.LBB40_295:
	s_delay_alu instid0(SALU_CYCLE_1)
	s_and_not1_b32 vcc_lo, exec_lo, s39
	s_cbranch_vccnz .LBB40_303
; %bb.296:
	global_load_u8 v3, v[4:5], off
	s_mov_b32 s39, 0
	s_mov_b32 s40, exec_lo
	s_wait_loadcnt 0x0
	v_cmpx_lt_i16_e32 0x7f, v3
	s_xor_b32 s40, exec_lo, s40
	s_cbranch_execz .LBB40_317
; %bb.297:
	s_mov_b32 s39, -1
	s_mov_b32 s42, exec_lo
	v_cmpx_eq_u16_e32 0x80, v3
; %bb.298:
	s_xor_b32 s39, exec_lo, -1
; %bb.299:
	s_or_b32 exec_lo, exec_lo, s42
	s_delay_alu instid0(SALU_CYCLE_1)
	s_and_b32 s39, s39, exec_lo
	s_or_saveexec_b32 s40, s40
	v_mov_b32_e32 v6, 0x7f800001
	s_xor_b32 exec_lo, exec_lo, s40
	s_cbranch_execnz .LBB40_318
.LBB40_300:
	s_or_b32 exec_lo, exec_lo, s40
	s_and_saveexec_b32 s40, s39
	s_cbranch_execz .LBB40_302
.LBB40_301:
	v_and_b32_e32 v6, 0xffff, v3
	s_delay_alu instid0(VALU_DEP_1) | instskip(SKIP_1) | instid1(VALU_DEP_2)
	v_and_b32_e32 v7, 7, v6
	v_bfe_u32 v10, v6, 3, 4
	v_clz_i32_u32_e32 v8, v7
	s_delay_alu instid0(VALU_DEP_2) | instskip(NEXT) | instid1(VALU_DEP_2)
	v_cmp_eq_u32_e32 vcc_lo, 0, v10
	v_min_u32_e32 v8, 32, v8
	s_delay_alu instid0(VALU_DEP_1) | instskip(NEXT) | instid1(VALU_DEP_1)
	v_subrev_nc_u32_e32 v9, 28, v8
	v_dual_lshlrev_b32 v6, v9, v6 :: v_dual_sub_nc_u32 v8, 29, v8
	s_delay_alu instid0(VALU_DEP_1) | instskip(NEXT) | instid1(VALU_DEP_1)
	v_dual_lshlrev_b32 v3, 24, v3 :: v_dual_bitop2_b32 v6, 7, v6 bitop3:0x40
	v_dual_cndmask_b32 v8, v10, v8, vcc_lo :: v_dual_cndmask_b32 v6, v7, v6, vcc_lo
	s_delay_alu instid0(VALU_DEP_2) | instskip(NEXT) | instid1(VALU_DEP_2)
	v_and_b32_e32 v3, 0x80000000, v3
	v_lshl_add_u32 v7, v8, 23, 0x3b800000
	s_delay_alu instid0(VALU_DEP_3) | instskip(NEXT) | instid1(VALU_DEP_1)
	v_lshlrev_b32_e32 v6, 20, v6
	v_or3_b32 v6, v3, v7, v6
.LBB40_302:
	s_or_b32 exec_lo, exec_lo, s40
.LBB40_303:
	s_mov_b32 s39, -1
.LBB40_304:
	s_mov_b32 s40, 0
.LBB40_305:
	s_delay_alu instid0(SALU_CYCLE_1)
	s_and_b32 vcc_lo, exec_lo, s40
	s_cbranch_vccz .LBB40_340
; %bb.306:
	s_cmp_gt_i32 s38, 22
	s_cbranch_scc0 .LBB40_316
; %bb.307:
	s_cmp_lt_i32 s38, 24
	s_cbranch_scc1 .LBB40_319
; %bb.308:
	s_cmp_gt_i32 s38, 24
	s_cbranch_scc0 .LBB40_320
; %bb.309:
	global_load_u8 v3, v[4:5], off
	s_mov_b32 s39, 0
	s_mov_b32 s40, exec_lo
	s_wait_loadcnt 0x0
	v_cmpx_lt_i16_e32 0x7f, v3
	s_xor_b32 s40, exec_lo, s40
	s_cbranch_execz .LBB40_332
; %bb.310:
	s_mov_b32 s39, -1
	s_mov_b32 s42, exec_lo
	v_cmpx_eq_u16_e32 0x80, v3
; %bb.311:
	s_xor_b32 s39, exec_lo, -1
; %bb.312:
	s_or_b32 exec_lo, exec_lo, s42
	s_delay_alu instid0(SALU_CYCLE_1)
	s_and_b32 s39, s39, exec_lo
	s_or_saveexec_b32 s40, s40
	v_mov_b32_e32 v6, 0x7f800001
	s_xor_b32 exec_lo, exec_lo, s40
	s_cbranch_execnz .LBB40_333
.LBB40_313:
	s_or_b32 exec_lo, exec_lo, s40
	s_and_saveexec_b32 s40, s39
	s_cbranch_execz .LBB40_315
.LBB40_314:
	v_and_b32_e32 v6, 0xffff, v3
	s_delay_alu instid0(VALU_DEP_1) | instskip(SKIP_1) | instid1(VALU_DEP_2)
	v_and_b32_e32 v7, 3, v6
	v_bfe_u32 v10, v6, 2, 5
	v_clz_i32_u32_e32 v8, v7
	s_delay_alu instid0(VALU_DEP_2) | instskip(NEXT) | instid1(VALU_DEP_2)
	v_cmp_eq_u32_e32 vcc_lo, 0, v10
	v_min_u32_e32 v8, 32, v8
	s_delay_alu instid0(VALU_DEP_1) | instskip(NEXT) | instid1(VALU_DEP_1)
	v_subrev_nc_u32_e32 v9, 29, v8
	v_dual_lshlrev_b32 v6, v9, v6 :: v_dual_sub_nc_u32 v8, 30, v8
	s_delay_alu instid0(VALU_DEP_1) | instskip(NEXT) | instid1(VALU_DEP_1)
	v_dual_lshlrev_b32 v3, 24, v3 :: v_dual_bitop2_b32 v6, 3, v6 bitop3:0x40
	v_dual_cndmask_b32 v8, v10, v8, vcc_lo :: v_dual_cndmask_b32 v6, v7, v6, vcc_lo
	s_delay_alu instid0(VALU_DEP_2) | instskip(NEXT) | instid1(VALU_DEP_2)
	v_and_b32_e32 v3, 0x80000000, v3
	v_lshl_add_u32 v7, v8, 23, 0x37800000
	s_delay_alu instid0(VALU_DEP_3) | instskip(NEXT) | instid1(VALU_DEP_1)
	v_lshlrev_b32_e32 v6, 21, v6
	v_or3_b32 v6, v3, v7, v6
.LBB40_315:
	s_or_b32 exec_lo, exec_lo, s40
	s_mov_b32 s39, 0
	s_branch .LBB40_321
.LBB40_316:
	s_mov_b32 s40, -1
                                        ; implicit-def: $vgpr6
	s_branch .LBB40_327
.LBB40_317:
	s_or_saveexec_b32 s40, s40
	v_mov_b32_e32 v6, 0x7f800001
	s_xor_b32 exec_lo, exec_lo, s40
	s_cbranch_execz .LBB40_300
.LBB40_318:
	v_cmp_ne_u16_e32 vcc_lo, 0, v3
	v_mov_b32_e32 v6, 0
	s_and_not1_b32 s39, s39, exec_lo
	s_and_b32 s42, vcc_lo, exec_lo
	s_delay_alu instid0(SALU_CYCLE_1)
	s_or_b32 s39, s39, s42
	s_or_b32 exec_lo, exec_lo, s40
	s_and_saveexec_b32 s40, s39
	s_cbranch_execnz .LBB40_301
	s_branch .LBB40_302
.LBB40_319:
	s_mov_b32 s39, -1
                                        ; implicit-def: $vgpr6
	s_branch .LBB40_324
.LBB40_320:
	s_mov_b32 s39, -1
                                        ; implicit-def: $vgpr6
.LBB40_321:
	s_delay_alu instid0(SALU_CYCLE_1)
	s_and_b32 vcc_lo, exec_lo, s39
	s_cbranch_vccz .LBB40_323
; %bb.322:
	global_load_u8 v3, v[4:5], off
	s_wait_loadcnt 0x0
	v_lshlrev_b32_e32 v3, 24, v3
	s_delay_alu instid0(VALU_DEP_1) | instskip(NEXT) | instid1(VALU_DEP_1)
	v_and_b32_e32 v6, 0x7f000000, v3
	v_clz_i32_u32_e32 v7, v6
	v_cmp_ne_u32_e32 vcc_lo, 0, v6
	v_add_nc_u32_e32 v9, 0x1000000, v6
	s_delay_alu instid0(VALU_DEP_3) | instskip(NEXT) | instid1(VALU_DEP_1)
	v_min_u32_e32 v7, 32, v7
	v_sub_nc_u32_e64 v7, v7, 4 clamp
	s_delay_alu instid0(VALU_DEP_1) | instskip(NEXT) | instid1(VALU_DEP_1)
	v_dual_lshlrev_b32 v8, v7, v6 :: v_dual_lshlrev_b32 v7, 23, v7
	v_lshrrev_b32_e32 v8, 4, v8
	s_delay_alu instid0(VALU_DEP_1) | instskip(NEXT) | instid1(VALU_DEP_1)
	v_dual_sub_nc_u32 v7, v8, v7 :: v_dual_ashrrev_i32 v8, 8, v9
	v_add_nc_u32_e32 v7, 0x3c000000, v7
	s_delay_alu instid0(VALU_DEP_1) | instskip(NEXT) | instid1(VALU_DEP_1)
	v_and_or_b32 v7, 0x7f800000, v8, v7
	v_cndmask_b32_e32 v6, 0, v7, vcc_lo
	s_delay_alu instid0(VALU_DEP_1)
	v_and_or_b32 v6, 0x80000000, v3, v6
.LBB40_323:
	s_mov_b32 s39, 0
.LBB40_324:
	s_delay_alu instid0(SALU_CYCLE_1)
	s_and_not1_b32 vcc_lo, exec_lo, s39
	s_cbranch_vccnz .LBB40_326
; %bb.325:
	global_load_u8 v3, v[4:5], off
	s_wait_loadcnt 0x0
	v_lshlrev_b32_e32 v6, 25, v3
	v_lshlrev_b16 v3, 8, v3
	s_delay_alu instid0(VALU_DEP_1) | instskip(SKIP_1) | instid1(VALU_DEP_2)
	v_and_or_b32 v8, 0x7f00, v3, 0.5
	v_bfe_i32 v3, v3, 0, 16
	v_dual_add_f32 v8, -0.5, v8 :: v_dual_lshrrev_b32 v7, 4, v6
	v_cmp_gt_u32_e32 vcc_lo, 0x8000000, v6
	s_delay_alu instid0(VALU_DEP_2) | instskip(NEXT) | instid1(VALU_DEP_1)
	v_or_b32_e32 v7, 0x70000000, v7
	v_mul_f32_e32 v7, 0x7800000, v7
	s_delay_alu instid0(VALU_DEP_1) | instskip(NEXT) | instid1(VALU_DEP_1)
	v_cndmask_b32_e32 v6, v7, v8, vcc_lo
	v_and_or_b32 v6, 0x80000000, v3, v6
.LBB40_326:
	s_mov_b32 s40, 0
	s_mov_b32 s39, -1
.LBB40_327:
	s_and_not1_b32 vcc_lo, exec_lo, s40
	s_cbranch_vccnz .LBB40_340
; %bb.328:
	s_cmp_gt_i32 s38, 14
	s_cbranch_scc0 .LBB40_331
; %bb.329:
	s_cmp_eq_u32 s38, 15
	s_cbranch_scc0 .LBB40_334
; %bb.330:
	global_load_u16 v3, v[4:5], off
	s_mov_b32 s39, -1
	s_mov_b32 s25, 0
	s_wait_loadcnt 0x0
	v_lshlrev_b32_e32 v6, 16, v3
	s_branch .LBB40_335
.LBB40_331:
	s_mov_b32 s40, -1
                                        ; implicit-def: $vgpr6
	s_branch .LBB40_336
.LBB40_332:
	s_or_saveexec_b32 s40, s40
	v_mov_b32_e32 v6, 0x7f800001
	s_xor_b32 exec_lo, exec_lo, s40
	s_cbranch_execz .LBB40_313
.LBB40_333:
	v_cmp_ne_u16_e32 vcc_lo, 0, v3
	v_mov_b32_e32 v6, 0
	s_and_not1_b32 s39, s39, exec_lo
	s_and_b32 s42, vcc_lo, exec_lo
	s_delay_alu instid0(SALU_CYCLE_1)
	s_or_b32 s39, s39, s42
	s_or_b32 exec_lo, exec_lo, s40
	s_and_saveexec_b32 s40, s39
	s_cbranch_execnz .LBB40_314
	s_branch .LBB40_315
.LBB40_334:
	s_mov_b32 s25, -1
                                        ; implicit-def: $vgpr6
.LBB40_335:
	s_mov_b32 s40, 0
.LBB40_336:
	s_delay_alu instid0(SALU_CYCLE_1)
	s_and_b32 vcc_lo, exec_lo, s40
	s_cbranch_vccz .LBB40_340
; %bb.337:
	s_cmp_eq_u32 s38, 11
	s_cbranch_scc0 .LBB40_339
; %bb.338:
	global_load_u8 v3, v[4:5], off
	s_mov_b32 s25, 0
	s_mov_b32 s39, -1
	s_wait_loadcnt 0x0
	v_cmp_ne_u16_e32 vcc_lo, 0, v3
	v_cndmask_b32_e64 v6, 0, 1.0, vcc_lo
	s_branch .LBB40_340
.LBB40_339:
	s_mov_b32 s25, -1
                                        ; implicit-def: $vgpr6
.LBB40_340:
	s_branch .LBB40_31
.LBB40_341:
	s_and_b32 s0, 0xffff, s0
	s_delay_alu instid0(SALU_CYCLE_1)
	s_cmp_lt_i32 s0, 5
	s_cbranch_scc1 .LBB40_346
; %bb.342:
	s_cmp_lt_i32 s0, 8
	s_cbranch_scc1 .LBB40_347
; %bb.343:
	;; [unrolled: 3-line block ×3, first 2 shown]
	s_cmp_gt_i32 s0, 9
	s_cbranch_scc0 .LBB40_349
; %bb.345:
	global_load_b64 v[6:7], v[4:5], off
	s_mov_b32 s38, 0
	s_wait_loadcnt 0x0
	v_cvt_f32_f64_e32 v6, v[6:7]
	s_branch .LBB40_350
.LBB40_346:
	s_mov_b32 s38, -1
                                        ; implicit-def: $vgpr6
	s_branch .LBB40_368
.LBB40_347:
	s_mov_b32 s38, -1
                                        ; implicit-def: $vgpr6
	s_branch .LBB40_356
.LBB40_348:
	s_mov_b32 s38, -1
                                        ; implicit-def: $vgpr6
	s_branch .LBB40_353
.LBB40_349:
	s_mov_b32 s38, -1
                                        ; implicit-def: $vgpr6
.LBB40_350:
	s_delay_alu instid0(SALU_CYCLE_1)
	s_and_not1_b32 vcc_lo, exec_lo, s38
	s_cbranch_vccnz .LBB40_352
; %bb.351:
	global_load_b32 v6, v[4:5], off
.LBB40_352:
	s_mov_b32 s38, 0
.LBB40_353:
	s_delay_alu instid0(SALU_CYCLE_1)
	s_and_not1_b32 vcc_lo, exec_lo, s38
	s_cbranch_vccnz .LBB40_355
; %bb.354:
	global_load_b32 v3, v[4:5], off
	s_wait_loadcnt 0x0
	v_cvt_f32_f16_e32 v6, v3
.LBB40_355:
	s_mov_b32 s38, 0
.LBB40_356:
	s_delay_alu instid0(SALU_CYCLE_1)
	s_and_not1_b32 vcc_lo, exec_lo, s38
	s_cbranch_vccnz .LBB40_367
; %bb.357:
	s_cmp_lt_i32 s0, 6
	s_cbranch_scc1 .LBB40_360
; %bb.358:
	s_cmp_gt_i32 s0, 6
	s_cbranch_scc0 .LBB40_361
; %bb.359:
	s_wait_loadcnt 0x0
	global_load_b64 v[6:7], v[4:5], off
	s_mov_b32 s38, 0
	s_wait_loadcnt 0x0
	v_cvt_f32_f64_e32 v6, v[6:7]
	s_branch .LBB40_362
.LBB40_360:
	s_mov_b32 s38, -1
                                        ; implicit-def: $vgpr6
	s_branch .LBB40_365
.LBB40_361:
	s_mov_b32 s38, -1
                                        ; implicit-def: $vgpr6
.LBB40_362:
	s_delay_alu instid0(SALU_CYCLE_1)
	s_and_not1_b32 vcc_lo, exec_lo, s38
	s_cbranch_vccnz .LBB40_364
; %bb.363:
	s_wait_loadcnt 0x0
	global_load_b32 v6, v[4:5], off
.LBB40_364:
	s_mov_b32 s38, 0
.LBB40_365:
	s_delay_alu instid0(SALU_CYCLE_1)
	s_and_not1_b32 vcc_lo, exec_lo, s38
	s_cbranch_vccnz .LBB40_367
; %bb.366:
	global_load_u16 v3, v[4:5], off
	s_wait_loadcnt 0x0
	v_cvt_f32_f16_e32 v6, v3
.LBB40_367:
	s_mov_b32 s38, 0
.LBB40_368:
	s_delay_alu instid0(SALU_CYCLE_1)
	s_and_not1_b32 vcc_lo, exec_lo, s38
	s_cbranch_vccnz .LBB40_388
; %bb.369:
	s_cmp_lt_i32 s0, 2
	s_cbranch_scc1 .LBB40_373
; %bb.370:
	s_cmp_lt_i32 s0, 3
	s_cbranch_scc1 .LBB40_374
; %bb.371:
	s_cmp_gt_i32 s0, 3
	s_cbranch_scc0 .LBB40_375
; %bb.372:
	s_wait_loadcnt 0x0
	global_load_b64 v[6:7], v[4:5], off
	s_mov_b32 s38, 0
	s_wait_loadcnt 0x0
	v_xor_b32_e32 v3, v6, v7
	v_cls_i32_e32 v8, v7
	s_delay_alu instid0(VALU_DEP_2) | instskip(NEXT) | instid1(VALU_DEP_1)
	v_ashrrev_i32_e32 v3, 31, v3
	v_add_nc_u32_e32 v3, 32, v3
	s_delay_alu instid0(VALU_DEP_1) | instskip(NEXT) | instid1(VALU_DEP_1)
	v_add_min_u32_e64 v3, v8, -1, v3
	v_lshlrev_b64_e32 v[6:7], v3, v[6:7]
	v_sub_nc_u32_e32 v3, 32, v3
	s_delay_alu instid0(VALU_DEP_2) | instskip(NEXT) | instid1(VALU_DEP_1)
	v_min_u32_e32 v6, 1, v6
	v_or_b32_e32 v6, v7, v6
	s_delay_alu instid0(VALU_DEP_1) | instskip(NEXT) | instid1(VALU_DEP_1)
	v_cvt_f32_i32_e32 v6, v6
	v_ldexp_f32 v6, v6, v3
	s_branch .LBB40_376
.LBB40_373:
	s_mov_b32 s38, -1
                                        ; implicit-def: $vgpr6
	s_branch .LBB40_382
.LBB40_374:
	s_mov_b32 s38, -1
                                        ; implicit-def: $vgpr6
	s_branch .LBB40_379
.LBB40_375:
	s_mov_b32 s38, -1
                                        ; implicit-def: $vgpr6
.LBB40_376:
	s_delay_alu instid0(SALU_CYCLE_1)
	s_and_not1_b32 vcc_lo, exec_lo, s38
	s_cbranch_vccnz .LBB40_378
; %bb.377:
	global_load_b32 v3, v[4:5], off
	s_wait_loadcnt 0x0
	v_cvt_f32_i32_e32 v6, v3
.LBB40_378:
	s_mov_b32 s38, 0
.LBB40_379:
	s_delay_alu instid0(SALU_CYCLE_1)
	s_and_not1_b32 vcc_lo, exec_lo, s38
	s_cbranch_vccnz .LBB40_381
; %bb.380:
	global_load_i16 v3, v[4:5], off
	s_wait_loadcnt 0x0
	v_cvt_f32_i32_e32 v6, v3
.LBB40_381:
	s_mov_b32 s38, 0
.LBB40_382:
	s_delay_alu instid0(SALU_CYCLE_1)
	s_and_not1_b32 vcc_lo, exec_lo, s38
	s_cbranch_vccnz .LBB40_388
; %bb.383:
	s_cmp_gt_i32 s0, 0
	s_mov_b32 s0, 0
	s_cbranch_scc0 .LBB40_385
; %bb.384:
	global_load_i8 v3, v[4:5], off
	s_wait_loadcnt 0x0
	v_cvt_f32_i32_e32 v6, v3
	s_branch .LBB40_386
.LBB40_385:
	s_mov_b32 s0, -1
                                        ; implicit-def: $vgpr6
.LBB40_386:
	s_delay_alu instid0(SALU_CYCLE_1)
	s_and_not1_b32 vcc_lo, exec_lo, s0
	s_cbranch_vccnz .LBB40_388
; %bb.387:
	global_load_u8 v3, v[4:5], off
	s_wait_loadcnt 0x0
	v_cvt_f32_ubyte0_e32 v6, v3
.LBB40_388:
	s_branch .LBB40_32
.LBB40_389:
	s_mov_b32 s0, 0
.LBB40_390:
	s_mov_b32 s42, 0
                                        ; implicit-def: $vgpr0
.LBB40_391:
	s_and_b32 s38, s0, exec_lo
	s_and_b32 s39, s25, exec_lo
	;; [unrolled: 1-line block ×3, first 2 shown]
	s_or_not1_b32 s25, s42, exec_lo
.LBB40_392:
	s_wait_xcnt 0x0
	s_or_b32 exec_lo, exec_lo, s41
	s_mov_b32 s43, 0
	s_mov_b32 s24, 0
                                        ; implicit-def: $sgpr0
                                        ; implicit-def: $vgpr6_vgpr7
                                        ; implicit-def: $vgpr4
                                        ; implicit-def: $vgpr2
                                        ; implicit-def: $vgpr8
	s_and_saveexec_b32 s41, s25
	s_cbranch_execz .LBB40_400
; %bb.393:
	s_mov_b32 s47, -1
	s_mov_b32 s42, s40
	s_mov_b32 s44, s39
	s_mov_b32 s43, s38
	s_mov_b32 s45, exec_lo
	v_cmpx_gt_i32_e64 s36, v0
	s_cbranch_execz .LBB40_720
; %bb.394:
	s_and_not1_b32 vcc_lo, exec_lo, s29
	s_cbranch_vccnz .LBB40_403
; %bb.395:
	s_and_not1_b32 vcc_lo, exec_lo, s37
	s_cbranch_vccnz .LBB40_404
; %bb.396:
	s_wait_loadcnt 0x0
	v_dual_mov_b32 v2, 0 :: v_dual_mov_b32 v1, v0
	v_dual_mov_b32 v6, 0 :: v_dual_mov_b32 v4, 0
	s_add_co_i32 s0, s35, 1
	s_mov_b64 s[24:25], 0xffffffffffffffe8
	s_and_b32 s0, s0, 30
	s_add_nc_u64 s[24:25], s[2:3], s[24:25]
.LBB40_397:                             ; =>This Inner Loop Header: Depth=1
	s_clause 0x3
	s_load_b128 s[48:51], s[24:25], 0x1c
	s_load_b64 s[42:43], s[24:25], 0x2c
	s_load_b128 s[52:55], s[24:25], 0xdc
	s_load_b64 s[46:47], s[24:25], 0xec
	s_add_co_i32 s0, s0, -2
	s_wait_xcnt 0x0
	s_add_nc_u64 s[24:25], s[24:25], 24
	s_cmp_eq_u32 s0, 0
	s_wait_kmcnt 0x0
	v_mul_hi_u32 v3, s49, v1
	s_delay_alu instid0(VALU_DEP_1) | instskip(NEXT) | instid1(VALU_DEP_1)
	v_add_nc_u32_e32 v3, v1, v3
	v_lshrrev_b32_e32 v3, s50, v3
	s_delay_alu instid0(VALU_DEP_1) | instskip(SKIP_1) | instid1(VALU_DEP_1)
	v_mul_hi_u32 v5, s42, v3
	v_mul_lo_u32 v7, v3, s48
	v_dual_add_nc_u32 v5, v3, v5 :: v_dual_sub_nc_u32 v7, v1, v7
	s_delay_alu instid0(VALU_DEP_1) | instskip(NEXT) | instid1(VALU_DEP_2)
	v_lshrrev_b32_e32 v1, s43, v5
	v_mad_u32 v2, v7, s52, v2
	v_mad_u32 v4, v7, s54, v4
	;; [unrolled: 1-line block ×3, first 2 shown]
	s_delay_alu instid0(VALU_DEP_4) | instskip(NEXT) | instid1(VALU_DEP_1)
	v_mul_lo_u32 v5, v1, s51
	v_sub_nc_u32_e32 v3, v3, v5
	s_delay_alu instid0(VALU_DEP_1)
	v_mad_u32 v2, v3, s55, v2
	v_mad_u32 v4, v3, s47, v4
	v_mad_u32 v6, v3, s46, v6
	s_cbranch_scc0 .LBB40_397
; %bb.398:
	s_bitcmp1_b32 s35, 0
	s_cselect_b32 s0, -1, 0
	s_delay_alu instid0(SALU_CYCLE_1)
	s_and_b32 vcc_lo, exec_lo, s0
	s_cbranch_vccnz .LBB40_405
; %bb.399:
	s_clause 0x1
	s_load_b96 s[48:50], s[24:25], 0x1c
	s_load_b96 s[52:54], s[24:25], 0xdc
	s_wait_kmcnt 0x0
	v_mul_hi_u32 v3, s49, v1
	s_delay_alu instid0(VALU_DEP_1) | instskip(NEXT) | instid1(VALU_DEP_1)
	v_add_nc_u32_e32 v3, v1, v3
	v_lshrrev_b32_e32 v3, s50, v3
	s_delay_alu instid0(VALU_DEP_1) | instskip(NEXT) | instid1(VALU_DEP_1)
	v_mul_lo_u32 v3, v3, s48
	v_sub_nc_u32_e32 v1, v1, v3
	s_delay_alu instid0(VALU_DEP_1)
	v_mad_u32 v2, v1, s52, v2
	v_mad_u32 v6, v1, s53, v6
	;; [unrolled: 1-line block ×3, first 2 shown]
	s_branch .LBB40_405
.LBB40_400:
	s_or_b32 exec_lo, exec_lo, s41
	s_mov_b32 s1, 0
	s_and_saveexec_b32 s6, s40
	s_cbranch_execnz .LBB40_1294
.LBB40_401:
	s_or_b32 exec_lo, exec_lo, s6
	s_and_saveexec_b32 s6, s19
	s_delay_alu instid0(SALU_CYCLE_1)
	s_xor_b32 s6, exec_lo, s6
	s_cbranch_execz .LBB40_1295
.LBB40_402:
	s_wait_loadcnt 0x0
	global_load_u8 v0, v[6:7], off
	s_or_b32 s24, s24, exec_lo
	s_wait_loadcnt 0x0
	v_cmp_ne_u16_e32 vcc_lo, 0, v0
	v_cndmask_b32_e64 v8, 0, 1.0, vcc_lo
	s_wait_xcnt 0x0
	s_or_b32 exec_lo, exec_lo, s6
	s_and_saveexec_b32 s6, s43
	s_cbranch_execz .LBB40_1341
	s_branch .LBB40_1296
.LBB40_403:
                                        ; implicit-def: $vgpr4
                                        ; implicit-def: $vgpr6
                                        ; implicit-def: $vgpr2
	s_branch .LBB40_406
.LBB40_404:
	s_wait_loadcnt 0x0
	v_dual_mov_b32 v4, 0 :: v_dual_mov_b32 v6, 0
	v_mov_b32_e32 v2, 0
.LBB40_405:
	s_cbranch_execnz .LBB40_408
.LBB40_406:
	s_wait_loadcnt 0x0
	v_mov_b32_e32 v1, 0
	s_and_not1_b32 vcc_lo, exec_lo, s34
	s_delay_alu instid0(VALU_DEP_1) | instskip(NEXT) | instid1(VALU_DEP_1)
	v_mul_u64_e32 v[2:3], s[18:19], v[0:1]
	v_add_nc_u32_e32 v2, v0, v3
	s_delay_alu instid0(VALU_DEP_1) | instskip(NEXT) | instid1(VALU_DEP_1)
	v_lshrrev_b32_e32 v8, s10, v2
	v_mul_lo_u32 v2, v8, s8
	s_delay_alu instid0(VALU_DEP_1) | instskip(NEXT) | instid1(VALU_DEP_1)
	v_sub_nc_u32_e32 v3, v0, v2
	v_mul_lo_u32 v2, v3, s12
	v_mul_lo_u32 v4, v3, s14
	v_mul_lo_u32 v6, v3, s13
	s_cbranch_vccnz .LBB40_408
; %bb.407:
	v_mov_b32_e32 v9, v1
	s_delay_alu instid0(VALU_DEP_1) | instskip(NEXT) | instid1(VALU_DEP_1)
	v_mul_u64_e32 v[10:11], s[22:23], v[8:9]
	v_add_nc_u32_e32 v1, v8, v11
	s_delay_alu instid0(VALU_DEP_1) | instskip(NEXT) | instid1(VALU_DEP_1)
	v_lshrrev_b32_e32 v1, s1, v1
	v_mul_lo_u32 v1, v1, s11
	s_delay_alu instid0(VALU_DEP_1) | instskip(NEXT) | instid1(VALU_DEP_1)
	v_sub_nc_u32_e32 v1, v8, v1
	v_mad_u32 v2, v1, s15, v2
	v_mad_u32 v6, v1, s20, v6
	;; [unrolled: 1-line block ×3, first 2 shown]
.LBB40_408:
	v_mov_b32_e32 v7, 0
	s_and_b32 s0, s33, 0xff
	s_delay_alu instid0(SALU_CYCLE_1) | instskip(SKIP_1) | instid1(VALU_DEP_1)
	s_cmp_lt_i32 s0, 11
	s_wait_loadcnt 0x0
	v_add_nc_u64_e32 v[6:7], s[6:7], v[6:7]
	s_cbranch_scc1 .LBB40_415
; %bb.409:
	s_and_b32 s25, 0xffff, s0
	s_delay_alu instid0(SALU_CYCLE_1)
	s_cmp_gt_i32 s25, 25
	s_cbranch_scc0 .LBB40_424
; %bb.410:
	s_cmp_gt_i32 s25, 28
	s_cbranch_scc0 .LBB40_426
; %bb.411:
	;; [unrolled: 3-line block ×4, first 2 shown]
	s_cmp_eq_u32 s25, 46
	s_mov_b32 s43, 0
	s_cbranch_scc0 .LBB40_434
; %bb.414:
	global_load_b32 v1, v[6:7], off
	s_mov_b32 s42, -1
	s_mov_b32 s24, 0
	s_wait_loadcnt 0x0
	v_lshlrev_b32_e32 v1, 16, v1
	s_branch .LBB40_436
.LBB40_415:
	s_mov_b32 s42, 0
	s_mov_b32 s24, s40
                                        ; implicit-def: $vgpr1
	s_cbranch_execnz .LBB40_502
.LBB40_416:
	s_and_not1_b32 vcc_lo, exec_lo, s42
	s_cbranch_vccnz .LBB40_550
.LBB40_417:
	v_mov_b32_e32 v5, 0
	s_and_b32 s0, s9, 0xff
	s_delay_alu instid0(SALU_CYCLE_1) | instskip(NEXT) | instid1(VALU_DEP_1)
	s_cmp_lt_i32 s0, 11
	v_add_nc_u64_e32 v[4:5], s[16:17], v[4:5]
	s_cbranch_scc1 .LBB40_425
; %bb.418:
	s_and_b32 s42, 0xffff, s0
	s_delay_alu instid0(SALU_CYCLE_1)
	s_cmp_gt_i32 s42, 25
	s_cbranch_scc0 .LBB40_427
; %bb.419:
	s_cmp_gt_i32 s42, 28
	s_cbranch_scc0 .LBB40_429
; %bb.420:
	;; [unrolled: 3-line block ×4, first 2 shown]
	s_cmp_eq_u32 s42, 46
	s_mov_b32 s44, 0
	s_cbranch_scc0 .LBB40_553
; %bb.423:
	global_load_b32 v3, v[4:5], off
	s_mov_b32 s43, -1
	s_mov_b32 s25, 0
	s_wait_loadcnt 0x0
	s_wait_xcnt 0x1
	v_lshlrev_b32_e32 v6, 16, v3
	s_branch .LBB40_555
.LBB40_424:
	s_mov_b32 s43, -1
	s_mov_b32 s42, 0
	s_mov_b32 s24, s40
                                        ; implicit-def: $vgpr1
	s_branch .LBB40_466
.LBB40_425:
	s_mov_b32 s42, -1
	s_mov_b32 s43, 0
	s_mov_b32 s25, s39
                                        ; implicit-def: $vgpr6
	s_branch .LBB40_620
.LBB40_426:
	s_mov_b32 s43, -1
	s_mov_b32 s42, 0
	s_mov_b32 s24, s40
                                        ; implicit-def: $vgpr1
	s_branch .LBB40_447
.LBB40_427:
	s_mov_b32 s44, -1
	s_mov_b32 s43, 0
	s_mov_b32 s25, s39
                                        ; implicit-def: $vgpr6
	s_branch .LBB40_584
.LBB40_428:
	s_mov_b32 s43, -1
	s_mov_b32 s42, 0
	s_mov_b32 s24, s40
                                        ; implicit-def: $vgpr1
	s_branch .LBB40_442
.LBB40_429:
	s_mov_b32 s44, -1
	s_mov_b32 s43, 0
	s_mov_b32 s25, s39
                                        ; implicit-def: $vgpr6
	s_branch .LBB40_565
.LBB40_430:
	s_mov_b32 s43, -1
	s_mov_b32 s42, 0
	s_mov_b32 s24, s40
	s_branch .LBB40_435
.LBB40_431:
	s_mov_b32 s44, -1
	s_mov_b32 s43, 0
	s_mov_b32 s25, s39
                                        ; implicit-def: $vgpr6
	s_branch .LBB40_560
.LBB40_432:
	s_and_not1_saveexec_b32 s43, s43
	s_cbranch_execz .LBB40_229
.LBB40_433:
	v_add_f32_e64 v1, 0x46000000, |v4|
	s_and_not1_b32 s42, s42, exec_lo
	s_delay_alu instid0(VALU_DEP_1) | instskip(NEXT) | instid1(VALU_DEP_1)
	v_and_b32_e32 v1, 0xff, v1
	v_cmp_ne_u32_e32 vcc_lo, 0, v1
	s_and_b32 s44, vcc_lo, exec_lo
	s_delay_alu instid0(SALU_CYCLE_1)
	s_or_b32 s42, s42, s44
	s_or_b32 exec_lo, exec_lo, s43
	v_mov_b32_e32 v5, 0
	s_and_saveexec_b32 s43, s42
	s_cbranch_execnz .LBB40_230
	s_branch .LBB40_231
.LBB40_434:
	s_mov_b32 s24, -1
	s_mov_b32 s42, 0
.LBB40_435:
                                        ; implicit-def: $vgpr1
.LBB40_436:
	s_and_b32 vcc_lo, exec_lo, s43
	s_cbranch_vccz .LBB40_441
; %bb.437:
	s_cmp_eq_u32 s25, 44
	s_cbranch_scc0 .LBB40_440
; %bb.438:
	global_load_u8 v1, v[6:7], off
	s_mov_b32 s24, 0
	s_mov_b32 s42, -1
	s_wait_loadcnt 0x0
	v_lshlrev_b32_e32 v3, 23, v1
	v_cmp_ne_u32_e32 vcc_lo, 0xff, v1
	s_delay_alu instid0(VALU_DEP_2) | instskip(SKIP_1) | instid1(VALU_DEP_2)
	v_cndmask_b32_e32 v3, 0x7f800001, v3, vcc_lo
	v_cmp_ne_u32_e32 vcc_lo, 0, v1
	v_cndmask_b32_e32 v1, 0x400000, v3, vcc_lo
	s_branch .LBB40_441
.LBB40_439:
	s_mov_b32 s44, -1
	s_mov_b32 s43, 0
	s_mov_b32 s25, s39
	s_branch .LBB40_554
.LBB40_440:
	s_mov_b32 s24, -1
                                        ; implicit-def: $vgpr1
.LBB40_441:
	s_mov_b32 s43, 0
.LBB40_442:
	s_delay_alu instid0(SALU_CYCLE_1)
	s_and_b32 vcc_lo, exec_lo, s43
	s_cbranch_vccz .LBB40_446
; %bb.443:
	s_cmp_eq_u32 s25, 29
	s_cbranch_scc0 .LBB40_445
; %bb.444:
	global_load_b64 v[8:9], v[6:7], off
	s_mov_b32 s42, -1
	s_mov_b32 s24, 0
	s_mov_b32 s43, 0
	s_wait_loadcnt 0x0
	v_clz_i32_u32_e32 v1, v9
	s_delay_alu instid0(VALU_DEP_1) | instskip(NEXT) | instid1(VALU_DEP_1)
	v_min_u32_e32 v1, 32, v1
	v_lshlrev_b64_e32 v[8:9], v1, v[8:9]
	v_sub_nc_u32_e32 v1, 32, v1
	s_delay_alu instid0(VALU_DEP_2) | instskip(NEXT) | instid1(VALU_DEP_1)
	v_min_u32_e32 v3, 1, v8
	v_or_b32_e32 v3, v9, v3
	s_delay_alu instid0(VALU_DEP_1) | instskip(NEXT) | instid1(VALU_DEP_1)
	v_cvt_f32_u32_e32 v3, v3
	v_ldexp_f32 v1, v3, v1
	s_branch .LBB40_447
.LBB40_445:
	s_mov_b32 s24, -1
                                        ; implicit-def: $vgpr1
.LBB40_446:
	s_mov_b32 s43, 0
.LBB40_447:
	s_delay_alu instid0(SALU_CYCLE_1)
	s_and_b32 vcc_lo, exec_lo, s43
	s_cbranch_vccz .LBB40_465
; %bb.448:
	s_cmp_lt_i32 s25, 27
	s_cbranch_scc1 .LBB40_451
; %bb.449:
	s_cmp_gt_i32 s25, 27
	s_cbranch_scc0 .LBB40_452
; %bb.450:
	global_load_b32 v1, v[6:7], off
	s_mov_b32 s42, 0
	s_wait_loadcnt 0x0
	v_cvt_f32_u32_e32 v1, v1
	s_branch .LBB40_453
.LBB40_451:
	s_mov_b32 s42, -1
                                        ; implicit-def: $vgpr1
	s_branch .LBB40_456
.LBB40_452:
	s_mov_b32 s42, -1
                                        ; implicit-def: $vgpr1
.LBB40_453:
	s_delay_alu instid0(SALU_CYCLE_1)
	s_and_not1_b32 vcc_lo, exec_lo, s42
	s_cbranch_vccnz .LBB40_455
; %bb.454:
	global_load_u16 v1, v[6:7], off
	s_wait_loadcnt 0x0
	v_cvt_f32_u32_e32 v1, v1
.LBB40_455:
	s_mov_b32 s42, 0
.LBB40_456:
	s_delay_alu instid0(SALU_CYCLE_1)
	s_and_not1_b32 vcc_lo, exec_lo, s42
	s_cbranch_vccnz .LBB40_464
; %bb.457:
	global_load_u8 v3, v[6:7], off
	s_mov_b32 s42, 0
	s_mov_b32 s43, exec_lo
	s_wait_loadcnt 0x0
	v_cmpx_lt_i16_e32 0x7f, v3
	s_xor_b32 s43, exec_lo, s43
	s_cbranch_execz .LBB40_478
; %bb.458:
	s_mov_b32 s42, -1
	s_mov_b32 s44, exec_lo
	v_cmpx_eq_u16_e32 0x80, v3
; %bb.459:
	s_xor_b32 s42, exec_lo, -1
; %bb.460:
	s_or_b32 exec_lo, exec_lo, s44
	s_delay_alu instid0(SALU_CYCLE_1)
	s_and_b32 s42, s42, exec_lo
	s_or_saveexec_b32 s43, s43
	v_mov_b32_e32 v1, 0x7f800001
	s_xor_b32 exec_lo, exec_lo, s43
	s_cbranch_execnz .LBB40_479
.LBB40_461:
	s_or_b32 exec_lo, exec_lo, s43
	s_and_saveexec_b32 s43, s42
	s_cbranch_execz .LBB40_463
.LBB40_462:
	v_and_b32_e32 v1, 0xffff, v3
	s_delay_alu instid0(VALU_DEP_1) | instskip(SKIP_1) | instid1(VALU_DEP_2)
	v_and_b32_e32 v5, 7, v1
	v_bfe_u32 v10, v1, 3, 4
	v_clz_i32_u32_e32 v8, v5
	s_delay_alu instid0(VALU_DEP_2) | instskip(NEXT) | instid1(VALU_DEP_2)
	v_cmp_eq_u32_e32 vcc_lo, 0, v10
	v_min_u32_e32 v8, 32, v8
	s_delay_alu instid0(VALU_DEP_1) | instskip(NEXT) | instid1(VALU_DEP_1)
	v_subrev_nc_u32_e32 v9, 28, v8
	v_dual_lshlrev_b32 v1, v9, v1 :: v_dual_sub_nc_u32 v8, 29, v8
	s_delay_alu instid0(VALU_DEP_1) | instskip(NEXT) | instid1(VALU_DEP_1)
	v_dual_lshlrev_b32 v3, 24, v3 :: v_dual_bitop2_b32 v1, 7, v1 bitop3:0x40
	v_dual_cndmask_b32 v8, v10, v8 :: v_dual_cndmask_b32 v1, v5, v1
	s_delay_alu instid0(VALU_DEP_2) | instskip(NEXT) | instid1(VALU_DEP_2)
	v_and_b32_e32 v3, 0x80000000, v3
	v_lshl_add_u32 v5, v8, 23, 0x3b800000
	s_delay_alu instid0(VALU_DEP_3) | instskip(NEXT) | instid1(VALU_DEP_1)
	v_lshlrev_b32_e32 v1, 20, v1
	v_or3_b32 v1, v3, v5, v1
.LBB40_463:
	s_or_b32 exec_lo, exec_lo, s43
.LBB40_464:
	s_mov_b32 s42, -1
.LBB40_465:
	s_mov_b32 s43, 0
.LBB40_466:
	s_delay_alu instid0(SALU_CYCLE_1)
	s_and_b32 vcc_lo, exec_lo, s43
	s_cbranch_vccz .LBB40_501
; %bb.467:
	s_cmp_gt_i32 s25, 22
	s_cbranch_scc0 .LBB40_477
; %bb.468:
	s_cmp_lt_i32 s25, 24
	s_cbranch_scc1 .LBB40_480
; %bb.469:
	s_cmp_gt_i32 s25, 24
	s_cbranch_scc0 .LBB40_481
; %bb.470:
	global_load_u8 v3, v[6:7], off
	s_mov_b32 s42, 0
	s_mov_b32 s43, exec_lo
	s_wait_loadcnt 0x0
	v_cmpx_lt_i16_e32 0x7f, v3
	s_xor_b32 s43, exec_lo, s43
	s_cbranch_execz .LBB40_493
; %bb.471:
	s_mov_b32 s42, -1
	s_mov_b32 s44, exec_lo
	v_cmpx_eq_u16_e32 0x80, v3
; %bb.472:
	s_xor_b32 s42, exec_lo, -1
; %bb.473:
	s_or_b32 exec_lo, exec_lo, s44
	s_delay_alu instid0(SALU_CYCLE_1)
	s_and_b32 s42, s42, exec_lo
	s_or_saveexec_b32 s43, s43
	v_mov_b32_e32 v1, 0x7f800001
	s_xor_b32 exec_lo, exec_lo, s43
	s_cbranch_execnz .LBB40_494
.LBB40_474:
	s_or_b32 exec_lo, exec_lo, s43
	s_and_saveexec_b32 s43, s42
	s_cbranch_execz .LBB40_476
.LBB40_475:
	v_and_b32_e32 v1, 0xffff, v3
	s_delay_alu instid0(VALU_DEP_1) | instskip(SKIP_1) | instid1(VALU_DEP_2)
	v_and_b32_e32 v5, 3, v1
	v_bfe_u32 v10, v1, 2, 5
	v_clz_i32_u32_e32 v8, v5
	s_delay_alu instid0(VALU_DEP_2) | instskip(NEXT) | instid1(VALU_DEP_2)
	v_cmp_eq_u32_e32 vcc_lo, 0, v10
	v_min_u32_e32 v8, 32, v8
	s_delay_alu instid0(VALU_DEP_1) | instskip(NEXT) | instid1(VALU_DEP_1)
	v_subrev_nc_u32_e32 v9, 29, v8
	v_dual_lshlrev_b32 v1, v9, v1 :: v_dual_sub_nc_u32 v8, 30, v8
	s_delay_alu instid0(VALU_DEP_1) | instskip(NEXT) | instid1(VALU_DEP_1)
	v_dual_lshlrev_b32 v3, 24, v3 :: v_dual_bitop2_b32 v1, 3, v1 bitop3:0x40
	v_dual_cndmask_b32 v8, v10, v8 :: v_dual_cndmask_b32 v1, v5, v1
	s_delay_alu instid0(VALU_DEP_2) | instskip(NEXT) | instid1(VALU_DEP_2)
	v_and_b32_e32 v3, 0x80000000, v3
	v_lshl_add_u32 v5, v8, 23, 0x37800000
	s_delay_alu instid0(VALU_DEP_3) | instskip(NEXT) | instid1(VALU_DEP_1)
	v_lshlrev_b32_e32 v1, 21, v1
	v_or3_b32 v1, v3, v5, v1
.LBB40_476:
	s_or_b32 exec_lo, exec_lo, s43
	s_mov_b32 s42, 0
	s_branch .LBB40_482
.LBB40_477:
	s_mov_b32 s43, -1
                                        ; implicit-def: $vgpr1
	s_branch .LBB40_488
.LBB40_478:
	s_or_saveexec_b32 s43, s43
	v_mov_b32_e32 v1, 0x7f800001
	s_xor_b32 exec_lo, exec_lo, s43
	s_cbranch_execz .LBB40_461
.LBB40_479:
	v_cmp_ne_u16_e32 vcc_lo, 0, v3
	v_mov_b32_e32 v1, 0
	s_and_not1_b32 s42, s42, exec_lo
	s_and_b32 s44, vcc_lo, exec_lo
	s_delay_alu instid0(SALU_CYCLE_1)
	s_or_b32 s42, s42, s44
	s_or_b32 exec_lo, exec_lo, s43
	s_and_saveexec_b32 s43, s42
	s_cbranch_execnz .LBB40_462
	s_branch .LBB40_463
.LBB40_480:
	s_mov_b32 s42, -1
                                        ; implicit-def: $vgpr1
	s_branch .LBB40_485
.LBB40_481:
	s_mov_b32 s42, -1
                                        ; implicit-def: $vgpr1
.LBB40_482:
	s_delay_alu instid0(SALU_CYCLE_1)
	s_and_b32 vcc_lo, exec_lo, s42
	s_cbranch_vccz .LBB40_484
; %bb.483:
	global_load_u8 v1, v[6:7], off
	s_wait_loadcnt 0x0
	v_lshlrev_b32_e32 v1, 24, v1
	s_delay_alu instid0(VALU_DEP_1) | instskip(NEXT) | instid1(VALU_DEP_1)
	v_and_b32_e32 v3, 0x7f000000, v1
	v_clz_i32_u32_e32 v5, v3
	v_add_nc_u32_e32 v9, 0x1000000, v3
	v_cmp_ne_u32_e32 vcc_lo, 0, v3
	s_delay_alu instid0(VALU_DEP_3) | instskip(NEXT) | instid1(VALU_DEP_1)
	v_min_u32_e32 v5, 32, v5
	v_sub_nc_u32_e64 v5, v5, 4 clamp
	s_delay_alu instid0(VALU_DEP_1) | instskip(NEXT) | instid1(VALU_DEP_1)
	v_dual_lshlrev_b32 v8, v5, v3 :: v_dual_lshlrev_b32 v5, 23, v5
	v_lshrrev_b32_e32 v8, 4, v8
	s_delay_alu instid0(VALU_DEP_1) | instskip(SKIP_1) | instid1(VALU_DEP_2)
	v_sub_nc_u32_e32 v5, v8, v5
	v_ashrrev_i32_e32 v8, 8, v9
	v_add_nc_u32_e32 v5, 0x3c000000, v5
	s_delay_alu instid0(VALU_DEP_1) | instskip(NEXT) | instid1(VALU_DEP_1)
	v_and_or_b32 v5, 0x7f800000, v8, v5
	v_cndmask_b32_e32 v3, 0, v5, vcc_lo
	s_delay_alu instid0(VALU_DEP_1)
	v_and_or_b32 v1, 0x80000000, v1, v3
.LBB40_484:
	s_mov_b32 s42, 0
.LBB40_485:
	s_delay_alu instid0(SALU_CYCLE_1)
	s_and_not1_b32 vcc_lo, exec_lo, s42
	s_cbranch_vccnz .LBB40_487
; %bb.486:
	global_load_u8 v1, v[6:7], off
	s_wait_loadcnt 0x0
	v_lshlrev_b32_e32 v3, 25, v1
	v_lshlrev_b16 v1, 8, v1
	s_delay_alu instid0(VALU_DEP_1) | instskip(SKIP_1) | instid1(VALU_DEP_2)
	v_and_or_b32 v8, 0x7f00, v1, 0.5
	v_bfe_i32 v1, v1, 0, 16
	v_dual_add_f32 v8, -0.5, v8 :: v_dual_lshrrev_b32 v5, 4, v3
	v_cmp_gt_u32_e32 vcc_lo, 0x8000000, v3
	s_delay_alu instid0(VALU_DEP_2) | instskip(NEXT) | instid1(VALU_DEP_1)
	v_or_b32_e32 v5, 0x70000000, v5
	v_mul_f32_e32 v5, 0x7800000, v5
	s_delay_alu instid0(VALU_DEP_1) | instskip(NEXT) | instid1(VALU_DEP_1)
	v_cndmask_b32_e32 v3, v5, v8, vcc_lo
	v_and_or_b32 v1, 0x80000000, v1, v3
.LBB40_487:
	s_mov_b32 s43, 0
	s_mov_b32 s42, -1
.LBB40_488:
	s_and_not1_b32 vcc_lo, exec_lo, s43
	s_cbranch_vccnz .LBB40_501
; %bb.489:
	s_cmp_gt_i32 s25, 14
	s_cbranch_scc0 .LBB40_492
; %bb.490:
	s_cmp_eq_u32 s25, 15
	s_cbranch_scc0 .LBB40_495
; %bb.491:
	global_load_u16 v1, v[6:7], off
	s_mov_b32 s42, -1
	s_mov_b32 s24, 0
	s_wait_loadcnt 0x0
	v_lshlrev_b32_e32 v1, 16, v1
	s_branch .LBB40_496
.LBB40_492:
	s_mov_b32 s43, -1
                                        ; implicit-def: $vgpr1
	s_branch .LBB40_497
.LBB40_493:
	s_or_saveexec_b32 s43, s43
	v_mov_b32_e32 v1, 0x7f800001
	s_xor_b32 exec_lo, exec_lo, s43
	s_cbranch_execz .LBB40_474
.LBB40_494:
	v_cmp_ne_u16_e32 vcc_lo, 0, v3
	v_mov_b32_e32 v1, 0
	s_and_not1_b32 s42, s42, exec_lo
	s_and_b32 s44, vcc_lo, exec_lo
	s_delay_alu instid0(SALU_CYCLE_1)
	s_or_b32 s42, s42, s44
	s_or_b32 exec_lo, exec_lo, s43
	s_and_saveexec_b32 s43, s42
	s_cbranch_execnz .LBB40_475
	s_branch .LBB40_476
.LBB40_495:
	s_mov_b32 s24, -1
                                        ; implicit-def: $vgpr1
.LBB40_496:
	s_mov_b32 s43, 0
.LBB40_497:
	s_delay_alu instid0(SALU_CYCLE_1)
	s_and_b32 vcc_lo, exec_lo, s43
	s_cbranch_vccz .LBB40_501
; %bb.498:
	s_cmp_eq_u32 s25, 11
	s_cbranch_scc0 .LBB40_500
; %bb.499:
	global_load_u8 v1, v[6:7], off
	s_mov_b32 s24, 0
	s_mov_b32 s42, -1
	s_wait_loadcnt 0x0
	v_cmp_ne_u16_e32 vcc_lo, 0, v1
	v_cndmask_b32_e64 v1, 0, 1.0, vcc_lo
	s_branch .LBB40_501
.LBB40_500:
	s_mov_b32 s24, -1
                                        ; implicit-def: $vgpr1
.LBB40_501:
	s_branch .LBB40_416
.LBB40_502:
	s_and_b32 s0, 0xffff, s0
	s_delay_alu instid0(SALU_CYCLE_1)
	s_cmp_lt_i32 s0, 5
	s_cbranch_scc1 .LBB40_507
; %bb.503:
	s_cmp_lt_i32 s0, 8
	s_cbranch_scc1 .LBB40_508
; %bb.504:
	s_cmp_lt_i32 s0, 9
	s_cbranch_scc1 .LBB40_509
; %bb.505:
	s_cmp_gt_i32 s0, 9
	s_cbranch_scc0 .LBB40_510
; %bb.506:
	global_load_b64 v[8:9], v[6:7], off
	s_mov_b32 s25, 0
	s_wait_loadcnt 0x0
	v_cvt_f32_f64_e32 v1, v[8:9]
	s_branch .LBB40_511
.LBB40_507:
	s_mov_b32 s25, -1
                                        ; implicit-def: $vgpr1
	s_branch .LBB40_529
.LBB40_508:
	s_mov_b32 s25, -1
                                        ; implicit-def: $vgpr1
	s_branch .LBB40_517
.LBB40_509:
	s_mov_b32 s25, -1
                                        ; implicit-def: $vgpr1
	s_branch .LBB40_514
.LBB40_510:
	s_mov_b32 s25, -1
                                        ; implicit-def: $vgpr1
.LBB40_511:
	s_delay_alu instid0(SALU_CYCLE_1)
	s_and_not1_b32 vcc_lo, exec_lo, s25
	s_cbranch_vccnz .LBB40_513
; %bb.512:
	global_load_b32 v1, v[6:7], off
.LBB40_513:
	s_mov_b32 s25, 0
.LBB40_514:
	s_delay_alu instid0(SALU_CYCLE_1)
	s_and_not1_b32 vcc_lo, exec_lo, s25
	s_cbranch_vccnz .LBB40_516
; %bb.515:
	s_wait_loadcnt 0x0
	global_load_b32 v1, v[6:7], off
	s_wait_loadcnt 0x0
	v_cvt_f32_f16_e32 v1, v1
.LBB40_516:
	s_mov_b32 s25, 0
.LBB40_517:
	s_delay_alu instid0(SALU_CYCLE_1)
	s_and_not1_b32 vcc_lo, exec_lo, s25
	s_cbranch_vccnz .LBB40_528
; %bb.518:
	s_cmp_lt_i32 s0, 6
	s_cbranch_scc1 .LBB40_521
; %bb.519:
	s_cmp_gt_i32 s0, 6
	s_cbranch_scc0 .LBB40_522
; %bb.520:
	global_load_b64 v[8:9], v[6:7], off
	s_mov_b32 s25, 0
	s_wait_loadcnt 0x0
	v_cvt_f32_f64_e32 v1, v[8:9]
	s_branch .LBB40_523
.LBB40_521:
	s_mov_b32 s25, -1
                                        ; implicit-def: $vgpr1
	s_branch .LBB40_526
.LBB40_522:
	s_mov_b32 s25, -1
                                        ; implicit-def: $vgpr1
.LBB40_523:
	s_delay_alu instid0(SALU_CYCLE_1)
	s_and_not1_b32 vcc_lo, exec_lo, s25
	s_cbranch_vccnz .LBB40_525
; %bb.524:
	s_wait_loadcnt 0x0
	global_load_b32 v1, v[6:7], off
.LBB40_525:
	s_mov_b32 s25, 0
.LBB40_526:
	s_delay_alu instid0(SALU_CYCLE_1)
	s_and_not1_b32 vcc_lo, exec_lo, s25
	s_cbranch_vccnz .LBB40_528
; %bb.527:
	s_wait_loadcnt 0x0
	global_load_u16 v1, v[6:7], off
	s_wait_loadcnt 0x0
	v_cvt_f32_f16_e32 v1, v1
.LBB40_528:
	s_mov_b32 s25, 0
.LBB40_529:
	s_delay_alu instid0(SALU_CYCLE_1)
	s_and_not1_b32 vcc_lo, exec_lo, s25
	s_cbranch_vccnz .LBB40_549
; %bb.530:
	s_cmp_lt_i32 s0, 2
	s_cbranch_scc1 .LBB40_534
; %bb.531:
	s_cmp_lt_i32 s0, 3
	s_cbranch_scc1 .LBB40_535
; %bb.532:
	s_cmp_gt_i32 s0, 3
	s_cbranch_scc0 .LBB40_536
; %bb.533:
	global_load_b64 v[8:9], v[6:7], off
	s_mov_b32 s25, 0
	s_wait_loadcnt 0x0
	v_xor_b32_e32 v1, v8, v9
	v_cls_i32_e32 v3, v9
	s_delay_alu instid0(VALU_DEP_2) | instskip(NEXT) | instid1(VALU_DEP_1)
	v_ashrrev_i32_e32 v1, 31, v1
	v_add_nc_u32_e32 v1, 32, v1
	s_delay_alu instid0(VALU_DEP_1) | instskip(NEXT) | instid1(VALU_DEP_1)
	v_add_min_u32_e64 v1, v3, -1, v1
	v_lshlrev_b64_e32 v[8:9], v1, v[8:9]
	v_sub_nc_u32_e32 v1, 32, v1
	s_delay_alu instid0(VALU_DEP_2) | instskip(NEXT) | instid1(VALU_DEP_1)
	v_min_u32_e32 v3, 1, v8
	v_or_b32_e32 v3, v9, v3
	s_delay_alu instid0(VALU_DEP_1) | instskip(NEXT) | instid1(VALU_DEP_1)
	v_cvt_f32_i32_e32 v3, v3
	v_ldexp_f32 v1, v3, v1
	s_branch .LBB40_537
.LBB40_534:
	s_mov_b32 s25, -1
                                        ; implicit-def: $vgpr1
	s_branch .LBB40_543
.LBB40_535:
	s_mov_b32 s25, -1
                                        ; implicit-def: $vgpr1
	s_branch .LBB40_540
.LBB40_536:
	s_mov_b32 s25, -1
                                        ; implicit-def: $vgpr1
.LBB40_537:
	s_delay_alu instid0(SALU_CYCLE_1)
	s_and_not1_b32 vcc_lo, exec_lo, s25
	s_cbranch_vccnz .LBB40_539
; %bb.538:
	s_wait_loadcnt 0x0
	global_load_b32 v1, v[6:7], off
	s_wait_loadcnt 0x0
	v_cvt_f32_i32_e32 v1, v1
.LBB40_539:
	s_mov_b32 s25, 0
.LBB40_540:
	s_delay_alu instid0(SALU_CYCLE_1)
	s_and_not1_b32 vcc_lo, exec_lo, s25
	s_cbranch_vccnz .LBB40_542
; %bb.541:
	s_wait_loadcnt 0x0
	global_load_i16 v1, v[6:7], off
	s_wait_loadcnt 0x0
	v_cvt_f32_i32_e32 v1, v1
.LBB40_542:
	s_mov_b32 s25, 0
.LBB40_543:
	s_delay_alu instid0(SALU_CYCLE_1)
	s_and_not1_b32 vcc_lo, exec_lo, s25
	s_cbranch_vccnz .LBB40_549
; %bb.544:
	s_cmp_gt_i32 s0, 0
	s_mov_b32 s0, 0
	s_cbranch_scc0 .LBB40_546
; %bb.545:
	s_wait_loadcnt 0x0
	global_load_i8 v1, v[6:7], off
	s_wait_loadcnt 0x0
	v_cvt_f32_i32_e32 v1, v1
	s_branch .LBB40_547
.LBB40_546:
	s_mov_b32 s0, -1
                                        ; implicit-def: $vgpr1
.LBB40_547:
	s_delay_alu instid0(SALU_CYCLE_1)
	s_and_not1_b32 vcc_lo, exec_lo, s0
	s_cbranch_vccnz .LBB40_549
; %bb.548:
	s_wait_loadcnt 0x0
	global_load_u8 v1, v[6:7], off
	s_wait_loadcnt 0x0
	v_cvt_f32_ubyte0_e32 v1, v1
.LBB40_549:
	s_branch .LBB40_417
.LBB40_550:
	s_mov_b32 s46, 0
	s_mov_b32 s0, s38
	;; [unrolled: 1-line block ×3, first 2 shown]
	s_branch .LBB40_718
.LBB40_551:
	s_and_not1_saveexec_b32 s43, s43
	s_cbranch_execz .LBB40_242
.LBB40_552:
	v_add_f32_e64 v1, 0x42800000, |v4|
	s_and_not1_b32 s42, s42, exec_lo
	s_delay_alu instid0(VALU_DEP_1) | instskip(NEXT) | instid1(VALU_DEP_1)
	v_and_b32_e32 v1, 0xff, v1
	v_cmp_ne_u32_e32 vcc_lo, 0, v1
	s_and_b32 s44, vcc_lo, exec_lo
	s_delay_alu instid0(SALU_CYCLE_1)
	s_or_b32 s42, s42, s44
	s_or_b32 exec_lo, exec_lo, s43
	v_mov_b32_e32 v5, 0
	s_and_saveexec_b32 s43, s42
	s_cbranch_execnz .LBB40_243
	s_branch .LBB40_244
.LBB40_553:
	s_mov_b32 s25, -1
	s_mov_b32 s43, 0
.LBB40_554:
                                        ; implicit-def: $vgpr6
.LBB40_555:
	s_and_b32 vcc_lo, exec_lo, s44
	s_cbranch_vccz .LBB40_559
; %bb.556:
	s_cmp_eq_u32 s42, 44
	s_cbranch_scc0 .LBB40_558
; %bb.557:
	global_load_u8 v3, v[4:5], off
	s_mov_b32 s25, 0
	s_mov_b32 s43, -1
	s_wait_loadcnt 0x0
	s_wait_xcnt 0x1
	v_lshlrev_b32_e32 v6, 23, v3
	v_cmp_ne_u32_e32 vcc_lo, 0xff, v3
	s_delay_alu instid0(VALU_DEP_2) | instskip(SKIP_1) | instid1(VALU_DEP_2)
	v_cndmask_b32_e32 v6, 0x7f800001, v6, vcc_lo
	v_cmp_ne_u32_e32 vcc_lo, 0, v3
	v_cndmask_b32_e32 v6, 0x400000, v6, vcc_lo
	s_branch .LBB40_559
.LBB40_558:
	s_mov_b32 s25, -1
                                        ; implicit-def: $vgpr6
.LBB40_559:
	s_mov_b32 s44, 0
.LBB40_560:
	s_delay_alu instid0(SALU_CYCLE_1)
	s_and_b32 vcc_lo, exec_lo, s44
	s_cbranch_vccz .LBB40_564
; %bb.561:
	s_cmp_eq_u32 s42, 29
	s_cbranch_scc0 .LBB40_563
; %bb.562:
	global_load_b64 v[6:7], v[4:5], off
	s_mov_b32 s43, -1
	s_mov_b32 s25, 0
	s_mov_b32 s44, 0
	s_wait_loadcnt 0x0
	v_clz_i32_u32_e32 v3, v7
	s_delay_alu instid0(VALU_DEP_1) | instskip(NEXT) | instid1(VALU_DEP_1)
	v_min_u32_e32 v3, 32, v3
	v_lshlrev_b64_e32 v[6:7], v3, v[6:7]
	v_sub_nc_u32_e32 v3, 32, v3
	s_delay_alu instid0(VALU_DEP_2) | instskip(NEXT) | instid1(VALU_DEP_1)
	v_min_u32_e32 v6, 1, v6
	v_or_b32_e32 v6, v7, v6
	s_delay_alu instid0(VALU_DEP_1) | instskip(NEXT) | instid1(VALU_DEP_1)
	v_cvt_f32_u32_e32 v6, v6
	v_ldexp_f32 v6, v6, v3
	s_branch .LBB40_565
.LBB40_563:
	s_mov_b32 s25, -1
                                        ; implicit-def: $vgpr6
.LBB40_564:
	s_mov_b32 s44, 0
.LBB40_565:
	s_delay_alu instid0(SALU_CYCLE_1)
	s_and_b32 vcc_lo, exec_lo, s44
	s_cbranch_vccz .LBB40_583
; %bb.566:
	s_cmp_lt_i32 s42, 27
	s_cbranch_scc1 .LBB40_569
; %bb.567:
	s_cmp_gt_i32 s42, 27
	s_cbranch_scc0 .LBB40_570
; %bb.568:
	global_load_b32 v3, v[4:5], off
	s_mov_b32 s43, 0
	s_wait_loadcnt 0x0
	s_wait_xcnt 0x1
	v_cvt_f32_u32_e32 v6, v3
	s_branch .LBB40_571
.LBB40_569:
	s_mov_b32 s43, -1
                                        ; implicit-def: $vgpr6
	s_branch .LBB40_574
.LBB40_570:
	s_mov_b32 s43, -1
                                        ; implicit-def: $vgpr6
.LBB40_571:
	s_delay_alu instid0(SALU_CYCLE_1)
	s_and_not1_b32 vcc_lo, exec_lo, s43
	s_cbranch_vccnz .LBB40_573
; %bb.572:
	global_load_u16 v3, v[4:5], off
	s_wait_loadcnt 0x0
	s_wait_xcnt 0x1
	v_cvt_f32_u32_e32 v6, v3
.LBB40_573:
	s_mov_b32 s43, 0
.LBB40_574:
	s_delay_alu instid0(SALU_CYCLE_1)
	s_and_not1_b32 vcc_lo, exec_lo, s43
	s_cbranch_vccnz .LBB40_582
; %bb.575:
	global_load_u8 v3, v[4:5], off
	s_mov_b32 s43, 0
	s_mov_b32 s44, exec_lo
	s_wait_loadcnt 0x0
	v_cmpx_lt_i16_e32 0x7f, v3
	s_xor_b32 s44, exec_lo, s44
	s_cbranch_execz .LBB40_596
; %bb.576:
	s_mov_b32 s43, -1
	s_mov_b32 s46, exec_lo
	v_cmpx_eq_u16_e32 0x80, v3
; %bb.577:
	s_xor_b32 s43, exec_lo, -1
; %bb.578:
	s_or_b32 exec_lo, exec_lo, s46
	s_delay_alu instid0(SALU_CYCLE_1)
	s_and_b32 s43, s43, exec_lo
	s_or_saveexec_b32 s44, s44
	v_mov_b32_e32 v6, 0x7f800001
	s_xor_b32 exec_lo, exec_lo, s44
	s_cbranch_execnz .LBB40_597
.LBB40_579:
	s_or_b32 exec_lo, exec_lo, s44
	s_and_saveexec_b32 s44, s43
	s_cbranch_execz .LBB40_581
.LBB40_580:
	v_and_b32_e32 v6, 0xffff, v3
	s_delay_alu instid0(VALU_DEP_1) | instskip(SKIP_1) | instid1(VALU_DEP_2)
	v_and_b32_e32 v7, 7, v6
	v_bfe_u32 v10, v6, 3, 4
	v_clz_i32_u32_e32 v8, v7
	s_delay_alu instid0(VALU_DEP_2) | instskip(NEXT) | instid1(VALU_DEP_2)
	v_cmp_eq_u32_e32 vcc_lo, 0, v10
	v_min_u32_e32 v8, 32, v8
	s_delay_alu instid0(VALU_DEP_1) | instskip(NEXT) | instid1(VALU_DEP_1)
	v_subrev_nc_u32_e32 v9, 28, v8
	v_dual_lshlrev_b32 v6, v9, v6 :: v_dual_sub_nc_u32 v8, 29, v8
	s_delay_alu instid0(VALU_DEP_1) | instskip(NEXT) | instid1(VALU_DEP_1)
	v_dual_lshlrev_b32 v3, 24, v3 :: v_dual_bitop2_b32 v6, 7, v6 bitop3:0x40
	v_dual_cndmask_b32 v8, v10, v8, vcc_lo :: v_dual_cndmask_b32 v6, v7, v6, vcc_lo
	s_delay_alu instid0(VALU_DEP_2) | instskip(NEXT) | instid1(VALU_DEP_2)
	v_and_b32_e32 v3, 0x80000000, v3
	v_lshl_add_u32 v7, v8, 23, 0x3b800000
	s_delay_alu instid0(VALU_DEP_3) | instskip(NEXT) | instid1(VALU_DEP_1)
	v_lshlrev_b32_e32 v6, 20, v6
	v_or3_b32 v6, v3, v7, v6
.LBB40_581:
	s_or_b32 exec_lo, exec_lo, s44
.LBB40_582:
	s_mov_b32 s43, -1
.LBB40_583:
	s_mov_b32 s44, 0
.LBB40_584:
	s_delay_alu instid0(SALU_CYCLE_1)
	s_and_b32 vcc_lo, exec_lo, s44
	s_cbranch_vccz .LBB40_619
; %bb.585:
	s_cmp_gt_i32 s42, 22
	s_cbranch_scc0 .LBB40_595
; %bb.586:
	s_cmp_lt_i32 s42, 24
	s_cbranch_scc1 .LBB40_598
; %bb.587:
	s_cmp_gt_i32 s42, 24
	s_cbranch_scc0 .LBB40_599
; %bb.588:
	global_load_u8 v3, v[4:5], off
	s_mov_b32 s43, 0
	s_mov_b32 s44, exec_lo
	s_wait_loadcnt 0x0
	v_cmpx_lt_i16_e32 0x7f, v3
	s_xor_b32 s44, exec_lo, s44
	s_cbranch_execz .LBB40_611
; %bb.589:
	s_mov_b32 s43, -1
	s_mov_b32 s46, exec_lo
	v_cmpx_eq_u16_e32 0x80, v3
; %bb.590:
	s_xor_b32 s43, exec_lo, -1
; %bb.591:
	s_or_b32 exec_lo, exec_lo, s46
	s_delay_alu instid0(SALU_CYCLE_1)
	s_and_b32 s43, s43, exec_lo
	s_or_saveexec_b32 s44, s44
	v_mov_b32_e32 v6, 0x7f800001
	s_xor_b32 exec_lo, exec_lo, s44
	s_cbranch_execnz .LBB40_612
.LBB40_592:
	s_or_b32 exec_lo, exec_lo, s44
	s_and_saveexec_b32 s44, s43
	s_cbranch_execz .LBB40_594
.LBB40_593:
	v_and_b32_e32 v6, 0xffff, v3
	s_delay_alu instid0(VALU_DEP_1) | instskip(SKIP_1) | instid1(VALU_DEP_2)
	v_and_b32_e32 v7, 3, v6
	v_bfe_u32 v10, v6, 2, 5
	v_clz_i32_u32_e32 v8, v7
	s_delay_alu instid0(VALU_DEP_2) | instskip(NEXT) | instid1(VALU_DEP_2)
	v_cmp_eq_u32_e32 vcc_lo, 0, v10
	v_min_u32_e32 v8, 32, v8
	s_delay_alu instid0(VALU_DEP_1) | instskip(NEXT) | instid1(VALU_DEP_1)
	v_subrev_nc_u32_e32 v9, 29, v8
	v_dual_lshlrev_b32 v6, v9, v6 :: v_dual_sub_nc_u32 v8, 30, v8
	s_delay_alu instid0(VALU_DEP_1) | instskip(NEXT) | instid1(VALU_DEP_1)
	v_dual_lshlrev_b32 v3, 24, v3 :: v_dual_bitop2_b32 v6, 3, v6 bitop3:0x40
	v_dual_cndmask_b32 v8, v10, v8, vcc_lo :: v_dual_cndmask_b32 v6, v7, v6, vcc_lo
	s_delay_alu instid0(VALU_DEP_2) | instskip(NEXT) | instid1(VALU_DEP_2)
	v_and_b32_e32 v3, 0x80000000, v3
	v_lshl_add_u32 v7, v8, 23, 0x37800000
	s_delay_alu instid0(VALU_DEP_3) | instskip(NEXT) | instid1(VALU_DEP_1)
	v_lshlrev_b32_e32 v6, 21, v6
	v_or3_b32 v6, v3, v7, v6
.LBB40_594:
	s_or_b32 exec_lo, exec_lo, s44
	s_mov_b32 s43, 0
	s_branch .LBB40_600
.LBB40_595:
	s_mov_b32 s44, -1
                                        ; implicit-def: $vgpr6
	s_branch .LBB40_606
.LBB40_596:
	s_or_saveexec_b32 s44, s44
	v_mov_b32_e32 v6, 0x7f800001
	s_xor_b32 exec_lo, exec_lo, s44
	s_cbranch_execz .LBB40_579
.LBB40_597:
	v_cmp_ne_u16_e32 vcc_lo, 0, v3
	v_mov_b32_e32 v6, 0
	s_and_not1_b32 s43, s43, exec_lo
	s_and_b32 s46, vcc_lo, exec_lo
	s_delay_alu instid0(SALU_CYCLE_1)
	s_or_b32 s43, s43, s46
	s_or_b32 exec_lo, exec_lo, s44
	s_and_saveexec_b32 s44, s43
	s_cbranch_execnz .LBB40_580
	s_branch .LBB40_581
.LBB40_598:
	s_mov_b32 s43, -1
                                        ; implicit-def: $vgpr6
	s_branch .LBB40_603
.LBB40_599:
	s_mov_b32 s43, -1
                                        ; implicit-def: $vgpr6
.LBB40_600:
	s_delay_alu instid0(SALU_CYCLE_1)
	s_and_b32 vcc_lo, exec_lo, s43
	s_cbranch_vccz .LBB40_602
; %bb.601:
	global_load_u8 v3, v[4:5], off
	s_wait_loadcnt 0x0
	v_lshlrev_b32_e32 v3, 24, v3
	s_wait_xcnt 0x1
	s_delay_alu instid0(VALU_DEP_1) | instskip(NEXT) | instid1(VALU_DEP_1)
	v_and_b32_e32 v6, 0x7f000000, v3
	v_clz_i32_u32_e32 v7, v6
	v_cmp_ne_u32_e32 vcc_lo, 0, v6
	v_add_nc_u32_e32 v9, 0x1000000, v6
	s_delay_alu instid0(VALU_DEP_3) | instskip(NEXT) | instid1(VALU_DEP_1)
	v_min_u32_e32 v7, 32, v7
	v_sub_nc_u32_e64 v7, v7, 4 clamp
	s_delay_alu instid0(VALU_DEP_1) | instskip(NEXT) | instid1(VALU_DEP_1)
	v_dual_lshlrev_b32 v8, v7, v6 :: v_dual_lshlrev_b32 v7, 23, v7
	v_lshrrev_b32_e32 v8, 4, v8
	s_delay_alu instid0(VALU_DEP_1) | instskip(NEXT) | instid1(VALU_DEP_1)
	v_dual_sub_nc_u32 v7, v8, v7 :: v_dual_ashrrev_i32 v8, 8, v9
	v_add_nc_u32_e32 v7, 0x3c000000, v7
	s_delay_alu instid0(VALU_DEP_1) | instskip(NEXT) | instid1(VALU_DEP_1)
	v_and_or_b32 v7, 0x7f800000, v8, v7
	v_cndmask_b32_e32 v6, 0, v7, vcc_lo
	s_delay_alu instid0(VALU_DEP_1)
	v_and_or_b32 v6, 0x80000000, v3, v6
.LBB40_602:
	s_mov_b32 s43, 0
.LBB40_603:
	s_delay_alu instid0(SALU_CYCLE_1)
	s_and_not1_b32 vcc_lo, exec_lo, s43
	s_cbranch_vccnz .LBB40_605
; %bb.604:
	global_load_u8 v3, v[4:5], off
	s_wait_loadcnt 0x0
	s_wait_xcnt 0x1
	v_lshlrev_b32_e32 v6, 25, v3
	v_lshlrev_b16 v3, 8, v3
	s_delay_alu instid0(VALU_DEP_1) | instskip(SKIP_1) | instid1(VALU_DEP_2)
	v_and_or_b32 v8, 0x7f00, v3, 0.5
	v_bfe_i32 v3, v3, 0, 16
	v_dual_add_f32 v8, -0.5, v8 :: v_dual_lshrrev_b32 v7, 4, v6
	v_cmp_gt_u32_e32 vcc_lo, 0x8000000, v6
	s_delay_alu instid0(VALU_DEP_2) | instskip(NEXT) | instid1(VALU_DEP_1)
	v_or_b32_e32 v7, 0x70000000, v7
	v_mul_f32_e32 v7, 0x7800000, v7
	s_delay_alu instid0(VALU_DEP_1) | instskip(NEXT) | instid1(VALU_DEP_1)
	v_cndmask_b32_e32 v6, v7, v8, vcc_lo
	v_and_or_b32 v6, 0x80000000, v3, v6
.LBB40_605:
	s_mov_b32 s44, 0
	s_mov_b32 s43, -1
.LBB40_606:
	s_and_not1_b32 vcc_lo, exec_lo, s44
	s_cbranch_vccnz .LBB40_619
; %bb.607:
	s_cmp_gt_i32 s42, 14
	s_cbranch_scc0 .LBB40_610
; %bb.608:
	s_cmp_eq_u32 s42, 15
	s_cbranch_scc0 .LBB40_613
; %bb.609:
	global_load_u16 v3, v[4:5], off
	s_mov_b32 s43, -1
	s_mov_b32 s25, 0
	s_wait_loadcnt 0x0
	s_wait_xcnt 0x1
	v_lshlrev_b32_e32 v6, 16, v3
	s_branch .LBB40_614
.LBB40_610:
	s_mov_b32 s44, -1
                                        ; implicit-def: $vgpr6
	s_branch .LBB40_615
.LBB40_611:
	s_or_saveexec_b32 s44, s44
	v_mov_b32_e32 v6, 0x7f800001
	s_xor_b32 exec_lo, exec_lo, s44
	s_cbranch_execz .LBB40_592
.LBB40_612:
	v_cmp_ne_u16_e32 vcc_lo, 0, v3
	v_mov_b32_e32 v6, 0
	s_and_not1_b32 s43, s43, exec_lo
	s_and_b32 s46, vcc_lo, exec_lo
	s_delay_alu instid0(SALU_CYCLE_1)
	s_or_b32 s43, s43, s46
	s_or_b32 exec_lo, exec_lo, s44
	s_and_saveexec_b32 s44, s43
	s_cbranch_execnz .LBB40_593
	s_branch .LBB40_594
.LBB40_613:
	s_mov_b32 s25, -1
                                        ; implicit-def: $vgpr6
.LBB40_614:
	s_mov_b32 s44, 0
.LBB40_615:
	s_delay_alu instid0(SALU_CYCLE_1)
	s_and_b32 vcc_lo, exec_lo, s44
	s_cbranch_vccz .LBB40_619
; %bb.616:
	s_cmp_eq_u32 s42, 11
	s_cbranch_scc0 .LBB40_618
; %bb.617:
	global_load_u8 v3, v[4:5], off
	s_mov_b32 s25, 0
	s_mov_b32 s43, -1
	s_wait_loadcnt 0x0
	v_cmp_ne_u16_e32 vcc_lo, 0, v3
	s_wait_xcnt 0x1
	v_cndmask_b32_e64 v6, 0, 1.0, vcc_lo
	s_branch .LBB40_619
.LBB40_618:
	s_mov_b32 s25, -1
                                        ; implicit-def: $vgpr6
.LBB40_619:
	s_mov_b32 s42, 0
.LBB40_620:
	s_delay_alu instid0(SALU_CYCLE_1)
	s_and_b32 vcc_lo, exec_lo, s42
	s_cbranch_vccz .LBB40_669
; %bb.621:
	s_and_b32 s0, 0xffff, s0
	s_delay_alu instid0(SALU_CYCLE_1)
	s_cmp_lt_i32 s0, 5
	s_cbranch_scc1 .LBB40_626
; %bb.622:
	s_cmp_lt_i32 s0, 8
	s_cbranch_scc1 .LBB40_627
; %bb.623:
	s_cmp_lt_i32 s0, 9
	s_cbranch_scc1 .LBB40_628
; %bb.624:
	s_cmp_gt_i32 s0, 9
	s_cbranch_scc0 .LBB40_629
; %bb.625:
	global_load_b64 v[6:7], v[4:5], off
	s_mov_b32 s42, 0
	s_wait_loadcnt 0x0
	v_cvt_f32_f64_e32 v6, v[6:7]
	s_branch .LBB40_630
.LBB40_626:
	s_mov_b32 s42, -1
                                        ; implicit-def: $vgpr6
	s_branch .LBB40_648
.LBB40_627:
	s_mov_b32 s42, -1
                                        ; implicit-def: $vgpr6
	s_branch .LBB40_636
.LBB40_628:
	s_mov_b32 s42, -1
                                        ; implicit-def: $vgpr6
	s_branch .LBB40_633
.LBB40_629:
	s_mov_b32 s42, -1
                                        ; implicit-def: $vgpr6
.LBB40_630:
	s_delay_alu instid0(SALU_CYCLE_1)
	s_and_not1_b32 vcc_lo, exec_lo, s42
	s_cbranch_vccnz .LBB40_632
; %bb.631:
	global_load_b32 v6, v[4:5], off
.LBB40_632:
	s_mov_b32 s42, 0
.LBB40_633:
	s_delay_alu instid0(SALU_CYCLE_1)
	s_and_not1_b32 vcc_lo, exec_lo, s42
	s_cbranch_vccnz .LBB40_635
; %bb.634:
	global_load_b32 v3, v[4:5], off
	s_wait_loadcnt 0x0
	s_wait_xcnt 0x1
	v_cvt_f32_f16_e32 v6, v3
.LBB40_635:
	s_mov_b32 s42, 0
.LBB40_636:
	s_delay_alu instid0(SALU_CYCLE_1)
	s_and_not1_b32 vcc_lo, exec_lo, s42
	s_cbranch_vccnz .LBB40_647
; %bb.637:
	s_cmp_lt_i32 s0, 6
	s_cbranch_scc1 .LBB40_640
; %bb.638:
	s_cmp_gt_i32 s0, 6
	s_cbranch_scc0 .LBB40_641
; %bb.639:
	s_wait_loadcnt 0x0
	global_load_b64 v[6:7], v[4:5], off
	s_mov_b32 s42, 0
	s_wait_loadcnt 0x0
	v_cvt_f32_f64_e32 v6, v[6:7]
	s_branch .LBB40_642
.LBB40_640:
	s_mov_b32 s42, -1
                                        ; implicit-def: $vgpr6
	s_branch .LBB40_645
.LBB40_641:
	s_mov_b32 s42, -1
                                        ; implicit-def: $vgpr6
.LBB40_642:
	s_delay_alu instid0(SALU_CYCLE_1)
	s_and_not1_b32 vcc_lo, exec_lo, s42
	s_cbranch_vccnz .LBB40_644
; %bb.643:
	s_wait_loadcnt 0x0
	global_load_b32 v6, v[4:5], off
.LBB40_644:
	s_mov_b32 s42, 0
.LBB40_645:
	s_delay_alu instid0(SALU_CYCLE_1)
	s_and_not1_b32 vcc_lo, exec_lo, s42
	s_cbranch_vccnz .LBB40_647
; %bb.646:
	global_load_u16 v3, v[4:5], off
	s_wait_loadcnt 0x0
	s_wait_xcnt 0x1
	v_cvt_f32_f16_e32 v6, v3
.LBB40_647:
	s_mov_b32 s42, 0
.LBB40_648:
	s_delay_alu instid0(SALU_CYCLE_1)
	s_and_not1_b32 vcc_lo, exec_lo, s42
	s_cbranch_vccnz .LBB40_668
; %bb.649:
	s_cmp_lt_i32 s0, 2
	s_cbranch_scc1 .LBB40_653
; %bb.650:
	s_cmp_lt_i32 s0, 3
	s_cbranch_scc1 .LBB40_654
; %bb.651:
	s_cmp_gt_i32 s0, 3
	s_cbranch_scc0 .LBB40_655
; %bb.652:
	s_wait_loadcnt 0x0
	global_load_b64 v[6:7], v[4:5], off
	s_mov_b32 s42, 0
	s_wait_loadcnt 0x0
	v_xor_b32_e32 v3, v6, v7
	v_cls_i32_e32 v8, v7
	s_delay_alu instid0(VALU_DEP_2) | instskip(NEXT) | instid1(VALU_DEP_1)
	v_ashrrev_i32_e32 v3, 31, v3
	v_add_nc_u32_e32 v3, 32, v3
	s_delay_alu instid0(VALU_DEP_1) | instskip(NEXT) | instid1(VALU_DEP_1)
	v_add_min_u32_e64 v3, v8, -1, v3
	v_lshlrev_b64_e32 v[6:7], v3, v[6:7]
	v_sub_nc_u32_e32 v3, 32, v3
	s_delay_alu instid0(VALU_DEP_2) | instskip(NEXT) | instid1(VALU_DEP_1)
	v_min_u32_e32 v6, 1, v6
	v_or_b32_e32 v6, v7, v6
	s_delay_alu instid0(VALU_DEP_1) | instskip(NEXT) | instid1(VALU_DEP_1)
	v_cvt_f32_i32_e32 v6, v6
	v_ldexp_f32 v6, v6, v3
	s_branch .LBB40_656
.LBB40_653:
	s_mov_b32 s42, -1
                                        ; implicit-def: $vgpr6
	s_branch .LBB40_662
.LBB40_654:
	s_mov_b32 s42, -1
                                        ; implicit-def: $vgpr6
	s_branch .LBB40_659
.LBB40_655:
	s_mov_b32 s42, -1
                                        ; implicit-def: $vgpr6
.LBB40_656:
	s_delay_alu instid0(SALU_CYCLE_1)
	s_and_not1_b32 vcc_lo, exec_lo, s42
	s_cbranch_vccnz .LBB40_658
; %bb.657:
	global_load_b32 v3, v[4:5], off
	s_wait_loadcnt 0x0
	s_wait_xcnt 0x1
	v_cvt_f32_i32_e32 v6, v3
.LBB40_658:
	s_mov_b32 s42, 0
.LBB40_659:
	s_delay_alu instid0(SALU_CYCLE_1)
	s_and_not1_b32 vcc_lo, exec_lo, s42
	s_cbranch_vccnz .LBB40_661
; %bb.660:
	global_load_i16 v3, v[4:5], off
	s_wait_loadcnt 0x0
	s_wait_xcnt 0x1
	v_cvt_f32_i32_e32 v6, v3
.LBB40_661:
	s_mov_b32 s42, 0
.LBB40_662:
	s_delay_alu instid0(SALU_CYCLE_1)
	s_and_not1_b32 vcc_lo, exec_lo, s42
	s_cbranch_vccnz .LBB40_668
; %bb.663:
	s_cmp_gt_i32 s0, 0
	s_mov_b32 s0, 0
	s_cbranch_scc0 .LBB40_665
; %bb.664:
	global_load_i8 v3, v[4:5], off
	s_wait_loadcnt 0x0
	s_wait_xcnt 0x1
	v_cvt_f32_i32_e32 v6, v3
	s_branch .LBB40_666
.LBB40_665:
	s_mov_b32 s0, -1
                                        ; implicit-def: $vgpr6
.LBB40_666:
	s_delay_alu instid0(SALU_CYCLE_1)
	s_and_not1_b32 vcc_lo, exec_lo, s0
	s_cbranch_vccnz .LBB40_668
; %bb.667:
	global_load_u8 v3, v[4:5], off
	s_wait_loadcnt 0x0
	s_wait_xcnt 0x1
	v_cvt_f32_ubyte0_e32 v6, v3
.LBB40_668:
	s_mov_b32 s43, -1
.LBB40_669:
	s_delay_alu instid0(SALU_CYCLE_1)
	s_and_not1_b32 vcc_lo, exec_lo, s43
	s_cbranch_vccnz .LBB40_677
; %bb.670:
	s_wait_loadcnt 0x0
	s_delay_alu instid0(VALU_DEP_1) | instskip(SKIP_3) | instid1(VALU_DEP_2)
	v_dual_mov_b32 v3, 0 :: v_dual_mul_f32 v4, v1, v6
	v_cmp_lt_f32_e32 vcc_lo, 0, v1
	s_and_b32 s42, s31, 0xff
	s_mov_b32 s44, 0
	v_add_nc_u64_e32 v[2:3], s[4:5], v[2:3]
	s_mov_b32 s43, -1
	v_cndmask_b32_e32 v4, v4, v1, vcc_lo
	s_cmp_lt_i32 s42, 11
	s_mov_b32 s0, s38
	s_cbranch_scc1 .LBB40_678
; %bb.671:
	s_and_b32 s43, 0xffff, s42
	s_delay_alu instid0(SALU_CYCLE_1)
	s_cmp_gt_i32 s43, 25
	s_cbranch_scc0 .LBB40_743
; %bb.672:
	s_cmp_gt_i32 s43, 28
	s_cbranch_scc0 .LBB40_745
; %bb.673:
	;; [unrolled: 3-line block ×4, first 2 shown]
	s_mov_b32 s46, 0
	s_mov_b32 s0, -1
	s_cmp_eq_u32 s43, 46
	s_cbranch_scc0 .LBB40_750
; %bb.676:
	v_bfe_u32 v1, v4, 16, 1
	v_cmp_o_f32_e32 vcc_lo, v4, v4
	s_mov_b32 s44, -1
	s_mov_b32 s0, 0
	s_delay_alu instid0(VALU_DEP_2) | instskip(NEXT) | instid1(VALU_DEP_1)
	v_add3_u32 v1, v4, v1, 0x7fff
	v_lshrrev_b32_e32 v1, 16, v1
	s_delay_alu instid0(VALU_DEP_1)
	v_cndmask_b32_e32 v1, 0x7fc0, v1, vcc_lo
	global_store_b32 v[2:3], v1, off
	s_branch .LBB40_750
.LBB40_677:
	s_mov_b32 s46, 0
	s_mov_b32 s0, s38
	s_branch .LBB40_718
.LBB40_678:
	s_and_b32 vcc_lo, exec_lo, s43
	s_cbranch_vccz .LBB40_819
; %bb.679:
	s_and_b32 s42, 0xffff, s42
	s_mov_b32 s43, -1
	s_cmp_lt_i32 s42, 5
	s_cbranch_scc1 .LBB40_700
; %bb.680:
	s_cmp_lt_i32 s42, 8
	s_cbranch_scc1 .LBB40_690
; %bb.681:
	;; [unrolled: 3-line block ×3, first 2 shown]
	s_cmp_gt_i32 s42, 9
	s_cbranch_scc0 .LBB40_684
; %bb.683:
	s_wait_xcnt 0x0
	v_cvt_f64_f32_e32 v[6:7], v4
	v_mov_b32_e32 v8, 0
	s_mov_b32 s43, 0
	s_delay_alu instid0(VALU_DEP_1)
	v_mov_b32_e32 v9, v8
	global_store_b128 v[2:3], v[6:9], off
.LBB40_684:
	s_and_not1_b32 vcc_lo, exec_lo, s43
	s_cbranch_vccnz .LBB40_686
; %bb.685:
	s_wait_xcnt 0x0
	v_mov_b32_e32 v5, 0
	global_store_b64 v[2:3], v[4:5], off
.LBB40_686:
	s_mov_b32 s43, 0
.LBB40_687:
	s_delay_alu instid0(SALU_CYCLE_1)
	s_and_not1_b32 vcc_lo, exec_lo, s43
	s_cbranch_vccnz .LBB40_689
; %bb.688:
	s_wait_xcnt 0x0
	v_cvt_f16_f32_e32 v1, v4
	s_delay_alu instid0(VALU_DEP_1)
	v_and_b32_e32 v1, 0xffff, v1
	global_store_b32 v[2:3], v1, off
.LBB40_689:
	s_mov_b32 s43, 0
.LBB40_690:
	s_delay_alu instid0(SALU_CYCLE_1)
	s_and_not1_b32 vcc_lo, exec_lo, s43
	s_cbranch_vccnz .LBB40_699
; %bb.691:
	s_cmp_lt_i32 s42, 6
	s_mov_b32 s43, -1
	s_cbranch_scc1 .LBB40_697
; %bb.692:
	s_cmp_gt_i32 s42, 6
	s_cbranch_scc0 .LBB40_694
; %bb.693:
	s_wait_xcnt 0x0
	v_cvt_f64_f32_e32 v[6:7], v4
	s_mov_b32 s43, 0
	global_store_b64 v[2:3], v[6:7], off
.LBB40_694:
	s_and_not1_b32 vcc_lo, exec_lo, s43
	s_cbranch_vccnz .LBB40_696
; %bb.695:
	global_store_b32 v[2:3], v4, off
.LBB40_696:
	s_mov_b32 s43, 0
.LBB40_697:
	s_delay_alu instid0(SALU_CYCLE_1)
	s_and_not1_b32 vcc_lo, exec_lo, s43
	s_cbranch_vccnz .LBB40_699
; %bb.698:
	s_wait_xcnt 0x0
	v_cvt_f16_f32_e32 v1, v4
	global_store_b16 v[2:3], v1, off
.LBB40_699:
	s_mov_b32 s43, 0
.LBB40_700:
	s_delay_alu instid0(SALU_CYCLE_1)
	s_and_not1_b32 vcc_lo, exec_lo, s43
	s_cbranch_vccnz .LBB40_716
; %bb.701:
	s_cmp_lt_i32 s42, 2
	s_mov_b32 s43, -1
	s_cbranch_scc1 .LBB40_711
; %bb.702:
	s_cmp_lt_i32 s42, 3
	s_cbranch_scc1 .LBB40_708
; %bb.703:
	s_cmp_gt_i32 s42, 3
	s_cbranch_scc0 .LBB40_705
; %bb.704:
	s_wait_xcnt 0x0
	v_trunc_f32_e32 v1, v4
	s_mov_b32 s43, 0
	s_delay_alu instid0(VALU_DEP_1) | instskip(SKIP_1) | instid1(VALU_DEP_2)
	v_mul_f32_e64 v5, 0x2f800000, |v1|
	v_ashrrev_i32_e32 v6, 31, v1
	v_floor_f32_e32 v5, v5
	s_delay_alu instid0(VALU_DEP_1) | instskip(SKIP_1) | instid1(VALU_DEP_2)
	v_fma_f32 v7, 0xcf800000, v5, |v1|
	v_cvt_u32_f32_e32 v1, v5
	v_cvt_u32_f32_e32 v5, v7
	s_delay_alu instid0(VALU_DEP_2) | instskip(NEXT) | instid1(VALU_DEP_2)
	v_dual_mov_b32 v7, v6 :: v_dual_bitop2_b32 v9, v1, v6 bitop3:0x14
	v_xor_b32_e32 v8, v5, v6
	s_delay_alu instid0(VALU_DEP_1)
	v_sub_nc_u64_e32 v[6:7], v[8:9], v[6:7]
	global_store_b64 v[2:3], v[6:7], off
.LBB40_705:
	s_and_not1_b32 vcc_lo, exec_lo, s43
	s_cbranch_vccnz .LBB40_707
; %bb.706:
	s_wait_xcnt 0x0
	v_cvt_i32_f32_e32 v1, v4
	global_store_b32 v[2:3], v1, off
.LBB40_707:
	s_mov_b32 s43, 0
.LBB40_708:
	s_delay_alu instid0(SALU_CYCLE_1)
	s_and_not1_b32 vcc_lo, exec_lo, s43
	s_cbranch_vccnz .LBB40_710
; %bb.709:
	s_wait_xcnt 0x0
	v_cvt_i32_f32_e32 v1, v4
	global_store_b16 v[2:3], v1, off
.LBB40_710:
	s_mov_b32 s43, 0
.LBB40_711:
	s_delay_alu instid0(SALU_CYCLE_1)
	s_and_not1_b32 vcc_lo, exec_lo, s43
	s_cbranch_vccnz .LBB40_716
; %bb.712:
	s_cmp_gt_i32 s42, 0
	s_mov_b32 s42, -1
	s_cbranch_scc0 .LBB40_714
; %bb.713:
	s_wait_xcnt 0x0
	v_cvt_i32_f32_e32 v1, v4
	s_mov_b32 s42, 0
	global_store_b8 v[2:3], v1, off
.LBB40_714:
	s_and_not1_b32 vcc_lo, exec_lo, s42
	s_cbranch_vccnz .LBB40_716
; %bb.715:
	s_wait_xcnt 0x0
	v_trunc_f32_e32 v1, v4
	s_delay_alu instid0(VALU_DEP_1) | instskip(NEXT) | instid1(VALU_DEP_1)
	v_mul_f32_e64 v4, 0x2f800000, |v1|
	v_floor_f32_e32 v4, v4
	s_delay_alu instid0(VALU_DEP_1) | instskip(SKIP_1) | instid1(VALU_DEP_2)
	v_fma_f32 v4, 0xcf800000, v4, |v1|
	v_ashrrev_i32_e32 v1, 31, v1
	v_cvt_u32_f32_e32 v4, v4
	s_delay_alu instid0(VALU_DEP_1) | instskip(NEXT) | instid1(VALU_DEP_1)
	v_xor_b32_e32 v4, v4, v1
	v_sub_nc_u32_e32 v1, v4, v1
	global_store_b8 v[2:3], v1, off
.LBB40_716:
	s_branch .LBB40_820
.LBB40_717:
	s_mov_b32 s46, 0
.LBB40_718:
                                        ; implicit-def: $vgpr0
.LBB40_719:
	s_and_not1_b32 s42, s38, exec_lo
	s_and_b32 s0, s0, exec_lo
	s_and_b32 s25, s25, exec_lo
	s_or_b32 s43, s42, s0
	s_and_not1_b32 s0, s39, exec_lo
	s_and_not1_b32 s42, s40, exec_lo
	s_and_b32 s24, s24, exec_lo
	s_or_b32 s44, s0, s25
	s_or_b32 s42, s42, s24
	s_or_not1_b32 s47, s46, exec_lo
.LBB40_720:
	s_wait_xcnt 0x0
	s_or_b32 exec_lo, exec_lo, s45
	s_mov_b32 s25, 0
	s_mov_b32 s46, 0
	;; [unrolled: 1-line block ×3, first 2 shown]
                                        ; implicit-def: $sgpr0
                                        ; implicit-def: $vgpr6_vgpr7
                                        ; implicit-def: $vgpr4
                                        ; implicit-def: $vgpr2
                                        ; implicit-def: $vgpr8
	s_and_saveexec_b32 s45, s47
	s_cbranch_execz .LBB40_1293
; %bb.721:
	s_mov_b32 s51, -1
	s_mov_b32 s47, s42
	s_mov_b32 s49, s44
	;; [unrolled: 1-line block ×3, first 2 shown]
	s_mov_b32 s46, exec_lo
	v_cmpx_gt_i32_e64 s36, v0
	s_cbranch_execz .LBB40_1122
; %bb.722:
	s_and_not1_b32 vcc_lo, exec_lo, s29
	s_cbranch_vccnz .LBB40_728
; %bb.723:
	s_and_not1_b32 vcc_lo, exec_lo, s37
	s_cbranch_vccnz .LBB40_729
; %bb.724:
	s_wait_loadcnt 0x0
	v_dual_mov_b32 v2, 0 :: v_dual_mov_b32 v1, v0
	v_dual_mov_b32 v6, 0 :: v_dual_mov_b32 v4, 0
	s_add_co_i32 s0, s35, 1
	s_mov_b64 s[24:25], 0xffffffffffffffe8
	s_and_b32 s0, s0, 30
	s_add_nc_u64 s[24:25], s[2:3], s[24:25]
.LBB40_725:                             ; =>This Inner Loop Header: Depth=1
	s_clause 0x1
	s_load_b128 s[48:51], s[24:25], 0x1c
	s_load_b64 s[56:57], s[24:25], 0x2c
	s_add_co_i32 s0, s0, -2
	s_delay_alu instid0(SALU_CYCLE_1) | instskip(SKIP_2) | instid1(VALU_DEP_1)
	s_cmp_eq_u32 s0, 0
	s_wait_kmcnt 0x0
	v_mul_hi_u32 v3, s49, v1
	v_add_nc_u32_e32 v3, v1, v3
	s_delay_alu instid0(VALU_DEP_1) | instskip(NEXT) | instid1(VALU_DEP_1)
	v_lshrrev_b32_e32 v3, s50, v3
	v_mul_hi_u32 v5, s56, v3
	v_mul_lo_u32 v7, v3, s48
	s_clause 0x1
	s_load_b128 s[52:55], s[24:25], 0xdc
	s_load_b64 s[48:49], s[24:25], 0xec
	s_wait_xcnt 0x0
	s_add_nc_u64 s[24:25], s[24:25], 24
	s_delay_alu instid0(VALU_DEP_1) | instskip(NEXT) | instid1(VALU_DEP_1)
	v_dual_add_nc_u32 v5, v3, v5 :: v_dual_sub_nc_u32 v7, v1, v7
	v_lshrrev_b32_e32 v1, s57, v5
	s_wait_kmcnt 0x0
	s_delay_alu instid0(VALU_DEP_2) | instskip(NEXT) | instid1(VALU_DEP_2)
	v_mad_u32 v2, v7, s52, v2
	v_mul_lo_u32 v5, v1, s51
	v_mad_u32 v4, v7, s54, v4
	v_mad_u32 v6, v7, s53, v6
	s_delay_alu instid0(VALU_DEP_3) | instskip(NEXT) | instid1(VALU_DEP_1)
	v_sub_nc_u32_e32 v3, v3, v5
	v_mad_u32 v2, v3, s55, v2
	s_delay_alu instid0(VALU_DEP_4) | instskip(NEXT) | instid1(VALU_DEP_4)
	v_mad_u32 v4, v3, s49, v4
	v_mad_u32 v6, v3, s48, v6
	s_cbranch_scc0 .LBB40_725
; %bb.726:
	s_bitcmp1_b32 s35, 0
	s_cselect_b32 s0, -1, 0
	s_delay_alu instid0(SALU_CYCLE_1)
	s_and_b32 vcc_lo, exec_lo, s0
	s_cbranch_vccnz .LBB40_730
; %bb.727:
	s_clause 0x1
	s_load_b96 s[48:50], s[24:25], 0x1c
	s_load_b96 s[52:54], s[24:25], 0xdc
	s_wait_kmcnt 0x0
	v_mul_hi_u32 v3, s49, v1
	s_delay_alu instid0(VALU_DEP_1) | instskip(NEXT) | instid1(VALU_DEP_1)
	v_add_nc_u32_e32 v3, v1, v3
	v_lshrrev_b32_e32 v3, s50, v3
	s_delay_alu instid0(VALU_DEP_1) | instskip(NEXT) | instid1(VALU_DEP_1)
	v_mul_lo_u32 v3, v3, s48
	v_sub_nc_u32_e32 v1, v1, v3
	s_delay_alu instid0(VALU_DEP_1)
	v_mad_u32 v2, v1, s52, v2
	v_mad_u32 v6, v1, s53, v6
	;; [unrolled: 1-line block ×3, first 2 shown]
	s_branch .LBB40_730
.LBB40_728:
	s_mov_b32 s0, -1
                                        ; implicit-def: $vgpr4
                                        ; implicit-def: $vgpr6
                                        ; implicit-def: $vgpr2
	s_branch .LBB40_731
.LBB40_729:
	s_wait_loadcnt 0x0
	v_dual_mov_b32 v4, 0 :: v_dual_mov_b32 v6, 0
	v_mov_b32_e32 v2, 0
.LBB40_730:
	s_mov_b32 s0, 0
.LBB40_731:
	s_delay_alu instid0(SALU_CYCLE_1)
	s_and_not1_b32 vcc_lo, exec_lo, s0
	s_cbranch_vccnz .LBB40_734
; %bb.732:
	s_wait_loadcnt 0x0
	v_mov_b32_e32 v1, 0
	s_and_not1_b32 vcc_lo, exec_lo, s34
	s_delay_alu instid0(VALU_DEP_1) | instskip(NEXT) | instid1(VALU_DEP_1)
	v_mul_u64_e32 v[2:3], s[18:19], v[0:1]
	v_add_nc_u32_e32 v2, v0, v3
	s_delay_alu instid0(VALU_DEP_1) | instskip(NEXT) | instid1(VALU_DEP_1)
	v_lshrrev_b32_e32 v8, s10, v2
	v_mul_lo_u32 v2, v8, s8
	s_delay_alu instid0(VALU_DEP_1) | instskip(NEXT) | instid1(VALU_DEP_1)
	v_sub_nc_u32_e32 v3, v0, v2
	v_mul_lo_u32 v2, v3, s12
	v_mul_lo_u32 v4, v3, s14
	;; [unrolled: 1-line block ×3, first 2 shown]
	s_cbranch_vccnz .LBB40_734
; %bb.733:
	v_mov_b32_e32 v9, v1
	s_delay_alu instid0(VALU_DEP_1) | instskip(NEXT) | instid1(VALU_DEP_1)
	v_mul_u64_e32 v[10:11], s[22:23], v[8:9]
	v_add_nc_u32_e32 v1, v8, v11
	s_delay_alu instid0(VALU_DEP_1) | instskip(NEXT) | instid1(VALU_DEP_1)
	v_lshrrev_b32_e32 v1, s1, v1
	v_mul_lo_u32 v1, v1, s11
	s_delay_alu instid0(VALU_DEP_1) | instskip(NEXT) | instid1(VALU_DEP_1)
	v_sub_nc_u32_e32 v1, v8, v1
	v_mad_u32 v2, v1, s15, v2
	v_mad_u32 v6, v1, s20, v6
	;; [unrolled: 1-line block ×3, first 2 shown]
.LBB40_734:
	v_mov_b32_e32 v7, 0
	s_and_b32 s0, s33, 0xff
	s_delay_alu instid0(SALU_CYCLE_1) | instskip(SKIP_1) | instid1(VALU_DEP_1)
	s_cmp_lt_i32 s0, 11
	s_wait_loadcnt 0x0
	v_add_nc_u64_e32 v[6:7], s[6:7], v[6:7]
	s_cbranch_scc1 .LBB40_741
; %bb.735:
	s_and_b32 s25, 0xffff, s0
	s_delay_alu instid0(SALU_CYCLE_1)
	s_cmp_gt_i32 s25, 25
	s_cbranch_scc0 .LBB40_742
; %bb.736:
	s_cmp_gt_i32 s25, 28
	s_cbranch_scc0 .LBB40_744
; %bb.737:
	;; [unrolled: 3-line block ×4, first 2 shown]
	s_cmp_eq_u32 s25, 46
	s_mov_b32 s48, 0
	s_cbranch_scc0 .LBB40_821
; %bb.740:
	global_load_b32 v1, v[6:7], off
	s_mov_b32 s47, -1
	s_mov_b32 s24, 0
	s_wait_loadcnt 0x0
	v_lshlrev_b32_e32 v1, 16, v1
	s_branch .LBB40_823
.LBB40_741:
	s_mov_b32 s25, -1
	s_mov_b32 s47, 0
	s_mov_b32 s24, s42
                                        ; implicit-def: $vgpr1
	s_branch .LBB40_890
.LBB40_742:
	s_mov_b32 s48, -1
	s_mov_b32 s47, 0
	s_mov_b32 s24, s42
                                        ; implicit-def: $vgpr1
	s_branch .LBB40_854
.LBB40_743:
	s_mov_b32 s46, -1
	s_mov_b32 s0, s38
	s_branch .LBB40_777
.LBB40_744:
	s_mov_b32 s48, -1
	s_mov_b32 s47, 0
	s_mov_b32 s24, s42
                                        ; implicit-def: $vgpr1
	s_branch .LBB40_835
.LBB40_745:
	s_mov_b32 s46, -1
	s_mov_b32 s0, s38
	s_branch .LBB40_760
.LBB40_746:
	s_mov_b32 s48, -1
	s_mov_b32 s47, 0
	s_mov_b32 s24, s42
                                        ; implicit-def: $vgpr1
	s_branch .LBB40_830
.LBB40_747:
	s_mov_b32 s46, -1
	s_mov_b32 s0, s38
	s_branch .LBB40_756
.LBB40_748:
	s_mov_b32 s48, -1
	s_mov_b32 s47, 0
	s_mov_b32 s24, s42
	s_branch .LBB40_822
.LBB40_749:
	s_mov_b32 s46, -1
	s_mov_b32 s0, s38
.LBB40_750:
	s_and_b32 vcc_lo, exec_lo, s46
	s_cbranch_vccz .LBB40_755
; %bb.751:
	s_cmp_eq_u32 s43, 44
	s_mov_b32 s0, -1
	s_cbranch_scc0 .LBB40_755
; %bb.752:
	v_bfe_u32 v5, v4, 23, 8
	s_wait_xcnt 0x0
	v_mov_b32_e32 v1, 0xff
	s_mov_b32 s44, exec_lo
	s_delay_alu instid0(VALU_DEP_2)
	v_cmpx_ne_u32_e32 0xff, v5
	s_cbranch_execz .LBB40_754
; %bb.753:
	v_and_b32_e32 v1, 0x400000, v4
	v_and_or_b32 v5, 0x3fffff, v4, v5
	s_delay_alu instid0(VALU_DEP_2) | instskip(NEXT) | instid1(VALU_DEP_2)
	v_cmp_ne_u32_e32 vcc_lo, 0, v1
	v_cmp_ne_u32_e64 s0, 0, v5
	v_lshrrev_b32_e32 v1, 23, v4
	s_and_b32 s0, vcc_lo, s0
	s_delay_alu instid0(SALU_CYCLE_1) | instskip(NEXT) | instid1(VALU_DEP_1)
	v_cndmask_b32_e64 v5, 0, 1, s0
	v_add_nc_u32_e32 v1, v1, v5
.LBB40_754:
	s_or_b32 exec_lo, exec_lo, s44
	s_mov_b32 s44, -1
	s_mov_b32 s0, 0
	global_store_b8 v[2:3], v1, off
.LBB40_755:
	s_mov_b32 s46, 0
.LBB40_756:
	s_delay_alu instid0(SALU_CYCLE_1)
	s_and_b32 vcc_lo, exec_lo, s46
	s_cbranch_vccz .LBB40_759
; %bb.757:
	s_cmp_eq_u32 s43, 29
	s_mov_b32 s0, -1
	s_cbranch_scc0 .LBB40_759
; %bb.758:
	s_wait_xcnt 0x0
	v_trunc_f32_e32 v1, v4
	s_mov_b32 s44, -1
	s_mov_b32 s0, 0
	s_mov_b32 s46, 0
	s_delay_alu instid0(VALU_DEP_1) | instskip(NEXT) | instid1(VALU_DEP_1)
	v_mul_f32_e32 v5, 0x2f800000, v1
	v_floor_f32_e32 v5, v5
	s_delay_alu instid0(VALU_DEP_1) | instskip(SKIP_1) | instid1(VALU_DEP_2)
	v_fmamk_f32 v1, v5, 0xcf800000, v1
	v_cvt_u32_f32_e32 v7, v5
	v_cvt_u32_f32_e32 v6, v1
	global_store_b64 v[2:3], v[6:7], off
	s_branch .LBB40_760
.LBB40_759:
	s_mov_b32 s46, 0
.LBB40_760:
	s_delay_alu instid0(SALU_CYCLE_1)
	s_and_b32 vcc_lo, exec_lo, s46
	s_cbranch_vccz .LBB40_776
; %bb.761:
	s_cmp_lt_i32 s43, 27
	s_mov_b32 s44, -1
	s_cbranch_scc1 .LBB40_767
; %bb.762:
	s_wait_xcnt 0x0
	v_cvt_u32_f32_e32 v1, v4
	s_cmp_gt_i32 s43, 27
	s_cbranch_scc0 .LBB40_764
; %bb.763:
	s_mov_b32 s44, 0
	global_store_b32 v[2:3], v1, off
.LBB40_764:
	s_and_not1_b32 vcc_lo, exec_lo, s44
	s_cbranch_vccnz .LBB40_766
; %bb.765:
	global_store_b16 v[2:3], v1, off
.LBB40_766:
	s_mov_b32 s44, 0
.LBB40_767:
	s_delay_alu instid0(SALU_CYCLE_1)
	s_and_not1_b32 vcc_lo, exec_lo, s44
	s_cbranch_vccnz .LBB40_775
; %bb.768:
	s_wait_xcnt 0x0
	v_and_b32_e32 v1, 0x7fffffff, v4
	v_mov_b32_e32 v5, 0x80
	s_mov_b32 s44, exec_lo
	s_delay_alu instid0(VALU_DEP_2)
	v_cmpx_gt_u32_e32 0x43800000, v1
	s_cbranch_execz .LBB40_774
; %bb.769:
	v_cmp_lt_u32_e32 vcc_lo, 0x3bffffff, v1
	s_mov_b32 s46, 0
                                        ; implicit-def: $vgpr1
	s_and_saveexec_b32 s47, vcc_lo
	s_delay_alu instid0(SALU_CYCLE_1)
	s_xor_b32 s47, exec_lo, s47
	s_cbranch_execz .LBB40_826
; %bb.770:
	v_bfe_u32 v1, v4, 20, 1
	s_mov_b32 s46, exec_lo
	s_delay_alu instid0(VALU_DEP_1) | instskip(NEXT) | instid1(VALU_DEP_1)
	v_add3_u32 v1, v4, v1, 0x487ffff
	v_lshrrev_b32_e32 v1, 20, v1
	s_and_not1_saveexec_b32 s47, s47
	s_cbranch_execnz .LBB40_827
.LBB40_771:
	s_or_b32 exec_lo, exec_lo, s47
	v_mov_b32_e32 v5, 0
	s_and_saveexec_b32 s47, s46
.LBB40_772:
	v_lshrrev_b32_e32 v5, 24, v4
	s_delay_alu instid0(VALU_DEP_1)
	v_and_or_b32 v5, 0x80, v5, v1
.LBB40_773:
	s_or_b32 exec_lo, exec_lo, s47
.LBB40_774:
	s_delay_alu instid0(SALU_CYCLE_1)
	s_or_b32 exec_lo, exec_lo, s44
	global_store_b8 v[2:3], v5, off
.LBB40_775:
	s_mov_b32 s44, -1
.LBB40_776:
	s_mov_b32 s46, 0
.LBB40_777:
	s_delay_alu instid0(SALU_CYCLE_1)
	s_and_b32 vcc_lo, exec_lo, s46
	s_cbranch_vccz .LBB40_818
; %bb.778:
	s_cmp_gt_i32 s43, 22
	s_mov_b32 s46, -1
	s_cbranch_scc0 .LBB40_810
; %bb.779:
	s_cmp_lt_i32 s43, 24
	s_mov_b32 s44, -1
	s_cbranch_scc1 .LBB40_799
; %bb.780:
	s_cmp_gt_i32 s43, 24
	s_cbranch_scc0 .LBB40_788
; %bb.781:
	s_wait_xcnt 0x0
	v_and_b32_e32 v1, 0x7fffffff, v4
	v_mov_b32_e32 v5, 0x80
	s_mov_b32 s44, exec_lo
	s_delay_alu instid0(VALU_DEP_2)
	v_cmpx_gt_u32_e32 0x47800000, v1
	s_cbranch_execz .LBB40_787
; %bb.782:
	v_cmp_lt_u32_e32 vcc_lo, 0x37ffffff, v1
	s_mov_b32 s46, 0
                                        ; implicit-def: $vgpr1
	s_and_saveexec_b32 s47, vcc_lo
	s_delay_alu instid0(SALU_CYCLE_1)
	s_xor_b32 s47, exec_lo, s47
	s_cbranch_execz .LBB40_953
; %bb.783:
	v_bfe_u32 v1, v4, 21, 1
	s_mov_b32 s46, exec_lo
	s_delay_alu instid0(VALU_DEP_1) | instskip(NEXT) | instid1(VALU_DEP_1)
	v_add3_u32 v1, v4, v1, 0x88fffff
	v_lshrrev_b32_e32 v1, 21, v1
	s_and_not1_saveexec_b32 s47, s47
	s_cbranch_execnz .LBB40_954
.LBB40_784:
	s_or_b32 exec_lo, exec_lo, s47
	v_mov_b32_e32 v5, 0
	s_and_saveexec_b32 s47, s46
.LBB40_785:
	v_lshrrev_b32_e32 v5, 24, v4
	s_delay_alu instid0(VALU_DEP_1)
	v_and_or_b32 v5, 0x80, v5, v1
.LBB40_786:
	s_or_b32 exec_lo, exec_lo, s47
.LBB40_787:
	s_delay_alu instid0(SALU_CYCLE_1)
	s_or_b32 exec_lo, exec_lo, s44
	s_mov_b32 s44, 0
	global_store_b8 v[2:3], v5, off
.LBB40_788:
	s_and_b32 vcc_lo, exec_lo, s44
	s_cbranch_vccz .LBB40_798
; %bb.789:
	s_wait_xcnt 0x0
	v_and_b32_e32 v5, 0x7fffffff, v4
	s_mov_b32 s44, exec_lo
                                        ; implicit-def: $vgpr1
	s_delay_alu instid0(VALU_DEP_1)
	v_cmpx_gt_u32_e32 0x43f00000, v5
	s_xor_b32 s44, exec_lo, s44
	s_cbranch_execz .LBB40_795
; %bb.790:
	s_mov_b32 s46, exec_lo
                                        ; implicit-def: $vgpr1
	v_cmpx_lt_u32_e32 0x3c7fffff, v5
	s_xor_b32 s46, exec_lo, s46
; %bb.791:
	v_bfe_u32 v1, v4, 20, 1
	s_delay_alu instid0(VALU_DEP_1) | instskip(NEXT) | instid1(VALU_DEP_1)
	v_add3_u32 v1, v4, v1, 0x407ffff
	v_and_b32_e32 v5, 0xff00000, v1
	v_lshrrev_b32_e32 v1, 20, v1
	s_delay_alu instid0(VALU_DEP_2) | instskip(NEXT) | instid1(VALU_DEP_2)
	v_cmp_ne_u32_e32 vcc_lo, 0x7f00000, v5
	v_cndmask_b32_e32 v1, 0x7e, v1, vcc_lo
; %bb.792:
	s_and_not1_saveexec_b32 s46, s46
; %bb.793:
	v_add_f32_e64 v1, 0x46800000, |v4|
; %bb.794:
	s_or_b32 exec_lo, exec_lo, s46
                                        ; implicit-def: $vgpr5
.LBB40_795:
	s_and_not1_saveexec_b32 s44, s44
; %bb.796:
	v_mov_b32_e32 v1, 0x7f
	v_cmp_lt_u32_e32 vcc_lo, 0x7f800000, v5
	s_delay_alu instid0(VALU_DEP_2)
	v_cndmask_b32_e32 v1, 0x7e, v1, vcc_lo
; %bb.797:
	s_or_b32 exec_lo, exec_lo, s44
	v_lshrrev_b32_e32 v5, 24, v4
	s_delay_alu instid0(VALU_DEP_1)
	v_and_or_b32 v1, 0x80, v5, v1
	global_store_b8 v[2:3], v1, off
.LBB40_798:
	s_mov_b32 s44, 0
.LBB40_799:
	s_delay_alu instid0(SALU_CYCLE_1)
	s_and_not1_b32 vcc_lo, exec_lo, s44
	s_cbranch_vccnz .LBB40_809
; %bb.800:
	s_wait_xcnt 0x0
	v_and_b32_e32 v5, 0x7fffffff, v4
	s_mov_b32 s44, exec_lo
                                        ; implicit-def: $vgpr1
	s_delay_alu instid0(VALU_DEP_1)
	v_cmpx_gt_u32_e32 0x47800000, v5
	s_xor_b32 s44, exec_lo, s44
	s_cbranch_execz .LBB40_806
; %bb.801:
	s_mov_b32 s46, exec_lo
                                        ; implicit-def: $vgpr1
	v_cmpx_lt_u32_e32 0x387fffff, v5
	s_xor_b32 s46, exec_lo, s46
; %bb.802:
	v_bfe_u32 v1, v4, 21, 1
	s_delay_alu instid0(VALU_DEP_1) | instskip(NEXT) | instid1(VALU_DEP_1)
	v_add3_u32 v1, v4, v1, 0x80fffff
	v_lshrrev_b32_e32 v1, 21, v1
; %bb.803:
	s_and_not1_saveexec_b32 s46, s46
; %bb.804:
	v_add_f32_e64 v1, 0x43000000, |v4|
; %bb.805:
	s_or_b32 exec_lo, exec_lo, s46
                                        ; implicit-def: $vgpr5
.LBB40_806:
	s_and_not1_saveexec_b32 s44, s44
; %bb.807:
	v_mov_b32_e32 v1, 0x7f
	v_cmp_lt_u32_e32 vcc_lo, 0x7f800000, v5
	s_delay_alu instid0(VALU_DEP_2)
	v_cndmask_b32_e32 v1, 0x7c, v1, vcc_lo
; %bb.808:
	s_or_b32 exec_lo, exec_lo, s44
	v_lshrrev_b32_e32 v5, 24, v4
	s_delay_alu instid0(VALU_DEP_1)
	v_and_or_b32 v1, 0x80, v5, v1
	global_store_b8 v[2:3], v1, off
.LBB40_809:
	s_mov_b32 s46, 0
	s_mov_b32 s44, -1
.LBB40_810:
	s_and_not1_b32 vcc_lo, exec_lo, s46
	s_cbranch_vccnz .LBB40_818
; %bb.811:
	s_cmp_gt_i32 s43, 14
	s_mov_b32 s46, -1
	s_cbranch_scc0 .LBB40_815
; %bb.812:
	s_cmp_eq_u32 s43, 15
	s_mov_b32 s0, -1
	s_cbranch_scc0 .LBB40_814
; %bb.813:
	s_wait_xcnt 0x0
	v_bfe_u32 v1, v4, 16, 1
	v_cmp_o_f32_e32 vcc_lo, v4, v4
	s_mov_b32 s44, -1
	s_mov_b32 s0, 0
	s_delay_alu instid0(VALU_DEP_2) | instskip(NEXT) | instid1(VALU_DEP_1)
	v_add3_u32 v1, v4, v1, 0x7fff
	v_lshrrev_b32_e32 v1, 16, v1
	s_delay_alu instid0(VALU_DEP_1)
	v_cndmask_b32_e32 v1, 0x7fc0, v1, vcc_lo
	global_store_b16 v[2:3], v1, off
.LBB40_814:
	s_mov_b32 s46, 0
.LBB40_815:
	s_delay_alu instid0(SALU_CYCLE_1)
	s_and_b32 vcc_lo, exec_lo, s46
	s_cbranch_vccz .LBB40_818
; %bb.816:
	s_cmp_eq_u32 s43, 11
	s_mov_b32 s0, -1
	s_cbranch_scc0 .LBB40_818
; %bb.817:
	v_cmp_neq_f32_e32 vcc_lo, 0, v4
	s_mov_b32 s0, 0
	s_mov_b32 s44, -1
	s_wait_xcnt 0x0
	v_cndmask_b32_e64 v1, 0, 1, vcc_lo
	global_store_b8 v[2:3], v1, off
.LBB40_818:
.LBB40_819:
	s_and_not1_b32 vcc_lo, exec_lo, s44
	s_cbranch_vccnz .LBB40_717
.LBB40_820:
	v_add_nc_u32_e32 v0, 0x80, v0
	s_mov_b32 s46, -1
	s_branch .LBB40_719
.LBB40_821:
	s_mov_b32 s24, -1
	s_mov_b32 s47, 0
.LBB40_822:
                                        ; implicit-def: $vgpr1
.LBB40_823:
	s_and_b32 vcc_lo, exec_lo, s48
	s_cbranch_vccz .LBB40_829
; %bb.824:
	s_cmp_eq_u32 s25, 44
	s_cbranch_scc0 .LBB40_828
; %bb.825:
	global_load_u8 v1, v[6:7], off
	s_mov_b32 s24, 0
	s_mov_b32 s47, -1
	s_wait_loadcnt 0x0
	v_lshlrev_b32_e32 v3, 23, v1
	v_cmp_ne_u32_e32 vcc_lo, 0xff, v1
	s_delay_alu instid0(VALU_DEP_2) | instskip(SKIP_1) | instid1(VALU_DEP_2)
	v_cndmask_b32_e32 v3, 0x7f800001, v3, vcc_lo
	v_cmp_ne_u32_e32 vcc_lo, 0, v1
	v_cndmask_b32_e32 v1, 0x400000, v3, vcc_lo
	s_branch .LBB40_829
.LBB40_826:
	s_and_not1_saveexec_b32 s47, s47
	s_cbranch_execz .LBB40_771
.LBB40_827:
	v_add_f32_e64 v1, 0x46000000, |v4|
	s_and_not1_b32 s46, s46, exec_lo
	s_delay_alu instid0(VALU_DEP_1) | instskip(NEXT) | instid1(VALU_DEP_1)
	v_and_b32_e32 v1, 0xff, v1
	v_cmp_ne_u32_e32 vcc_lo, 0, v1
	s_and_b32 s48, vcc_lo, exec_lo
	s_delay_alu instid0(SALU_CYCLE_1)
	s_or_b32 s46, s46, s48
	s_or_b32 exec_lo, exec_lo, s47
	v_mov_b32_e32 v5, 0
	s_and_saveexec_b32 s47, s46
	s_cbranch_execnz .LBB40_772
	s_branch .LBB40_773
.LBB40_828:
	s_mov_b32 s24, -1
                                        ; implicit-def: $vgpr1
.LBB40_829:
	s_mov_b32 s48, 0
.LBB40_830:
	s_delay_alu instid0(SALU_CYCLE_1)
	s_and_b32 vcc_lo, exec_lo, s48
	s_cbranch_vccz .LBB40_834
; %bb.831:
	s_cmp_eq_u32 s25, 29
	s_cbranch_scc0 .LBB40_833
; %bb.832:
	global_load_b64 v[8:9], v[6:7], off
	s_mov_b32 s47, -1
	s_mov_b32 s24, 0
	s_mov_b32 s48, 0
	s_wait_loadcnt 0x0
	v_clz_i32_u32_e32 v1, v9
	s_delay_alu instid0(VALU_DEP_1) | instskip(NEXT) | instid1(VALU_DEP_1)
	v_min_u32_e32 v1, 32, v1
	v_lshlrev_b64_e32 v[8:9], v1, v[8:9]
	v_sub_nc_u32_e32 v1, 32, v1
	s_delay_alu instid0(VALU_DEP_2) | instskip(NEXT) | instid1(VALU_DEP_1)
	v_min_u32_e32 v3, 1, v8
	v_or_b32_e32 v3, v9, v3
	s_delay_alu instid0(VALU_DEP_1) | instskip(NEXT) | instid1(VALU_DEP_1)
	v_cvt_f32_u32_e32 v3, v3
	v_ldexp_f32 v1, v3, v1
	s_branch .LBB40_835
.LBB40_833:
	s_mov_b32 s24, -1
                                        ; implicit-def: $vgpr1
.LBB40_834:
	s_mov_b32 s48, 0
.LBB40_835:
	s_delay_alu instid0(SALU_CYCLE_1)
	s_and_b32 vcc_lo, exec_lo, s48
	s_cbranch_vccz .LBB40_853
; %bb.836:
	s_cmp_lt_i32 s25, 27
	s_cbranch_scc1 .LBB40_839
; %bb.837:
	s_cmp_gt_i32 s25, 27
	s_cbranch_scc0 .LBB40_840
; %bb.838:
	global_load_b32 v1, v[6:7], off
	s_mov_b32 s47, 0
	s_wait_loadcnt 0x0
	v_cvt_f32_u32_e32 v1, v1
	s_branch .LBB40_841
.LBB40_839:
	s_mov_b32 s47, -1
                                        ; implicit-def: $vgpr1
	s_branch .LBB40_844
.LBB40_840:
	s_mov_b32 s47, -1
                                        ; implicit-def: $vgpr1
.LBB40_841:
	s_delay_alu instid0(SALU_CYCLE_1)
	s_and_not1_b32 vcc_lo, exec_lo, s47
	s_cbranch_vccnz .LBB40_843
; %bb.842:
	global_load_u16 v1, v[6:7], off
	s_wait_loadcnt 0x0
	v_cvt_f32_u32_e32 v1, v1
.LBB40_843:
	s_mov_b32 s47, 0
.LBB40_844:
	s_delay_alu instid0(SALU_CYCLE_1)
	s_and_not1_b32 vcc_lo, exec_lo, s47
	s_cbranch_vccnz .LBB40_852
; %bb.845:
	global_load_u8 v3, v[6:7], off
	s_mov_b32 s47, 0
	s_mov_b32 s48, exec_lo
	s_wait_loadcnt 0x0
	v_cmpx_lt_i16_e32 0x7f, v3
	s_xor_b32 s48, exec_lo, s48
	s_cbranch_execz .LBB40_866
; %bb.846:
	s_mov_b32 s47, -1
	s_mov_b32 s49, exec_lo
	v_cmpx_eq_u16_e32 0x80, v3
; %bb.847:
	s_xor_b32 s47, exec_lo, -1
; %bb.848:
	s_or_b32 exec_lo, exec_lo, s49
	s_delay_alu instid0(SALU_CYCLE_1)
	s_and_b32 s47, s47, exec_lo
	s_or_saveexec_b32 s48, s48
	v_mov_b32_e32 v1, 0x7f800001
	s_xor_b32 exec_lo, exec_lo, s48
	s_cbranch_execnz .LBB40_867
.LBB40_849:
	s_or_b32 exec_lo, exec_lo, s48
	s_and_saveexec_b32 s48, s47
	s_cbranch_execz .LBB40_851
.LBB40_850:
	v_and_b32_e32 v1, 0xffff, v3
	s_delay_alu instid0(VALU_DEP_1) | instskip(SKIP_1) | instid1(VALU_DEP_2)
	v_and_b32_e32 v5, 7, v1
	v_bfe_u32 v10, v1, 3, 4
	v_clz_i32_u32_e32 v8, v5
	s_delay_alu instid0(VALU_DEP_2) | instskip(NEXT) | instid1(VALU_DEP_2)
	v_cmp_eq_u32_e32 vcc_lo, 0, v10
	v_min_u32_e32 v8, 32, v8
	s_delay_alu instid0(VALU_DEP_1) | instskip(NEXT) | instid1(VALU_DEP_1)
	v_subrev_nc_u32_e32 v9, 28, v8
	v_dual_lshlrev_b32 v1, v9, v1 :: v_dual_sub_nc_u32 v8, 29, v8
	s_delay_alu instid0(VALU_DEP_1) | instskip(NEXT) | instid1(VALU_DEP_1)
	v_dual_lshlrev_b32 v3, 24, v3 :: v_dual_bitop2_b32 v1, 7, v1 bitop3:0x40
	v_dual_cndmask_b32 v8, v10, v8 :: v_dual_cndmask_b32 v1, v5, v1
	s_delay_alu instid0(VALU_DEP_2) | instskip(NEXT) | instid1(VALU_DEP_2)
	v_and_b32_e32 v3, 0x80000000, v3
	v_lshl_add_u32 v5, v8, 23, 0x3b800000
	s_delay_alu instid0(VALU_DEP_3) | instskip(NEXT) | instid1(VALU_DEP_1)
	v_lshlrev_b32_e32 v1, 20, v1
	v_or3_b32 v1, v3, v5, v1
.LBB40_851:
	s_or_b32 exec_lo, exec_lo, s48
.LBB40_852:
	s_mov_b32 s47, -1
.LBB40_853:
	s_mov_b32 s48, 0
.LBB40_854:
	s_delay_alu instid0(SALU_CYCLE_1)
	s_and_b32 vcc_lo, exec_lo, s48
	s_cbranch_vccz .LBB40_889
; %bb.855:
	s_cmp_gt_i32 s25, 22
	s_cbranch_scc0 .LBB40_865
; %bb.856:
	s_cmp_lt_i32 s25, 24
	s_cbranch_scc1 .LBB40_868
; %bb.857:
	s_cmp_gt_i32 s25, 24
	s_cbranch_scc0 .LBB40_869
; %bb.858:
	global_load_u8 v3, v[6:7], off
	s_mov_b32 s47, 0
	s_mov_b32 s48, exec_lo
	s_wait_loadcnt 0x0
	v_cmpx_lt_i16_e32 0x7f, v3
	s_xor_b32 s48, exec_lo, s48
	s_cbranch_execz .LBB40_881
; %bb.859:
	s_mov_b32 s47, -1
	s_mov_b32 s49, exec_lo
	v_cmpx_eq_u16_e32 0x80, v3
; %bb.860:
	s_xor_b32 s47, exec_lo, -1
; %bb.861:
	s_or_b32 exec_lo, exec_lo, s49
	s_delay_alu instid0(SALU_CYCLE_1)
	s_and_b32 s47, s47, exec_lo
	s_or_saveexec_b32 s48, s48
	v_mov_b32_e32 v1, 0x7f800001
	s_xor_b32 exec_lo, exec_lo, s48
	s_cbranch_execnz .LBB40_882
.LBB40_862:
	s_or_b32 exec_lo, exec_lo, s48
	s_and_saveexec_b32 s48, s47
	s_cbranch_execz .LBB40_864
.LBB40_863:
	v_and_b32_e32 v1, 0xffff, v3
	s_delay_alu instid0(VALU_DEP_1) | instskip(SKIP_1) | instid1(VALU_DEP_2)
	v_and_b32_e32 v5, 3, v1
	v_bfe_u32 v10, v1, 2, 5
	v_clz_i32_u32_e32 v8, v5
	s_delay_alu instid0(VALU_DEP_2) | instskip(NEXT) | instid1(VALU_DEP_2)
	v_cmp_eq_u32_e32 vcc_lo, 0, v10
	v_min_u32_e32 v8, 32, v8
	s_delay_alu instid0(VALU_DEP_1) | instskip(NEXT) | instid1(VALU_DEP_1)
	v_subrev_nc_u32_e32 v9, 29, v8
	v_dual_lshlrev_b32 v1, v9, v1 :: v_dual_sub_nc_u32 v8, 30, v8
	s_delay_alu instid0(VALU_DEP_1) | instskip(NEXT) | instid1(VALU_DEP_1)
	v_dual_lshlrev_b32 v3, 24, v3 :: v_dual_bitop2_b32 v1, 3, v1 bitop3:0x40
	v_dual_cndmask_b32 v8, v10, v8 :: v_dual_cndmask_b32 v1, v5, v1
	s_delay_alu instid0(VALU_DEP_2) | instskip(NEXT) | instid1(VALU_DEP_2)
	v_and_b32_e32 v3, 0x80000000, v3
	v_lshl_add_u32 v5, v8, 23, 0x37800000
	s_delay_alu instid0(VALU_DEP_3) | instskip(NEXT) | instid1(VALU_DEP_1)
	v_lshlrev_b32_e32 v1, 21, v1
	v_or3_b32 v1, v3, v5, v1
.LBB40_864:
	s_or_b32 exec_lo, exec_lo, s48
	s_mov_b32 s47, 0
	s_branch .LBB40_870
.LBB40_865:
	s_mov_b32 s48, -1
                                        ; implicit-def: $vgpr1
	s_branch .LBB40_876
.LBB40_866:
	s_or_saveexec_b32 s48, s48
	v_mov_b32_e32 v1, 0x7f800001
	s_xor_b32 exec_lo, exec_lo, s48
	s_cbranch_execz .LBB40_849
.LBB40_867:
	v_cmp_ne_u16_e32 vcc_lo, 0, v3
	v_mov_b32_e32 v1, 0
	s_and_not1_b32 s47, s47, exec_lo
	s_and_b32 s49, vcc_lo, exec_lo
	s_delay_alu instid0(SALU_CYCLE_1)
	s_or_b32 s47, s47, s49
	s_or_b32 exec_lo, exec_lo, s48
	s_and_saveexec_b32 s48, s47
	s_cbranch_execnz .LBB40_850
	s_branch .LBB40_851
.LBB40_868:
	s_mov_b32 s47, -1
                                        ; implicit-def: $vgpr1
	s_branch .LBB40_873
.LBB40_869:
	s_mov_b32 s47, -1
                                        ; implicit-def: $vgpr1
.LBB40_870:
	s_delay_alu instid0(SALU_CYCLE_1)
	s_and_b32 vcc_lo, exec_lo, s47
	s_cbranch_vccz .LBB40_872
; %bb.871:
	global_load_u8 v1, v[6:7], off
	s_wait_loadcnt 0x0
	v_lshlrev_b32_e32 v1, 24, v1
	s_delay_alu instid0(VALU_DEP_1) | instskip(NEXT) | instid1(VALU_DEP_1)
	v_and_b32_e32 v3, 0x7f000000, v1
	v_clz_i32_u32_e32 v5, v3
	v_add_nc_u32_e32 v9, 0x1000000, v3
	v_cmp_ne_u32_e32 vcc_lo, 0, v3
	s_delay_alu instid0(VALU_DEP_3) | instskip(NEXT) | instid1(VALU_DEP_1)
	v_min_u32_e32 v5, 32, v5
	v_sub_nc_u32_e64 v5, v5, 4 clamp
	s_delay_alu instid0(VALU_DEP_1) | instskip(NEXT) | instid1(VALU_DEP_1)
	v_dual_lshlrev_b32 v8, v5, v3 :: v_dual_lshlrev_b32 v5, 23, v5
	v_lshrrev_b32_e32 v8, 4, v8
	s_delay_alu instid0(VALU_DEP_1) | instskip(SKIP_1) | instid1(VALU_DEP_2)
	v_sub_nc_u32_e32 v5, v8, v5
	v_ashrrev_i32_e32 v8, 8, v9
	v_add_nc_u32_e32 v5, 0x3c000000, v5
	s_delay_alu instid0(VALU_DEP_1) | instskip(NEXT) | instid1(VALU_DEP_1)
	v_and_or_b32 v5, 0x7f800000, v8, v5
	v_cndmask_b32_e32 v3, 0, v5, vcc_lo
	s_delay_alu instid0(VALU_DEP_1)
	v_and_or_b32 v1, 0x80000000, v1, v3
.LBB40_872:
	s_mov_b32 s47, 0
.LBB40_873:
	s_delay_alu instid0(SALU_CYCLE_1)
	s_and_not1_b32 vcc_lo, exec_lo, s47
	s_cbranch_vccnz .LBB40_875
; %bb.874:
	global_load_u8 v1, v[6:7], off
	s_wait_loadcnt 0x0
	v_lshlrev_b32_e32 v3, 25, v1
	v_lshlrev_b16 v1, 8, v1
	s_delay_alu instid0(VALU_DEP_1) | instskip(SKIP_1) | instid1(VALU_DEP_2)
	v_and_or_b32 v8, 0x7f00, v1, 0.5
	v_bfe_i32 v1, v1, 0, 16
	v_dual_add_f32 v8, -0.5, v8 :: v_dual_lshrrev_b32 v5, 4, v3
	v_cmp_gt_u32_e32 vcc_lo, 0x8000000, v3
	s_delay_alu instid0(VALU_DEP_2) | instskip(NEXT) | instid1(VALU_DEP_1)
	v_or_b32_e32 v5, 0x70000000, v5
	v_mul_f32_e32 v5, 0x7800000, v5
	s_delay_alu instid0(VALU_DEP_1) | instskip(NEXT) | instid1(VALU_DEP_1)
	v_cndmask_b32_e32 v3, v5, v8, vcc_lo
	v_and_or_b32 v1, 0x80000000, v1, v3
.LBB40_875:
	s_mov_b32 s48, 0
	s_mov_b32 s47, -1
.LBB40_876:
	s_and_not1_b32 vcc_lo, exec_lo, s48
	s_cbranch_vccnz .LBB40_889
; %bb.877:
	s_cmp_gt_i32 s25, 14
	s_cbranch_scc0 .LBB40_880
; %bb.878:
	s_cmp_eq_u32 s25, 15
	s_cbranch_scc0 .LBB40_883
; %bb.879:
	global_load_u16 v1, v[6:7], off
	s_mov_b32 s47, -1
	s_mov_b32 s24, 0
	s_wait_loadcnt 0x0
	v_lshlrev_b32_e32 v1, 16, v1
	s_branch .LBB40_884
.LBB40_880:
	s_mov_b32 s48, -1
                                        ; implicit-def: $vgpr1
	s_branch .LBB40_885
.LBB40_881:
	s_or_saveexec_b32 s48, s48
	v_mov_b32_e32 v1, 0x7f800001
	s_xor_b32 exec_lo, exec_lo, s48
	s_cbranch_execz .LBB40_862
.LBB40_882:
	v_cmp_ne_u16_e32 vcc_lo, 0, v3
	v_mov_b32_e32 v1, 0
	s_and_not1_b32 s47, s47, exec_lo
	s_and_b32 s49, vcc_lo, exec_lo
	s_delay_alu instid0(SALU_CYCLE_1)
	s_or_b32 s47, s47, s49
	s_or_b32 exec_lo, exec_lo, s48
	s_and_saveexec_b32 s48, s47
	s_cbranch_execnz .LBB40_863
	s_branch .LBB40_864
.LBB40_883:
	s_mov_b32 s24, -1
                                        ; implicit-def: $vgpr1
.LBB40_884:
	s_mov_b32 s48, 0
.LBB40_885:
	s_delay_alu instid0(SALU_CYCLE_1)
	s_and_b32 vcc_lo, exec_lo, s48
	s_cbranch_vccz .LBB40_889
; %bb.886:
	s_cmp_eq_u32 s25, 11
	s_cbranch_scc0 .LBB40_888
; %bb.887:
	global_load_u8 v1, v[6:7], off
	s_mov_b32 s24, 0
	s_mov_b32 s47, -1
	s_wait_loadcnt 0x0
	v_cmp_ne_u16_e32 vcc_lo, 0, v1
	v_cndmask_b32_e64 v1, 0, 1.0, vcc_lo
	s_branch .LBB40_889
.LBB40_888:
	s_mov_b32 s24, -1
                                        ; implicit-def: $vgpr1
.LBB40_889:
	s_mov_b32 s25, 0
.LBB40_890:
	s_delay_alu instid0(SALU_CYCLE_1)
	s_and_b32 vcc_lo, exec_lo, s25
	s_cbranch_vccz .LBB40_939
; %bb.891:
	s_and_b32 s0, 0xffff, s0
	s_delay_alu instid0(SALU_CYCLE_1)
	s_cmp_lt_i32 s0, 5
	s_cbranch_scc1 .LBB40_896
; %bb.892:
	s_cmp_lt_i32 s0, 8
	s_cbranch_scc1 .LBB40_897
; %bb.893:
	s_cmp_lt_i32 s0, 9
	s_cbranch_scc1 .LBB40_898
; %bb.894:
	s_cmp_gt_i32 s0, 9
	s_cbranch_scc0 .LBB40_899
; %bb.895:
	global_load_b64 v[8:9], v[6:7], off
	s_mov_b32 s25, 0
	s_wait_loadcnt 0x0
	v_cvt_f32_f64_e32 v1, v[8:9]
	s_branch .LBB40_900
.LBB40_896:
	s_mov_b32 s25, -1
                                        ; implicit-def: $vgpr1
	s_branch .LBB40_918
.LBB40_897:
	s_mov_b32 s25, -1
                                        ; implicit-def: $vgpr1
	s_branch .LBB40_906
.LBB40_898:
	s_mov_b32 s25, -1
                                        ; implicit-def: $vgpr1
	s_branch .LBB40_903
.LBB40_899:
	s_mov_b32 s25, -1
                                        ; implicit-def: $vgpr1
.LBB40_900:
	s_delay_alu instid0(SALU_CYCLE_1)
	s_and_not1_b32 vcc_lo, exec_lo, s25
	s_cbranch_vccnz .LBB40_902
; %bb.901:
	global_load_b32 v1, v[6:7], off
.LBB40_902:
	s_mov_b32 s25, 0
.LBB40_903:
	s_delay_alu instid0(SALU_CYCLE_1)
	s_and_not1_b32 vcc_lo, exec_lo, s25
	s_cbranch_vccnz .LBB40_905
; %bb.904:
	s_wait_loadcnt 0x0
	global_load_b32 v1, v[6:7], off
	s_wait_loadcnt 0x0
	v_cvt_f32_f16_e32 v1, v1
.LBB40_905:
	s_mov_b32 s25, 0
.LBB40_906:
	s_delay_alu instid0(SALU_CYCLE_1)
	s_and_not1_b32 vcc_lo, exec_lo, s25
	s_cbranch_vccnz .LBB40_917
; %bb.907:
	s_cmp_lt_i32 s0, 6
	s_cbranch_scc1 .LBB40_910
; %bb.908:
	s_cmp_gt_i32 s0, 6
	s_cbranch_scc0 .LBB40_911
; %bb.909:
	global_load_b64 v[8:9], v[6:7], off
	s_mov_b32 s25, 0
	s_wait_loadcnt 0x0
	v_cvt_f32_f64_e32 v1, v[8:9]
	s_branch .LBB40_912
.LBB40_910:
	s_mov_b32 s25, -1
                                        ; implicit-def: $vgpr1
	s_branch .LBB40_915
.LBB40_911:
	s_mov_b32 s25, -1
                                        ; implicit-def: $vgpr1
.LBB40_912:
	s_delay_alu instid0(SALU_CYCLE_1)
	s_and_not1_b32 vcc_lo, exec_lo, s25
	s_cbranch_vccnz .LBB40_914
; %bb.913:
	s_wait_loadcnt 0x0
	global_load_b32 v1, v[6:7], off
.LBB40_914:
	s_mov_b32 s25, 0
.LBB40_915:
	s_delay_alu instid0(SALU_CYCLE_1)
	s_and_not1_b32 vcc_lo, exec_lo, s25
	s_cbranch_vccnz .LBB40_917
; %bb.916:
	s_wait_loadcnt 0x0
	global_load_u16 v1, v[6:7], off
	s_wait_loadcnt 0x0
	v_cvt_f32_f16_e32 v1, v1
.LBB40_917:
	s_mov_b32 s25, 0
.LBB40_918:
	s_delay_alu instid0(SALU_CYCLE_1)
	s_and_not1_b32 vcc_lo, exec_lo, s25
	s_cbranch_vccnz .LBB40_938
; %bb.919:
	s_cmp_lt_i32 s0, 2
	s_cbranch_scc1 .LBB40_923
; %bb.920:
	s_cmp_lt_i32 s0, 3
	s_cbranch_scc1 .LBB40_924
; %bb.921:
	s_cmp_gt_i32 s0, 3
	s_cbranch_scc0 .LBB40_925
; %bb.922:
	global_load_b64 v[8:9], v[6:7], off
	s_mov_b32 s25, 0
	s_wait_loadcnt 0x0
	v_xor_b32_e32 v1, v8, v9
	v_cls_i32_e32 v3, v9
	s_delay_alu instid0(VALU_DEP_2) | instskip(NEXT) | instid1(VALU_DEP_1)
	v_ashrrev_i32_e32 v1, 31, v1
	v_add_nc_u32_e32 v1, 32, v1
	s_delay_alu instid0(VALU_DEP_1) | instskip(NEXT) | instid1(VALU_DEP_1)
	v_add_min_u32_e64 v1, v3, -1, v1
	v_lshlrev_b64_e32 v[8:9], v1, v[8:9]
	v_sub_nc_u32_e32 v1, 32, v1
	s_delay_alu instid0(VALU_DEP_2) | instskip(NEXT) | instid1(VALU_DEP_1)
	v_min_u32_e32 v3, 1, v8
	v_or_b32_e32 v3, v9, v3
	s_delay_alu instid0(VALU_DEP_1) | instskip(NEXT) | instid1(VALU_DEP_1)
	v_cvt_f32_i32_e32 v3, v3
	v_ldexp_f32 v1, v3, v1
	s_branch .LBB40_926
.LBB40_923:
	s_mov_b32 s25, -1
                                        ; implicit-def: $vgpr1
	s_branch .LBB40_932
.LBB40_924:
	s_mov_b32 s25, -1
                                        ; implicit-def: $vgpr1
	s_branch .LBB40_929
.LBB40_925:
	s_mov_b32 s25, -1
                                        ; implicit-def: $vgpr1
.LBB40_926:
	s_delay_alu instid0(SALU_CYCLE_1)
	s_and_not1_b32 vcc_lo, exec_lo, s25
	s_cbranch_vccnz .LBB40_928
; %bb.927:
	s_wait_loadcnt 0x0
	global_load_b32 v1, v[6:7], off
	s_wait_loadcnt 0x0
	v_cvt_f32_i32_e32 v1, v1
.LBB40_928:
	s_mov_b32 s25, 0
.LBB40_929:
	s_delay_alu instid0(SALU_CYCLE_1)
	s_and_not1_b32 vcc_lo, exec_lo, s25
	s_cbranch_vccnz .LBB40_931
; %bb.930:
	s_wait_loadcnt 0x0
	global_load_i16 v1, v[6:7], off
	s_wait_loadcnt 0x0
	v_cvt_f32_i32_e32 v1, v1
.LBB40_931:
	s_mov_b32 s25, 0
.LBB40_932:
	s_delay_alu instid0(SALU_CYCLE_1)
	s_and_not1_b32 vcc_lo, exec_lo, s25
	s_cbranch_vccnz .LBB40_938
; %bb.933:
	s_cmp_gt_i32 s0, 0
	s_mov_b32 s0, 0
	s_cbranch_scc0 .LBB40_935
; %bb.934:
	s_wait_loadcnt 0x0
	global_load_i8 v1, v[6:7], off
	s_wait_loadcnt 0x0
	v_cvt_f32_i32_e32 v1, v1
	s_branch .LBB40_936
.LBB40_935:
	s_mov_b32 s0, -1
                                        ; implicit-def: $vgpr1
.LBB40_936:
	s_delay_alu instid0(SALU_CYCLE_1)
	s_and_not1_b32 vcc_lo, exec_lo, s0
	s_cbranch_vccnz .LBB40_938
; %bb.937:
	s_wait_loadcnt 0x0
	global_load_u8 v1, v[6:7], off
	s_wait_loadcnt 0x0
	v_cvt_f32_ubyte0_e32 v1, v1
.LBB40_938:
	s_mov_b32 s47, -1
.LBB40_939:
	s_delay_alu instid0(SALU_CYCLE_1)
	s_and_not1_b32 vcc_lo, exec_lo, s47
	s_cbranch_vccnz .LBB40_947
; %bb.940:
	v_mov_b32_e32 v5, 0
	s_and_b32 s0, s9, 0xff
	s_delay_alu instid0(SALU_CYCLE_1) | instskip(NEXT) | instid1(VALU_DEP_1)
	s_cmp_lt_i32 s0, 11
	v_add_nc_u64_e32 v[4:5], s[16:17], v[4:5]
	s_cbranch_scc1 .LBB40_948
; %bb.941:
	s_and_b32 s47, 0xffff, s0
	s_delay_alu instid0(SALU_CYCLE_1)
	s_cmp_gt_i32 s47, 25
	s_cbranch_scc0 .LBB40_949
; %bb.942:
	s_cmp_gt_i32 s47, 28
	s_cbranch_scc0 .LBB40_950
; %bb.943:
	;; [unrolled: 3-line block ×4, first 2 shown]
	s_cmp_eq_u32 s47, 46
	s_mov_b32 s49, 0
	s_cbranch_scc0 .LBB40_955
; %bb.946:
	global_load_b32 v3, v[4:5], off
	s_mov_b32 s48, -1
	s_mov_b32 s25, 0
	s_wait_loadcnt 0x0
	s_wait_xcnt 0x1
	v_lshlrev_b32_e32 v6, 16, v3
	s_branch .LBB40_957
.LBB40_947:
	s_mov_b32 s50, 0
	s_mov_b32 s0, s43
	;; [unrolled: 1-line block ×3, first 2 shown]
	s_branch .LBB40_1120
.LBB40_948:
	s_mov_b32 s47, -1
	s_mov_b32 s48, 0
	s_mov_b32 s25, s44
                                        ; implicit-def: $vgpr6
	s_branch .LBB40_1022
.LBB40_949:
	s_mov_b32 s49, -1
	s_mov_b32 s48, 0
	s_mov_b32 s25, s44
                                        ; implicit-def: $vgpr6
	s_branch .LBB40_986
.LBB40_950:
	s_mov_b32 s49, -1
	s_mov_b32 s48, 0
	s_mov_b32 s25, s44
                                        ; implicit-def: $vgpr6
	s_branch .LBB40_967
.LBB40_951:
	s_mov_b32 s49, -1
	s_mov_b32 s48, 0
	s_mov_b32 s25, s44
                                        ; implicit-def: $vgpr6
	s_branch .LBB40_962
.LBB40_952:
	s_mov_b32 s49, -1
	s_mov_b32 s48, 0
	s_mov_b32 s25, s44
	s_branch .LBB40_956
.LBB40_953:
	s_and_not1_saveexec_b32 s47, s47
	s_cbranch_execz .LBB40_784
.LBB40_954:
	v_add_f32_e64 v1, 0x42800000, |v4|
	s_and_not1_b32 s46, s46, exec_lo
	s_delay_alu instid0(VALU_DEP_1) | instskip(NEXT) | instid1(VALU_DEP_1)
	v_and_b32_e32 v1, 0xff, v1
	v_cmp_ne_u32_e32 vcc_lo, 0, v1
	s_and_b32 s48, vcc_lo, exec_lo
	s_delay_alu instid0(SALU_CYCLE_1)
	s_or_b32 s46, s46, s48
	s_or_b32 exec_lo, exec_lo, s47
	v_mov_b32_e32 v5, 0
	s_and_saveexec_b32 s47, s46
	s_cbranch_execnz .LBB40_785
	s_branch .LBB40_786
.LBB40_955:
	s_mov_b32 s25, -1
	s_mov_b32 s48, 0
.LBB40_956:
                                        ; implicit-def: $vgpr6
.LBB40_957:
	s_and_b32 vcc_lo, exec_lo, s49
	s_cbranch_vccz .LBB40_961
; %bb.958:
	s_cmp_eq_u32 s47, 44
	s_cbranch_scc0 .LBB40_960
; %bb.959:
	global_load_u8 v3, v[4:5], off
	s_mov_b32 s25, 0
	s_mov_b32 s48, -1
	s_wait_loadcnt 0x0
	s_wait_xcnt 0x1
	v_lshlrev_b32_e32 v6, 23, v3
	v_cmp_ne_u32_e32 vcc_lo, 0xff, v3
	s_delay_alu instid0(VALU_DEP_2) | instskip(SKIP_1) | instid1(VALU_DEP_2)
	v_cndmask_b32_e32 v6, 0x7f800001, v6, vcc_lo
	v_cmp_ne_u32_e32 vcc_lo, 0, v3
	v_cndmask_b32_e32 v6, 0x400000, v6, vcc_lo
	s_branch .LBB40_961
.LBB40_960:
	s_mov_b32 s25, -1
                                        ; implicit-def: $vgpr6
.LBB40_961:
	s_mov_b32 s49, 0
.LBB40_962:
	s_delay_alu instid0(SALU_CYCLE_1)
	s_and_b32 vcc_lo, exec_lo, s49
	s_cbranch_vccz .LBB40_966
; %bb.963:
	s_cmp_eq_u32 s47, 29
	s_cbranch_scc0 .LBB40_965
; %bb.964:
	global_load_b64 v[6:7], v[4:5], off
	s_mov_b32 s48, -1
	s_mov_b32 s25, 0
	s_mov_b32 s49, 0
	s_wait_loadcnt 0x0
	v_clz_i32_u32_e32 v3, v7
	s_delay_alu instid0(VALU_DEP_1) | instskip(NEXT) | instid1(VALU_DEP_1)
	v_min_u32_e32 v3, 32, v3
	v_lshlrev_b64_e32 v[6:7], v3, v[6:7]
	v_sub_nc_u32_e32 v3, 32, v3
	s_delay_alu instid0(VALU_DEP_2) | instskip(NEXT) | instid1(VALU_DEP_1)
	v_min_u32_e32 v6, 1, v6
	v_or_b32_e32 v6, v7, v6
	s_delay_alu instid0(VALU_DEP_1) | instskip(NEXT) | instid1(VALU_DEP_1)
	v_cvt_f32_u32_e32 v6, v6
	v_ldexp_f32 v6, v6, v3
	s_branch .LBB40_967
.LBB40_965:
	s_mov_b32 s25, -1
                                        ; implicit-def: $vgpr6
.LBB40_966:
	s_mov_b32 s49, 0
.LBB40_967:
	s_delay_alu instid0(SALU_CYCLE_1)
	s_and_b32 vcc_lo, exec_lo, s49
	s_cbranch_vccz .LBB40_985
; %bb.968:
	s_cmp_lt_i32 s47, 27
	s_cbranch_scc1 .LBB40_971
; %bb.969:
	s_cmp_gt_i32 s47, 27
	s_cbranch_scc0 .LBB40_972
; %bb.970:
	global_load_b32 v3, v[4:5], off
	s_mov_b32 s48, 0
	s_wait_loadcnt 0x0
	s_wait_xcnt 0x1
	v_cvt_f32_u32_e32 v6, v3
	s_branch .LBB40_973
.LBB40_971:
	s_mov_b32 s48, -1
                                        ; implicit-def: $vgpr6
	s_branch .LBB40_976
.LBB40_972:
	s_mov_b32 s48, -1
                                        ; implicit-def: $vgpr6
.LBB40_973:
	s_delay_alu instid0(SALU_CYCLE_1)
	s_and_not1_b32 vcc_lo, exec_lo, s48
	s_cbranch_vccnz .LBB40_975
; %bb.974:
	global_load_u16 v3, v[4:5], off
	s_wait_loadcnt 0x0
	s_wait_xcnt 0x1
	v_cvt_f32_u32_e32 v6, v3
.LBB40_975:
	s_mov_b32 s48, 0
.LBB40_976:
	s_delay_alu instid0(SALU_CYCLE_1)
	s_and_not1_b32 vcc_lo, exec_lo, s48
	s_cbranch_vccnz .LBB40_984
; %bb.977:
	global_load_u8 v3, v[4:5], off
	s_mov_b32 s48, 0
	s_mov_b32 s49, exec_lo
	s_wait_loadcnt 0x0
	v_cmpx_lt_i16_e32 0x7f, v3
	s_xor_b32 s49, exec_lo, s49
	s_cbranch_execz .LBB40_998
; %bb.978:
	s_mov_b32 s48, -1
	s_mov_b32 s50, exec_lo
	v_cmpx_eq_u16_e32 0x80, v3
; %bb.979:
	s_xor_b32 s48, exec_lo, -1
; %bb.980:
	s_or_b32 exec_lo, exec_lo, s50
	s_delay_alu instid0(SALU_CYCLE_1)
	s_and_b32 s48, s48, exec_lo
	s_or_saveexec_b32 s49, s49
	v_mov_b32_e32 v6, 0x7f800001
	s_xor_b32 exec_lo, exec_lo, s49
	s_cbranch_execnz .LBB40_999
.LBB40_981:
	s_or_b32 exec_lo, exec_lo, s49
	s_and_saveexec_b32 s49, s48
	s_cbranch_execz .LBB40_983
.LBB40_982:
	v_and_b32_e32 v6, 0xffff, v3
	s_delay_alu instid0(VALU_DEP_1) | instskip(SKIP_1) | instid1(VALU_DEP_2)
	v_and_b32_e32 v7, 7, v6
	v_bfe_u32 v10, v6, 3, 4
	v_clz_i32_u32_e32 v8, v7
	s_delay_alu instid0(VALU_DEP_2) | instskip(NEXT) | instid1(VALU_DEP_2)
	v_cmp_eq_u32_e32 vcc_lo, 0, v10
	v_min_u32_e32 v8, 32, v8
	s_delay_alu instid0(VALU_DEP_1) | instskip(NEXT) | instid1(VALU_DEP_1)
	v_subrev_nc_u32_e32 v9, 28, v8
	v_dual_lshlrev_b32 v6, v9, v6 :: v_dual_sub_nc_u32 v8, 29, v8
	s_delay_alu instid0(VALU_DEP_1) | instskip(NEXT) | instid1(VALU_DEP_1)
	v_dual_lshlrev_b32 v3, 24, v3 :: v_dual_bitop2_b32 v6, 7, v6 bitop3:0x40
	v_dual_cndmask_b32 v8, v10, v8, vcc_lo :: v_dual_cndmask_b32 v6, v7, v6, vcc_lo
	s_delay_alu instid0(VALU_DEP_2) | instskip(NEXT) | instid1(VALU_DEP_2)
	v_and_b32_e32 v3, 0x80000000, v3
	v_lshl_add_u32 v7, v8, 23, 0x3b800000
	s_delay_alu instid0(VALU_DEP_3) | instskip(NEXT) | instid1(VALU_DEP_1)
	v_lshlrev_b32_e32 v6, 20, v6
	v_or3_b32 v6, v3, v7, v6
.LBB40_983:
	s_or_b32 exec_lo, exec_lo, s49
.LBB40_984:
	s_mov_b32 s48, -1
.LBB40_985:
	s_mov_b32 s49, 0
.LBB40_986:
	s_delay_alu instid0(SALU_CYCLE_1)
	s_and_b32 vcc_lo, exec_lo, s49
	s_cbranch_vccz .LBB40_1021
; %bb.987:
	s_cmp_gt_i32 s47, 22
	s_cbranch_scc0 .LBB40_997
; %bb.988:
	s_cmp_lt_i32 s47, 24
	s_cbranch_scc1 .LBB40_1000
; %bb.989:
	s_cmp_gt_i32 s47, 24
	s_cbranch_scc0 .LBB40_1001
; %bb.990:
	global_load_u8 v3, v[4:5], off
	s_mov_b32 s48, 0
	s_mov_b32 s49, exec_lo
	s_wait_loadcnt 0x0
	v_cmpx_lt_i16_e32 0x7f, v3
	s_xor_b32 s49, exec_lo, s49
	s_cbranch_execz .LBB40_1013
; %bb.991:
	s_mov_b32 s48, -1
	s_mov_b32 s50, exec_lo
	v_cmpx_eq_u16_e32 0x80, v3
; %bb.992:
	s_xor_b32 s48, exec_lo, -1
; %bb.993:
	s_or_b32 exec_lo, exec_lo, s50
	s_delay_alu instid0(SALU_CYCLE_1)
	s_and_b32 s48, s48, exec_lo
	s_or_saveexec_b32 s49, s49
	v_mov_b32_e32 v6, 0x7f800001
	s_xor_b32 exec_lo, exec_lo, s49
	s_cbranch_execnz .LBB40_1014
.LBB40_994:
	s_or_b32 exec_lo, exec_lo, s49
	s_and_saveexec_b32 s49, s48
	s_cbranch_execz .LBB40_996
.LBB40_995:
	v_and_b32_e32 v6, 0xffff, v3
	s_delay_alu instid0(VALU_DEP_1) | instskip(SKIP_1) | instid1(VALU_DEP_2)
	v_and_b32_e32 v7, 3, v6
	v_bfe_u32 v10, v6, 2, 5
	v_clz_i32_u32_e32 v8, v7
	s_delay_alu instid0(VALU_DEP_2) | instskip(NEXT) | instid1(VALU_DEP_2)
	v_cmp_eq_u32_e32 vcc_lo, 0, v10
	v_min_u32_e32 v8, 32, v8
	s_delay_alu instid0(VALU_DEP_1) | instskip(NEXT) | instid1(VALU_DEP_1)
	v_subrev_nc_u32_e32 v9, 29, v8
	v_dual_lshlrev_b32 v6, v9, v6 :: v_dual_sub_nc_u32 v8, 30, v8
	s_delay_alu instid0(VALU_DEP_1) | instskip(NEXT) | instid1(VALU_DEP_1)
	v_dual_lshlrev_b32 v3, 24, v3 :: v_dual_bitop2_b32 v6, 3, v6 bitop3:0x40
	v_dual_cndmask_b32 v8, v10, v8, vcc_lo :: v_dual_cndmask_b32 v6, v7, v6, vcc_lo
	s_delay_alu instid0(VALU_DEP_2) | instskip(NEXT) | instid1(VALU_DEP_2)
	v_and_b32_e32 v3, 0x80000000, v3
	v_lshl_add_u32 v7, v8, 23, 0x37800000
	s_delay_alu instid0(VALU_DEP_3) | instskip(NEXT) | instid1(VALU_DEP_1)
	v_lshlrev_b32_e32 v6, 21, v6
	v_or3_b32 v6, v3, v7, v6
.LBB40_996:
	s_or_b32 exec_lo, exec_lo, s49
	s_mov_b32 s48, 0
	s_branch .LBB40_1002
.LBB40_997:
	s_mov_b32 s49, -1
                                        ; implicit-def: $vgpr6
	s_branch .LBB40_1008
.LBB40_998:
	s_or_saveexec_b32 s49, s49
	v_mov_b32_e32 v6, 0x7f800001
	s_xor_b32 exec_lo, exec_lo, s49
	s_cbranch_execz .LBB40_981
.LBB40_999:
	v_cmp_ne_u16_e32 vcc_lo, 0, v3
	v_mov_b32_e32 v6, 0
	s_and_not1_b32 s48, s48, exec_lo
	s_and_b32 s50, vcc_lo, exec_lo
	s_delay_alu instid0(SALU_CYCLE_1)
	s_or_b32 s48, s48, s50
	s_or_b32 exec_lo, exec_lo, s49
	s_and_saveexec_b32 s49, s48
	s_cbranch_execnz .LBB40_982
	s_branch .LBB40_983
.LBB40_1000:
	s_mov_b32 s48, -1
                                        ; implicit-def: $vgpr6
	s_branch .LBB40_1005
.LBB40_1001:
	s_mov_b32 s48, -1
                                        ; implicit-def: $vgpr6
.LBB40_1002:
	s_delay_alu instid0(SALU_CYCLE_1)
	s_and_b32 vcc_lo, exec_lo, s48
	s_cbranch_vccz .LBB40_1004
; %bb.1003:
	global_load_u8 v3, v[4:5], off
	s_wait_loadcnt 0x0
	v_lshlrev_b32_e32 v3, 24, v3
	s_wait_xcnt 0x1
	s_delay_alu instid0(VALU_DEP_1) | instskip(NEXT) | instid1(VALU_DEP_1)
	v_and_b32_e32 v6, 0x7f000000, v3
	v_clz_i32_u32_e32 v7, v6
	v_cmp_ne_u32_e32 vcc_lo, 0, v6
	v_add_nc_u32_e32 v9, 0x1000000, v6
	s_delay_alu instid0(VALU_DEP_3) | instskip(NEXT) | instid1(VALU_DEP_1)
	v_min_u32_e32 v7, 32, v7
	v_sub_nc_u32_e64 v7, v7, 4 clamp
	s_delay_alu instid0(VALU_DEP_1) | instskip(NEXT) | instid1(VALU_DEP_1)
	v_dual_lshlrev_b32 v8, v7, v6 :: v_dual_lshlrev_b32 v7, 23, v7
	v_lshrrev_b32_e32 v8, 4, v8
	s_delay_alu instid0(VALU_DEP_1) | instskip(NEXT) | instid1(VALU_DEP_1)
	v_dual_sub_nc_u32 v7, v8, v7 :: v_dual_ashrrev_i32 v8, 8, v9
	v_add_nc_u32_e32 v7, 0x3c000000, v7
	s_delay_alu instid0(VALU_DEP_1) | instskip(NEXT) | instid1(VALU_DEP_1)
	v_and_or_b32 v7, 0x7f800000, v8, v7
	v_cndmask_b32_e32 v6, 0, v7, vcc_lo
	s_delay_alu instid0(VALU_DEP_1)
	v_and_or_b32 v6, 0x80000000, v3, v6
.LBB40_1004:
	s_mov_b32 s48, 0
.LBB40_1005:
	s_delay_alu instid0(SALU_CYCLE_1)
	s_and_not1_b32 vcc_lo, exec_lo, s48
	s_cbranch_vccnz .LBB40_1007
; %bb.1006:
	global_load_u8 v3, v[4:5], off
	s_wait_loadcnt 0x0
	s_wait_xcnt 0x1
	v_lshlrev_b32_e32 v6, 25, v3
	v_lshlrev_b16 v3, 8, v3
	s_delay_alu instid0(VALU_DEP_1) | instskip(SKIP_1) | instid1(VALU_DEP_2)
	v_and_or_b32 v8, 0x7f00, v3, 0.5
	v_bfe_i32 v3, v3, 0, 16
	v_dual_add_f32 v8, -0.5, v8 :: v_dual_lshrrev_b32 v7, 4, v6
	v_cmp_gt_u32_e32 vcc_lo, 0x8000000, v6
	s_delay_alu instid0(VALU_DEP_2) | instskip(NEXT) | instid1(VALU_DEP_1)
	v_or_b32_e32 v7, 0x70000000, v7
	v_mul_f32_e32 v7, 0x7800000, v7
	s_delay_alu instid0(VALU_DEP_1) | instskip(NEXT) | instid1(VALU_DEP_1)
	v_cndmask_b32_e32 v6, v7, v8, vcc_lo
	v_and_or_b32 v6, 0x80000000, v3, v6
.LBB40_1007:
	s_mov_b32 s49, 0
	s_mov_b32 s48, -1
.LBB40_1008:
	s_and_not1_b32 vcc_lo, exec_lo, s49
	s_cbranch_vccnz .LBB40_1021
; %bb.1009:
	s_cmp_gt_i32 s47, 14
	s_cbranch_scc0 .LBB40_1012
; %bb.1010:
	s_cmp_eq_u32 s47, 15
	s_cbranch_scc0 .LBB40_1015
; %bb.1011:
	global_load_u16 v3, v[4:5], off
	s_mov_b32 s48, -1
	s_mov_b32 s25, 0
	s_wait_loadcnt 0x0
	s_wait_xcnt 0x1
	v_lshlrev_b32_e32 v6, 16, v3
	s_branch .LBB40_1016
.LBB40_1012:
	s_mov_b32 s49, -1
                                        ; implicit-def: $vgpr6
	s_branch .LBB40_1017
.LBB40_1013:
	s_or_saveexec_b32 s49, s49
	v_mov_b32_e32 v6, 0x7f800001
	s_xor_b32 exec_lo, exec_lo, s49
	s_cbranch_execz .LBB40_994
.LBB40_1014:
	v_cmp_ne_u16_e32 vcc_lo, 0, v3
	v_mov_b32_e32 v6, 0
	s_and_not1_b32 s48, s48, exec_lo
	s_and_b32 s50, vcc_lo, exec_lo
	s_delay_alu instid0(SALU_CYCLE_1)
	s_or_b32 s48, s48, s50
	s_or_b32 exec_lo, exec_lo, s49
	s_and_saveexec_b32 s49, s48
	s_cbranch_execnz .LBB40_995
	s_branch .LBB40_996
.LBB40_1015:
	s_mov_b32 s25, -1
                                        ; implicit-def: $vgpr6
.LBB40_1016:
	s_mov_b32 s49, 0
.LBB40_1017:
	s_delay_alu instid0(SALU_CYCLE_1)
	s_and_b32 vcc_lo, exec_lo, s49
	s_cbranch_vccz .LBB40_1021
; %bb.1018:
	s_cmp_eq_u32 s47, 11
	s_cbranch_scc0 .LBB40_1020
; %bb.1019:
	global_load_u8 v3, v[4:5], off
	s_mov_b32 s25, 0
	s_mov_b32 s48, -1
	s_wait_loadcnt 0x0
	v_cmp_ne_u16_e32 vcc_lo, 0, v3
	s_wait_xcnt 0x1
	v_cndmask_b32_e64 v6, 0, 1.0, vcc_lo
	s_branch .LBB40_1021
.LBB40_1020:
	s_mov_b32 s25, -1
                                        ; implicit-def: $vgpr6
.LBB40_1021:
	s_mov_b32 s47, 0
.LBB40_1022:
	s_delay_alu instid0(SALU_CYCLE_1)
	s_and_b32 vcc_lo, exec_lo, s47
	s_cbranch_vccz .LBB40_1071
; %bb.1023:
	s_and_b32 s0, 0xffff, s0
	s_delay_alu instid0(SALU_CYCLE_1)
	s_cmp_lt_i32 s0, 5
	s_cbranch_scc1 .LBB40_1028
; %bb.1024:
	s_cmp_lt_i32 s0, 8
	s_cbranch_scc1 .LBB40_1029
; %bb.1025:
	;; [unrolled: 3-line block ×3, first 2 shown]
	s_cmp_gt_i32 s0, 9
	s_cbranch_scc0 .LBB40_1031
; %bb.1027:
	global_load_b64 v[6:7], v[4:5], off
	s_mov_b32 s47, 0
	s_wait_loadcnt 0x0
	v_cvt_f32_f64_e32 v6, v[6:7]
	s_branch .LBB40_1032
.LBB40_1028:
	s_mov_b32 s47, -1
                                        ; implicit-def: $vgpr6
	s_branch .LBB40_1050
.LBB40_1029:
	s_mov_b32 s47, -1
                                        ; implicit-def: $vgpr6
	s_branch .LBB40_1038
.LBB40_1030:
	s_mov_b32 s47, -1
                                        ; implicit-def: $vgpr6
	s_branch .LBB40_1035
.LBB40_1031:
	s_mov_b32 s47, -1
                                        ; implicit-def: $vgpr6
.LBB40_1032:
	s_delay_alu instid0(SALU_CYCLE_1)
	s_and_not1_b32 vcc_lo, exec_lo, s47
	s_cbranch_vccnz .LBB40_1034
; %bb.1033:
	global_load_b32 v6, v[4:5], off
.LBB40_1034:
	s_mov_b32 s47, 0
.LBB40_1035:
	s_delay_alu instid0(SALU_CYCLE_1)
	s_and_not1_b32 vcc_lo, exec_lo, s47
	s_cbranch_vccnz .LBB40_1037
; %bb.1036:
	global_load_b32 v3, v[4:5], off
	s_wait_loadcnt 0x0
	s_wait_xcnt 0x1
	v_cvt_f32_f16_e32 v6, v3
.LBB40_1037:
	s_mov_b32 s47, 0
.LBB40_1038:
	s_delay_alu instid0(SALU_CYCLE_1)
	s_and_not1_b32 vcc_lo, exec_lo, s47
	s_cbranch_vccnz .LBB40_1049
; %bb.1039:
	s_cmp_lt_i32 s0, 6
	s_cbranch_scc1 .LBB40_1042
; %bb.1040:
	s_cmp_gt_i32 s0, 6
	s_cbranch_scc0 .LBB40_1043
; %bb.1041:
	s_wait_loadcnt 0x0
	global_load_b64 v[6:7], v[4:5], off
	s_mov_b32 s47, 0
	s_wait_loadcnt 0x0
	v_cvt_f32_f64_e32 v6, v[6:7]
	s_branch .LBB40_1044
.LBB40_1042:
	s_mov_b32 s47, -1
                                        ; implicit-def: $vgpr6
	s_branch .LBB40_1047
.LBB40_1043:
	s_mov_b32 s47, -1
                                        ; implicit-def: $vgpr6
.LBB40_1044:
	s_delay_alu instid0(SALU_CYCLE_1)
	s_and_not1_b32 vcc_lo, exec_lo, s47
	s_cbranch_vccnz .LBB40_1046
; %bb.1045:
	s_wait_loadcnt 0x0
	global_load_b32 v6, v[4:5], off
.LBB40_1046:
	s_mov_b32 s47, 0
.LBB40_1047:
	s_delay_alu instid0(SALU_CYCLE_1)
	s_and_not1_b32 vcc_lo, exec_lo, s47
	s_cbranch_vccnz .LBB40_1049
; %bb.1048:
	global_load_u16 v3, v[4:5], off
	s_wait_loadcnt 0x0
	s_wait_xcnt 0x1
	v_cvt_f32_f16_e32 v6, v3
.LBB40_1049:
	s_mov_b32 s47, 0
.LBB40_1050:
	s_delay_alu instid0(SALU_CYCLE_1)
	s_and_not1_b32 vcc_lo, exec_lo, s47
	s_cbranch_vccnz .LBB40_1070
; %bb.1051:
	s_cmp_lt_i32 s0, 2
	s_cbranch_scc1 .LBB40_1055
; %bb.1052:
	s_cmp_lt_i32 s0, 3
	s_cbranch_scc1 .LBB40_1056
; %bb.1053:
	s_cmp_gt_i32 s0, 3
	s_cbranch_scc0 .LBB40_1057
; %bb.1054:
	s_wait_loadcnt 0x0
	global_load_b64 v[6:7], v[4:5], off
	s_mov_b32 s47, 0
	s_wait_loadcnt 0x0
	v_xor_b32_e32 v3, v6, v7
	v_cls_i32_e32 v8, v7
	s_delay_alu instid0(VALU_DEP_2) | instskip(NEXT) | instid1(VALU_DEP_1)
	v_ashrrev_i32_e32 v3, 31, v3
	v_add_nc_u32_e32 v3, 32, v3
	s_delay_alu instid0(VALU_DEP_1) | instskip(NEXT) | instid1(VALU_DEP_1)
	v_add_min_u32_e64 v3, v8, -1, v3
	v_lshlrev_b64_e32 v[6:7], v3, v[6:7]
	v_sub_nc_u32_e32 v3, 32, v3
	s_delay_alu instid0(VALU_DEP_2) | instskip(NEXT) | instid1(VALU_DEP_1)
	v_min_u32_e32 v6, 1, v6
	v_or_b32_e32 v6, v7, v6
	s_delay_alu instid0(VALU_DEP_1) | instskip(NEXT) | instid1(VALU_DEP_1)
	v_cvt_f32_i32_e32 v6, v6
	v_ldexp_f32 v6, v6, v3
	s_branch .LBB40_1058
.LBB40_1055:
	s_mov_b32 s47, -1
                                        ; implicit-def: $vgpr6
	s_branch .LBB40_1064
.LBB40_1056:
	s_mov_b32 s47, -1
                                        ; implicit-def: $vgpr6
	s_branch .LBB40_1061
.LBB40_1057:
	s_mov_b32 s47, -1
                                        ; implicit-def: $vgpr6
.LBB40_1058:
	s_delay_alu instid0(SALU_CYCLE_1)
	s_and_not1_b32 vcc_lo, exec_lo, s47
	s_cbranch_vccnz .LBB40_1060
; %bb.1059:
	global_load_b32 v3, v[4:5], off
	s_wait_loadcnt 0x0
	s_wait_xcnt 0x1
	v_cvt_f32_i32_e32 v6, v3
.LBB40_1060:
	s_mov_b32 s47, 0
.LBB40_1061:
	s_delay_alu instid0(SALU_CYCLE_1)
	s_and_not1_b32 vcc_lo, exec_lo, s47
	s_cbranch_vccnz .LBB40_1063
; %bb.1062:
	global_load_i16 v3, v[4:5], off
	s_wait_loadcnt 0x0
	s_wait_xcnt 0x1
	v_cvt_f32_i32_e32 v6, v3
.LBB40_1063:
	s_mov_b32 s47, 0
.LBB40_1064:
	s_delay_alu instid0(SALU_CYCLE_1)
	s_and_not1_b32 vcc_lo, exec_lo, s47
	s_cbranch_vccnz .LBB40_1070
; %bb.1065:
	s_cmp_gt_i32 s0, 0
	s_mov_b32 s0, 0
	s_cbranch_scc0 .LBB40_1067
; %bb.1066:
	global_load_i8 v3, v[4:5], off
	s_wait_loadcnt 0x0
	s_wait_xcnt 0x1
	v_cvt_f32_i32_e32 v6, v3
	s_branch .LBB40_1068
.LBB40_1067:
	s_mov_b32 s0, -1
                                        ; implicit-def: $vgpr6
.LBB40_1068:
	s_delay_alu instid0(SALU_CYCLE_1)
	s_and_not1_b32 vcc_lo, exec_lo, s0
	s_cbranch_vccnz .LBB40_1070
; %bb.1069:
	global_load_u8 v3, v[4:5], off
	s_wait_loadcnt 0x0
	s_wait_xcnt 0x1
	v_cvt_f32_ubyte0_e32 v6, v3
.LBB40_1070:
	s_mov_b32 s48, -1
.LBB40_1071:
	s_delay_alu instid0(SALU_CYCLE_1)
	s_and_not1_b32 vcc_lo, exec_lo, s48
	s_cbranch_vccnz .LBB40_1079
; %bb.1072:
	s_wait_loadcnt 0x0
	s_delay_alu instid0(VALU_DEP_1) | instskip(SKIP_3) | instid1(VALU_DEP_2)
	v_dual_mov_b32 v3, 0 :: v_dual_mul_f32 v4, v1, v6
	v_cmp_lt_f32_e32 vcc_lo, 0, v1
	s_and_b32 s47, s31, 0xff
	s_mov_b32 s49, 0
	v_add_nc_u64_e32 v[2:3], s[4:5], v[2:3]
	s_mov_b32 s48, -1
	v_cndmask_b32_e32 v4, v4, v1, vcc_lo
	s_cmp_lt_i32 s47, 11
	s_mov_b32 s0, s43
	s_cbranch_scc1 .LBB40_1080
; %bb.1073:
	s_and_b32 s48, 0xffff, s47
	s_delay_alu instid0(SALU_CYCLE_1)
	s_cmp_gt_i32 s48, 25
	s_cbranch_scc0 .LBB40_1145
; %bb.1074:
	s_cmp_gt_i32 s48, 28
	s_cbranch_scc0 .LBB40_1147
; %bb.1075:
	s_cmp_gt_i32 s48, 43
	s_cbranch_scc0 .LBB40_1149
; %bb.1076:
	s_cmp_gt_i32 s48, 45
	s_cbranch_scc0 .LBB40_1151
; %bb.1077:
	s_mov_b32 s50, 0
	s_mov_b32 s0, -1
	s_cmp_eq_u32 s48, 46
	s_cbranch_scc0 .LBB40_1152
; %bb.1078:
	v_bfe_u32 v1, v4, 16, 1
	v_cmp_o_f32_e32 vcc_lo, v4, v4
	s_mov_b32 s49, -1
	s_mov_b32 s0, 0
	s_delay_alu instid0(VALU_DEP_2) | instskip(NEXT) | instid1(VALU_DEP_1)
	v_add3_u32 v1, v4, v1, 0x7fff
	v_lshrrev_b32_e32 v1, 16, v1
	s_delay_alu instid0(VALU_DEP_1)
	v_cndmask_b32_e32 v1, 0x7fc0, v1, vcc_lo
	global_store_b32 v[2:3], v1, off
	s_branch .LBB40_1152
.LBB40_1079:
	s_mov_b32 s50, 0
	s_mov_b32 s0, s43
	s_branch .LBB40_1120
.LBB40_1080:
	s_and_b32 vcc_lo, exec_lo, s48
	s_cbranch_vccz .LBB40_1221
; %bb.1081:
	s_and_b32 s47, 0xffff, s47
	s_mov_b32 s48, -1
	s_cmp_lt_i32 s47, 5
	s_cbranch_scc1 .LBB40_1102
; %bb.1082:
	s_cmp_lt_i32 s47, 8
	s_cbranch_scc1 .LBB40_1092
; %bb.1083:
	s_cmp_lt_i32 s47, 9
	s_cbranch_scc1 .LBB40_1089
; %bb.1084:
	s_cmp_gt_i32 s47, 9
	s_cbranch_scc0 .LBB40_1086
; %bb.1085:
	s_wait_xcnt 0x0
	v_cvt_f64_f32_e32 v[6:7], v4
	v_mov_b32_e32 v8, 0
	s_mov_b32 s48, 0
	s_delay_alu instid0(VALU_DEP_1)
	v_mov_b32_e32 v9, v8
	global_store_b128 v[2:3], v[6:9], off
.LBB40_1086:
	s_and_not1_b32 vcc_lo, exec_lo, s48
	s_cbranch_vccnz .LBB40_1088
; %bb.1087:
	s_wait_xcnt 0x0
	v_mov_b32_e32 v5, 0
	global_store_b64 v[2:3], v[4:5], off
.LBB40_1088:
	s_mov_b32 s48, 0
.LBB40_1089:
	s_delay_alu instid0(SALU_CYCLE_1)
	s_and_not1_b32 vcc_lo, exec_lo, s48
	s_cbranch_vccnz .LBB40_1091
; %bb.1090:
	s_wait_xcnt 0x0
	v_cvt_f16_f32_e32 v1, v4
	s_delay_alu instid0(VALU_DEP_1)
	v_and_b32_e32 v1, 0xffff, v1
	global_store_b32 v[2:3], v1, off
.LBB40_1091:
	s_mov_b32 s48, 0
.LBB40_1092:
	s_delay_alu instid0(SALU_CYCLE_1)
	s_and_not1_b32 vcc_lo, exec_lo, s48
	s_cbranch_vccnz .LBB40_1101
; %bb.1093:
	s_cmp_lt_i32 s47, 6
	s_mov_b32 s48, -1
	s_cbranch_scc1 .LBB40_1099
; %bb.1094:
	s_cmp_gt_i32 s47, 6
	s_cbranch_scc0 .LBB40_1096
; %bb.1095:
	s_wait_xcnt 0x0
	v_cvt_f64_f32_e32 v[6:7], v4
	s_mov_b32 s48, 0
	global_store_b64 v[2:3], v[6:7], off
.LBB40_1096:
	s_and_not1_b32 vcc_lo, exec_lo, s48
	s_cbranch_vccnz .LBB40_1098
; %bb.1097:
	global_store_b32 v[2:3], v4, off
.LBB40_1098:
	s_mov_b32 s48, 0
.LBB40_1099:
	s_delay_alu instid0(SALU_CYCLE_1)
	s_and_not1_b32 vcc_lo, exec_lo, s48
	s_cbranch_vccnz .LBB40_1101
; %bb.1100:
	s_wait_xcnt 0x0
	v_cvt_f16_f32_e32 v1, v4
	global_store_b16 v[2:3], v1, off
.LBB40_1101:
	s_mov_b32 s48, 0
.LBB40_1102:
	s_delay_alu instid0(SALU_CYCLE_1)
	s_and_not1_b32 vcc_lo, exec_lo, s48
	s_cbranch_vccnz .LBB40_1118
; %bb.1103:
	s_cmp_lt_i32 s47, 2
	s_mov_b32 s48, -1
	s_cbranch_scc1 .LBB40_1113
; %bb.1104:
	s_cmp_lt_i32 s47, 3
	s_cbranch_scc1 .LBB40_1110
; %bb.1105:
	s_cmp_gt_i32 s47, 3
	s_cbranch_scc0 .LBB40_1107
; %bb.1106:
	s_wait_xcnt 0x0
	v_trunc_f32_e32 v1, v4
	s_mov_b32 s48, 0
	s_delay_alu instid0(VALU_DEP_1) | instskip(SKIP_1) | instid1(VALU_DEP_2)
	v_mul_f32_e64 v5, 0x2f800000, |v1|
	v_ashrrev_i32_e32 v6, 31, v1
	v_floor_f32_e32 v5, v5
	s_delay_alu instid0(VALU_DEP_1) | instskip(SKIP_1) | instid1(VALU_DEP_2)
	v_fma_f32 v7, 0xcf800000, v5, |v1|
	v_cvt_u32_f32_e32 v1, v5
	v_cvt_u32_f32_e32 v5, v7
	s_delay_alu instid0(VALU_DEP_2) | instskip(NEXT) | instid1(VALU_DEP_2)
	v_dual_mov_b32 v7, v6 :: v_dual_bitop2_b32 v9, v1, v6 bitop3:0x14
	v_xor_b32_e32 v8, v5, v6
	s_delay_alu instid0(VALU_DEP_1)
	v_sub_nc_u64_e32 v[6:7], v[8:9], v[6:7]
	global_store_b64 v[2:3], v[6:7], off
.LBB40_1107:
	s_and_not1_b32 vcc_lo, exec_lo, s48
	s_cbranch_vccnz .LBB40_1109
; %bb.1108:
	s_wait_xcnt 0x0
	v_cvt_i32_f32_e32 v1, v4
	global_store_b32 v[2:3], v1, off
.LBB40_1109:
	s_mov_b32 s48, 0
.LBB40_1110:
	s_delay_alu instid0(SALU_CYCLE_1)
	s_and_not1_b32 vcc_lo, exec_lo, s48
	s_cbranch_vccnz .LBB40_1112
; %bb.1111:
	s_wait_xcnt 0x0
	v_cvt_i32_f32_e32 v1, v4
	global_store_b16 v[2:3], v1, off
.LBB40_1112:
	s_mov_b32 s48, 0
.LBB40_1113:
	s_delay_alu instid0(SALU_CYCLE_1)
	s_and_not1_b32 vcc_lo, exec_lo, s48
	s_cbranch_vccnz .LBB40_1118
; %bb.1114:
	s_cmp_gt_i32 s47, 0
	s_mov_b32 s47, -1
	s_cbranch_scc0 .LBB40_1116
; %bb.1115:
	s_wait_xcnt 0x0
	v_cvt_i32_f32_e32 v1, v4
	s_mov_b32 s47, 0
	global_store_b8 v[2:3], v1, off
.LBB40_1116:
	s_and_not1_b32 vcc_lo, exec_lo, s47
	s_cbranch_vccnz .LBB40_1118
; %bb.1117:
	s_wait_xcnt 0x0
	v_trunc_f32_e32 v1, v4
	s_delay_alu instid0(VALU_DEP_1) | instskip(NEXT) | instid1(VALU_DEP_1)
	v_mul_f32_e64 v4, 0x2f800000, |v1|
	v_floor_f32_e32 v4, v4
	s_delay_alu instid0(VALU_DEP_1) | instskip(SKIP_1) | instid1(VALU_DEP_2)
	v_fma_f32 v4, 0xcf800000, v4, |v1|
	v_ashrrev_i32_e32 v1, 31, v1
	v_cvt_u32_f32_e32 v4, v4
	s_delay_alu instid0(VALU_DEP_1) | instskip(NEXT) | instid1(VALU_DEP_1)
	v_xor_b32_e32 v4, v4, v1
	v_sub_nc_u32_e32 v1, v4, v1
	global_store_b8 v[2:3], v1, off
.LBB40_1118:
	s_branch .LBB40_1222
.LBB40_1119:
	s_mov_b32 s50, 0
.LBB40_1120:
                                        ; implicit-def: $vgpr0
.LBB40_1121:
	s_and_not1_b32 s47, s43, exec_lo
	s_and_b32 s0, s0, exec_lo
	s_and_b32 s25, s25, exec_lo
	s_or_b32 s48, s47, s0
	s_and_not1_b32 s0, s44, exec_lo
	s_and_not1_b32 s47, s42, exec_lo
	s_and_b32 s24, s24, exec_lo
	s_or_b32 s49, s0, s25
	s_or_b32 s47, s47, s24
	s_or_not1_b32 s51, s50, exec_lo
.LBB40_1122:
	s_wait_xcnt 0x0
	s_or_b32 exec_lo, exec_lo, s46
	s_mov_b32 s25, 0
	s_mov_b32 s50, 0
	;; [unrolled: 1-line block ×3, first 2 shown]
                                        ; implicit-def: $sgpr0
                                        ; implicit-def: $vgpr6_vgpr7
                                        ; implicit-def: $vgpr4
                                        ; implicit-def: $vgpr2
                                        ; implicit-def: $vgpr8
	s_and_saveexec_b32 s46, s51
	s_cbranch_execz .LBB40_1292
; %bb.1123:
	v_cmp_gt_i32_e32 vcc_lo, s36, v0
	s_mov_b32 s51, s47
                                        ; implicit-def: $sgpr0
                                        ; implicit-def: $vgpr6_vgpr7
                                        ; implicit-def: $vgpr4
                                        ; implicit-def: $vgpr2
                                        ; implicit-def: $vgpr8
	s_and_saveexec_b32 s36, vcc_lo
	s_cbranch_execz .LBB40_1291
; %bb.1124:
	s_and_not1_b32 vcc_lo, exec_lo, s29
	s_cbranch_vccnz .LBB40_1130
; %bb.1125:
	s_and_not1_b32 vcc_lo, exec_lo, s37
	s_cbranch_vccnz .LBB40_1131
; %bb.1126:
	s_wait_loadcnt 0x0
	v_dual_mov_b32 v2, 0 :: v_dual_mov_b32 v1, v0
	v_dual_mov_b32 v6, 0 :: v_dual_mov_b32 v4, 0
	s_add_co_i32 s0, s35, 1
	s_mov_b64 s[24:25], 0xffffffffffffffe8
	s_and_b32 s0, s0, 30
	s_add_nc_u64 s[24:25], s[2:3], s[24:25]
.LBB40_1127:                            ; =>This Inner Loop Header: Depth=1
	s_clause 0x1
	s_load_b128 s[52:55], s[24:25], 0x1c
	s_load_b64 s[50:51], s[24:25], 0x2c
	s_add_co_i32 s0, s0, -2
	s_delay_alu instid0(SALU_CYCLE_1) | instskip(SKIP_2) | instid1(VALU_DEP_1)
	s_cmp_eq_u32 s0, 0
	s_wait_kmcnt 0x0
	v_mul_hi_u32 v3, s53, v1
	v_add_nc_u32_e32 v3, v1, v3
	s_delay_alu instid0(VALU_DEP_1) | instskip(NEXT) | instid1(VALU_DEP_1)
	v_lshrrev_b32_e32 v3, s54, v3
	v_mul_hi_u32 v5, s50, v3
	v_mul_lo_u32 v7, v3, s52
	s_clause 0x1
	s_load_b128 s[56:59], s[24:25], 0xdc
	s_load_b64 s[52:53], s[24:25], 0xec
	s_wait_xcnt 0x0
	s_add_nc_u64 s[24:25], s[24:25], 24
	s_delay_alu instid0(VALU_DEP_1) | instskip(NEXT) | instid1(VALU_DEP_1)
	v_dual_add_nc_u32 v5, v3, v5 :: v_dual_sub_nc_u32 v7, v1, v7
	v_lshrrev_b32_e32 v1, s51, v5
	s_wait_kmcnt 0x0
	s_delay_alu instid0(VALU_DEP_2) | instskip(NEXT) | instid1(VALU_DEP_2)
	v_mad_u32 v2, v7, s56, v2
	v_mul_lo_u32 v5, v1, s55
	v_mad_u32 v4, v7, s58, v4
	v_mad_u32 v6, v7, s57, v6
	s_delay_alu instid0(VALU_DEP_3) | instskip(NEXT) | instid1(VALU_DEP_1)
	v_sub_nc_u32_e32 v3, v3, v5
	v_mad_u32 v2, v3, s59, v2
	s_delay_alu instid0(VALU_DEP_4) | instskip(NEXT) | instid1(VALU_DEP_4)
	v_mad_u32 v4, v3, s53, v4
	v_mad_u32 v6, v3, s52, v6
	s_cbranch_scc0 .LBB40_1127
; %bb.1128:
	s_bitcmp1_b32 s35, 0
	s_cselect_b32 s0, -1, 0
	s_delay_alu instid0(SALU_CYCLE_1)
	s_and_b32 vcc_lo, exec_lo, s0
	s_cbranch_vccnz .LBB40_1132
; %bb.1129:
	s_clause 0x1
	s_load_b96 s[52:54], s[24:25], 0x1c
	s_load_b96 s[56:58], s[24:25], 0xdc
	s_wait_kmcnt 0x0
	v_mul_hi_u32 v3, s53, v1
	s_delay_alu instid0(VALU_DEP_1) | instskip(NEXT) | instid1(VALU_DEP_1)
	v_add_nc_u32_e32 v3, v1, v3
	v_lshrrev_b32_e32 v3, s54, v3
	s_delay_alu instid0(VALU_DEP_1) | instskip(NEXT) | instid1(VALU_DEP_1)
	v_mul_lo_u32 v3, v3, s52
	v_sub_nc_u32_e32 v1, v1, v3
	s_delay_alu instid0(VALU_DEP_1)
	v_mad_u32 v2, v1, s56, v2
	v_mad_u32 v6, v1, s57, v6
	;; [unrolled: 1-line block ×3, first 2 shown]
	s_branch .LBB40_1132
.LBB40_1130:
	s_mov_b32 s0, -1
                                        ; implicit-def: $vgpr4
                                        ; implicit-def: $vgpr6
                                        ; implicit-def: $vgpr2
	s_branch .LBB40_1133
.LBB40_1131:
	s_wait_loadcnt 0x0
	v_dual_mov_b32 v4, 0 :: v_dual_mov_b32 v6, 0
	v_mov_b32_e32 v2, 0
.LBB40_1132:
	s_mov_b32 s0, 0
.LBB40_1133:
	s_delay_alu instid0(SALU_CYCLE_1)
	s_and_not1_b32 vcc_lo, exec_lo, s0
	s_cbranch_vccnz .LBB40_1136
; %bb.1134:
	s_wait_loadcnt 0x0
	v_mov_b32_e32 v1, 0
	s_and_not1_b32 vcc_lo, exec_lo, s34
	s_delay_alu instid0(VALU_DEP_1) | instskip(NEXT) | instid1(VALU_DEP_1)
	v_mul_u64_e32 v[2:3], s[18:19], v[0:1]
	v_add_nc_u32_e32 v2, v0, v3
	s_delay_alu instid0(VALU_DEP_1) | instskip(NEXT) | instid1(VALU_DEP_1)
	v_lshrrev_b32_e32 v8, s10, v2
	v_mul_lo_u32 v2, v8, s8
	s_delay_alu instid0(VALU_DEP_1) | instskip(NEXT) | instid1(VALU_DEP_1)
	v_sub_nc_u32_e32 v0, v0, v2
	v_mul_lo_u32 v2, v0, s12
	v_mul_lo_u32 v4, v0, s14
	;; [unrolled: 1-line block ×3, first 2 shown]
	s_cbranch_vccnz .LBB40_1136
; %bb.1135:
	v_mov_b32_e32 v9, v1
	s_delay_alu instid0(VALU_DEP_1) | instskip(NEXT) | instid1(VALU_DEP_1)
	v_mul_u64_e32 v[0:1], s[22:23], v[8:9]
	v_add_nc_u32_e32 v0, v8, v1
	s_delay_alu instid0(VALU_DEP_1) | instskip(NEXT) | instid1(VALU_DEP_1)
	v_lshrrev_b32_e32 v0, s1, v0
	v_mul_lo_u32 v0, v0, s11
	s_delay_alu instid0(VALU_DEP_1) | instskip(NEXT) | instid1(VALU_DEP_1)
	v_sub_nc_u32_e32 v0, v8, v0
	v_mad_u32 v2, v0, s15, v2
	v_mad_u32 v6, v0, s20, v6
	;; [unrolled: 1-line block ×3, first 2 shown]
.LBB40_1136:
	v_mov_b32_e32 v7, 0
	s_and_b32 s0, s33, 0xff
	s_delay_alu instid0(SALU_CYCLE_1) | instskip(SKIP_1) | instid1(VALU_DEP_1)
	s_cmp_lt_i32 s0, 11
	s_wait_loadcnt 0x0
	v_add_nc_u64_e32 v[6:7], s[6:7], v[6:7]
	s_cbranch_scc1 .LBB40_1143
; %bb.1137:
	s_and_b32 s1, 0xffff, s0
	s_mov_b32 s7, 0
	s_cmp_gt_i32 s1, 25
	s_cbranch_scc0 .LBB40_1144
; %bb.1138:
	s_cmp_gt_i32 s1, 28
	s_cbranch_scc0 .LBB40_1146
; %bb.1139:
	;; [unrolled: 3-line block ×4, first 2 shown]
	s_cmp_eq_u32 s1, 46
	s_mov_b32 s10, 0
	s_cbranch_scc0 .LBB40_1223
; %bb.1142:
	global_load_b32 v0, v[6:7], off
	s_mov_b32 s6, 0
	s_mov_b32 s8, -1
	s_wait_loadcnt 0x0
	v_lshlrev_b32_e32 v8, 16, v0
	s_branch .LBB40_1225
.LBB40_1143:
	s_mov_b32 s1, -1
	s_mov_b32 s8, 0
	s_mov_b32 s7, 0
	;; [unrolled: 1-line block ×3, first 2 shown]
                                        ; implicit-def: $vgpr8
	s_branch .LBB40_1290
.LBB40_1144:
	s_mov_b32 s10, -1
	s_mov_b32 s8, 0
	s_mov_b32 s6, s47
                                        ; implicit-def: $vgpr8
	s_branch .LBB40_1256
.LBB40_1145:
	s_mov_b32 s50, -1
	s_mov_b32 s0, s43
	s_branch .LBB40_1179
.LBB40_1146:
	s_mov_b32 s10, -1
	s_mov_b32 s8, 0
	s_mov_b32 s6, s47
                                        ; implicit-def: $vgpr8
	s_branch .LBB40_1237
.LBB40_1147:
	s_mov_b32 s50, -1
	s_mov_b32 s0, s43
	s_branch .LBB40_1162
.LBB40_1148:
	s_mov_b32 s10, -1
	s_mov_b32 s8, 0
	s_mov_b32 s6, s47
                                        ; implicit-def: $vgpr8
	s_branch .LBB40_1232
.LBB40_1149:
	s_mov_b32 s50, -1
	s_mov_b32 s0, s43
	s_branch .LBB40_1158
.LBB40_1150:
	s_mov_b32 s10, -1
	s_mov_b32 s8, 0
	s_mov_b32 s6, s47
	s_branch .LBB40_1224
.LBB40_1151:
	s_mov_b32 s50, -1
	s_mov_b32 s0, s43
.LBB40_1152:
	s_and_b32 vcc_lo, exec_lo, s50
	s_cbranch_vccz .LBB40_1157
; %bb.1153:
	s_cmp_eq_u32 s48, 44
	s_mov_b32 s0, -1
	s_cbranch_scc0 .LBB40_1157
; %bb.1154:
	v_bfe_u32 v5, v4, 23, 8
	s_wait_xcnt 0x0
	v_mov_b32_e32 v1, 0xff
	s_mov_b32 s49, exec_lo
	s_delay_alu instid0(VALU_DEP_2)
	v_cmpx_ne_u32_e32 0xff, v5
	s_cbranch_execz .LBB40_1156
; %bb.1155:
	v_and_b32_e32 v1, 0x400000, v4
	v_and_or_b32 v5, 0x3fffff, v4, v5
	s_delay_alu instid0(VALU_DEP_2) | instskip(NEXT) | instid1(VALU_DEP_2)
	v_cmp_ne_u32_e32 vcc_lo, 0, v1
	v_cmp_ne_u32_e64 s0, 0, v5
	v_lshrrev_b32_e32 v1, 23, v4
	s_and_b32 s0, vcc_lo, s0
	s_delay_alu instid0(SALU_CYCLE_1) | instskip(NEXT) | instid1(VALU_DEP_1)
	v_cndmask_b32_e64 v5, 0, 1, s0
	v_add_nc_u32_e32 v1, v1, v5
.LBB40_1156:
	s_or_b32 exec_lo, exec_lo, s49
	s_mov_b32 s49, -1
	s_mov_b32 s0, 0
	global_store_b8 v[2:3], v1, off
.LBB40_1157:
	s_mov_b32 s50, 0
.LBB40_1158:
	s_delay_alu instid0(SALU_CYCLE_1)
	s_and_b32 vcc_lo, exec_lo, s50
	s_cbranch_vccz .LBB40_1161
; %bb.1159:
	s_cmp_eq_u32 s48, 29
	s_mov_b32 s0, -1
	s_cbranch_scc0 .LBB40_1161
; %bb.1160:
	s_wait_xcnt 0x0
	v_trunc_f32_e32 v1, v4
	s_mov_b32 s49, -1
	s_mov_b32 s0, 0
	s_mov_b32 s50, 0
	s_delay_alu instid0(VALU_DEP_1) | instskip(NEXT) | instid1(VALU_DEP_1)
	v_mul_f32_e32 v5, 0x2f800000, v1
	v_floor_f32_e32 v5, v5
	s_delay_alu instid0(VALU_DEP_1) | instskip(SKIP_1) | instid1(VALU_DEP_2)
	v_fmamk_f32 v1, v5, 0xcf800000, v1
	v_cvt_u32_f32_e32 v7, v5
	v_cvt_u32_f32_e32 v6, v1
	global_store_b64 v[2:3], v[6:7], off
	s_branch .LBB40_1162
.LBB40_1161:
	s_mov_b32 s50, 0
.LBB40_1162:
	s_delay_alu instid0(SALU_CYCLE_1)
	s_and_b32 vcc_lo, exec_lo, s50
	s_cbranch_vccz .LBB40_1178
; %bb.1163:
	s_cmp_lt_i32 s48, 27
	s_mov_b32 s49, -1
	s_cbranch_scc1 .LBB40_1169
; %bb.1164:
	s_cmp_gt_i32 s48, 27
	s_cbranch_scc0 .LBB40_1166
; %bb.1165:
	s_wait_xcnt 0x0
	v_cvt_u32_f32_e32 v1, v4
	s_mov_b32 s49, 0
	global_store_b32 v[2:3], v1, off
.LBB40_1166:
	s_and_not1_b32 vcc_lo, exec_lo, s49
	s_cbranch_vccnz .LBB40_1168
; %bb.1167:
	s_wait_xcnt 0x0
	v_cvt_u32_f32_e32 v1, v4
	global_store_b16 v[2:3], v1, off
.LBB40_1168:
	s_mov_b32 s49, 0
.LBB40_1169:
	s_delay_alu instid0(SALU_CYCLE_1)
	s_and_not1_b32 vcc_lo, exec_lo, s49
	s_cbranch_vccnz .LBB40_1177
; %bb.1170:
	s_wait_xcnt 0x0
	v_and_b32_e32 v1, 0x7fffffff, v4
	v_mov_b32_e32 v5, 0x80
	s_mov_b32 s49, exec_lo
	s_delay_alu instid0(VALU_DEP_2)
	v_cmpx_gt_u32_e32 0x43800000, v1
	s_cbranch_execz .LBB40_1176
; %bb.1171:
	v_cmp_lt_u32_e32 vcc_lo, 0x3bffffff, v1
	s_mov_b32 s50, 0
                                        ; implicit-def: $vgpr1
	s_and_saveexec_b32 s51, vcc_lo
	s_delay_alu instid0(SALU_CYCLE_1)
	s_xor_b32 s51, exec_lo, s51
	s_cbranch_execz .LBB40_1228
; %bb.1172:
	v_bfe_u32 v1, v4, 20, 1
	s_mov_b32 s50, exec_lo
	s_delay_alu instid0(VALU_DEP_1) | instskip(NEXT) | instid1(VALU_DEP_1)
	v_add3_u32 v1, v4, v1, 0x487ffff
	v_lshrrev_b32_e32 v1, 20, v1
	s_and_not1_saveexec_b32 s51, s51
	s_cbranch_execnz .LBB40_1229
.LBB40_1173:
	s_or_b32 exec_lo, exec_lo, s51
	v_mov_b32_e32 v5, 0
	s_and_saveexec_b32 s51, s50
.LBB40_1174:
	v_lshrrev_b32_e32 v5, 24, v4
	s_delay_alu instid0(VALU_DEP_1)
	v_and_or_b32 v5, 0x80, v5, v1
.LBB40_1175:
	s_or_b32 exec_lo, exec_lo, s51
.LBB40_1176:
	s_delay_alu instid0(SALU_CYCLE_1)
	s_or_b32 exec_lo, exec_lo, s49
	global_store_b8 v[2:3], v5, off
.LBB40_1177:
	s_mov_b32 s49, -1
.LBB40_1178:
	s_mov_b32 s50, 0
.LBB40_1179:
	s_delay_alu instid0(SALU_CYCLE_1)
	s_and_b32 vcc_lo, exec_lo, s50
	s_cbranch_vccz .LBB40_1220
; %bb.1180:
	s_cmp_gt_i32 s48, 22
	s_mov_b32 s50, -1
	s_cbranch_scc0 .LBB40_1212
; %bb.1181:
	s_cmp_lt_i32 s48, 24
	s_mov_b32 s49, -1
	s_cbranch_scc1 .LBB40_1201
; %bb.1182:
	s_cmp_gt_i32 s48, 24
	s_cbranch_scc0 .LBB40_1190
; %bb.1183:
	s_wait_xcnt 0x0
	v_and_b32_e32 v1, 0x7fffffff, v4
	v_mov_b32_e32 v5, 0x80
	s_mov_b32 s49, exec_lo
	s_delay_alu instid0(VALU_DEP_2)
	v_cmpx_gt_u32_e32 0x47800000, v1
	s_cbranch_execz .LBB40_1189
; %bb.1184:
	v_cmp_lt_u32_e32 vcc_lo, 0x37ffffff, v1
	s_mov_b32 s50, 0
                                        ; implicit-def: $vgpr1
	s_and_saveexec_b32 s51, vcc_lo
	s_delay_alu instid0(SALU_CYCLE_1)
	s_xor_b32 s51, exec_lo, s51
	s_cbranch_execz .LBB40_2294
; %bb.1185:
	v_bfe_u32 v1, v4, 21, 1
	s_mov_b32 s50, exec_lo
	s_delay_alu instid0(VALU_DEP_1) | instskip(NEXT) | instid1(VALU_DEP_1)
	v_add3_u32 v1, v4, v1, 0x88fffff
	v_lshrrev_b32_e32 v1, 21, v1
	s_and_not1_saveexec_b32 s51, s51
	s_cbranch_execnz .LBB40_2295
.LBB40_1186:
	s_or_b32 exec_lo, exec_lo, s51
	v_mov_b32_e32 v5, 0
	s_and_saveexec_b32 s51, s50
.LBB40_1187:
	v_lshrrev_b32_e32 v5, 24, v4
	s_delay_alu instid0(VALU_DEP_1)
	v_and_or_b32 v5, 0x80, v5, v1
.LBB40_1188:
	s_or_b32 exec_lo, exec_lo, s51
.LBB40_1189:
	s_delay_alu instid0(SALU_CYCLE_1)
	s_or_b32 exec_lo, exec_lo, s49
	s_mov_b32 s49, 0
	global_store_b8 v[2:3], v5, off
.LBB40_1190:
	s_and_b32 vcc_lo, exec_lo, s49
	s_cbranch_vccz .LBB40_1200
; %bb.1191:
	s_wait_xcnt 0x0
	v_and_b32_e32 v5, 0x7fffffff, v4
	s_mov_b32 s49, exec_lo
                                        ; implicit-def: $vgpr1
	s_delay_alu instid0(VALU_DEP_1)
	v_cmpx_gt_u32_e32 0x43f00000, v5
	s_xor_b32 s49, exec_lo, s49
	s_cbranch_execz .LBB40_1197
; %bb.1192:
	s_mov_b32 s50, exec_lo
                                        ; implicit-def: $vgpr1
	v_cmpx_lt_u32_e32 0x3c7fffff, v5
	s_xor_b32 s50, exec_lo, s50
; %bb.1193:
	v_bfe_u32 v1, v4, 20, 1
	s_delay_alu instid0(VALU_DEP_1) | instskip(NEXT) | instid1(VALU_DEP_1)
	v_add3_u32 v1, v4, v1, 0x407ffff
	v_and_b32_e32 v5, 0xff00000, v1
	v_lshrrev_b32_e32 v1, 20, v1
	s_delay_alu instid0(VALU_DEP_2) | instskip(NEXT) | instid1(VALU_DEP_2)
	v_cmp_ne_u32_e32 vcc_lo, 0x7f00000, v5
	v_cndmask_b32_e32 v1, 0x7e, v1, vcc_lo
; %bb.1194:
	s_and_not1_saveexec_b32 s50, s50
; %bb.1195:
	v_add_f32_e64 v1, 0x46800000, |v4|
; %bb.1196:
	s_or_b32 exec_lo, exec_lo, s50
                                        ; implicit-def: $vgpr5
.LBB40_1197:
	s_and_not1_saveexec_b32 s49, s49
; %bb.1198:
	v_mov_b32_e32 v1, 0x7f
	v_cmp_lt_u32_e32 vcc_lo, 0x7f800000, v5
	s_delay_alu instid0(VALU_DEP_2)
	v_cndmask_b32_e32 v1, 0x7e, v1, vcc_lo
; %bb.1199:
	s_or_b32 exec_lo, exec_lo, s49
	v_lshrrev_b32_e32 v5, 24, v4
	s_delay_alu instid0(VALU_DEP_1)
	v_and_or_b32 v1, 0x80, v5, v1
	global_store_b8 v[2:3], v1, off
.LBB40_1200:
	s_mov_b32 s49, 0
.LBB40_1201:
	s_delay_alu instid0(SALU_CYCLE_1)
	s_and_not1_b32 vcc_lo, exec_lo, s49
	s_cbranch_vccnz .LBB40_1211
; %bb.1202:
	s_wait_xcnt 0x0
	v_and_b32_e32 v5, 0x7fffffff, v4
	s_mov_b32 s49, exec_lo
                                        ; implicit-def: $vgpr1
	s_delay_alu instid0(VALU_DEP_1)
	v_cmpx_gt_u32_e32 0x47800000, v5
	s_xor_b32 s49, exec_lo, s49
	s_cbranch_execz .LBB40_1208
; %bb.1203:
	s_mov_b32 s50, exec_lo
                                        ; implicit-def: $vgpr1
	v_cmpx_lt_u32_e32 0x387fffff, v5
	s_xor_b32 s50, exec_lo, s50
; %bb.1204:
	v_bfe_u32 v1, v4, 21, 1
	s_delay_alu instid0(VALU_DEP_1) | instskip(NEXT) | instid1(VALU_DEP_1)
	v_add3_u32 v1, v4, v1, 0x80fffff
	v_lshrrev_b32_e32 v1, 21, v1
; %bb.1205:
	s_and_not1_saveexec_b32 s50, s50
; %bb.1206:
	v_add_f32_e64 v1, 0x43000000, |v4|
; %bb.1207:
	s_or_b32 exec_lo, exec_lo, s50
                                        ; implicit-def: $vgpr5
.LBB40_1208:
	s_and_not1_saveexec_b32 s49, s49
; %bb.1209:
	v_mov_b32_e32 v1, 0x7f
	v_cmp_lt_u32_e32 vcc_lo, 0x7f800000, v5
	s_delay_alu instid0(VALU_DEP_2)
	v_cndmask_b32_e32 v1, 0x7c, v1, vcc_lo
; %bb.1210:
	s_or_b32 exec_lo, exec_lo, s49
	v_lshrrev_b32_e32 v5, 24, v4
	s_delay_alu instid0(VALU_DEP_1)
	v_and_or_b32 v1, 0x80, v5, v1
	global_store_b8 v[2:3], v1, off
.LBB40_1211:
	s_mov_b32 s50, 0
	s_mov_b32 s49, -1
.LBB40_1212:
	s_and_not1_b32 vcc_lo, exec_lo, s50
	s_cbranch_vccnz .LBB40_1220
; %bb.1213:
	s_cmp_gt_i32 s48, 14
	s_mov_b32 s50, -1
	s_cbranch_scc0 .LBB40_1217
; %bb.1214:
	s_cmp_eq_u32 s48, 15
	s_mov_b32 s0, -1
	s_cbranch_scc0 .LBB40_1216
; %bb.1215:
	s_wait_xcnt 0x0
	v_bfe_u32 v1, v4, 16, 1
	v_cmp_o_f32_e32 vcc_lo, v4, v4
	s_mov_b32 s49, -1
	s_mov_b32 s0, 0
	s_delay_alu instid0(VALU_DEP_2) | instskip(NEXT) | instid1(VALU_DEP_1)
	v_add3_u32 v1, v4, v1, 0x7fff
	v_lshrrev_b32_e32 v1, 16, v1
	s_delay_alu instid0(VALU_DEP_1)
	v_cndmask_b32_e32 v1, 0x7fc0, v1, vcc_lo
	global_store_b16 v[2:3], v1, off
.LBB40_1216:
	s_mov_b32 s50, 0
.LBB40_1217:
	s_delay_alu instid0(SALU_CYCLE_1)
	s_and_b32 vcc_lo, exec_lo, s50
	s_cbranch_vccz .LBB40_1220
; %bb.1218:
	s_cmp_eq_u32 s48, 11
	s_mov_b32 s0, -1
	s_cbranch_scc0 .LBB40_1220
; %bb.1219:
	v_cmp_neq_f32_e32 vcc_lo, 0, v4
	s_mov_b32 s0, 0
	s_mov_b32 s49, -1
	s_wait_xcnt 0x0
	v_cndmask_b32_e64 v1, 0, 1, vcc_lo
	global_store_b8 v[2:3], v1, off
.LBB40_1220:
.LBB40_1221:
	s_and_not1_b32 vcc_lo, exec_lo, s49
	s_cbranch_vccnz .LBB40_1119
.LBB40_1222:
	v_add_nc_u32_e32 v0, 0x80, v0
	s_mov_b32 s50, -1
	s_branch .LBB40_1121
.LBB40_1223:
	s_mov_b32 s6, -1
	s_mov_b32 s8, 0
.LBB40_1224:
                                        ; implicit-def: $vgpr8
.LBB40_1225:
	s_and_b32 vcc_lo, exec_lo, s10
	s_cbranch_vccz .LBB40_1231
; %bb.1226:
	s_cmp_eq_u32 s1, 44
	s_cbranch_scc0 .LBB40_1230
; %bb.1227:
	global_load_u8 v0, v[6:7], off
	s_mov_b32 s6, 0
	s_mov_b32 s8, -1
	s_wait_loadcnt 0x0
	v_lshlrev_b32_e32 v1, 23, v0
	v_cmp_ne_u32_e32 vcc_lo, 0xff, v0
	s_delay_alu instid0(VALU_DEP_2) | instskip(SKIP_1) | instid1(VALU_DEP_2)
	v_cndmask_b32_e32 v1, 0x7f800001, v1, vcc_lo
	v_cmp_ne_u32_e32 vcc_lo, 0, v0
	v_cndmask_b32_e32 v8, 0x400000, v1, vcc_lo
	s_branch .LBB40_1231
.LBB40_1228:
	s_and_not1_saveexec_b32 s51, s51
	s_cbranch_execz .LBB40_1173
.LBB40_1229:
	v_add_f32_e64 v1, 0x46000000, |v4|
	s_and_not1_b32 s50, s50, exec_lo
	s_delay_alu instid0(VALU_DEP_1) | instskip(NEXT) | instid1(VALU_DEP_1)
	v_and_b32_e32 v1, 0xff, v1
	v_cmp_ne_u32_e32 vcc_lo, 0, v1
	s_and_b32 s52, vcc_lo, exec_lo
	s_delay_alu instid0(SALU_CYCLE_1)
	s_or_b32 s50, s50, s52
	s_or_b32 exec_lo, exec_lo, s51
	v_mov_b32_e32 v5, 0
	s_and_saveexec_b32 s51, s50
	s_cbranch_execnz .LBB40_1174
	s_branch .LBB40_1175
.LBB40_1230:
	s_mov_b32 s6, -1
                                        ; implicit-def: $vgpr8
.LBB40_1231:
	s_mov_b32 s10, 0
.LBB40_1232:
	s_delay_alu instid0(SALU_CYCLE_1)
	s_and_b32 vcc_lo, exec_lo, s10
	s_cbranch_vccz .LBB40_1236
; %bb.1233:
	s_cmp_eq_u32 s1, 29
	s_cbranch_scc0 .LBB40_1235
; %bb.1234:
	global_load_b64 v[0:1], v[6:7], off
	s_mov_b32 s6, 0
	s_mov_b32 s8, -1
	s_mov_b32 s10, 0
	s_wait_loadcnt 0x0
	v_clz_i32_u32_e32 v3, v1
	s_delay_alu instid0(VALU_DEP_1) | instskip(NEXT) | instid1(VALU_DEP_1)
	v_min_u32_e32 v3, 32, v3
	v_lshlrev_b64_e32 v[0:1], v3, v[0:1]
	s_delay_alu instid0(VALU_DEP_1) | instskip(NEXT) | instid1(VALU_DEP_1)
	v_min_u32_e32 v0, 1, v0
	v_dual_sub_nc_u32 v1, 32, v3 :: v_dual_bitop2_b32 v0, v1, v0 bitop3:0x54
	s_delay_alu instid0(VALU_DEP_1) | instskip(NEXT) | instid1(VALU_DEP_1)
	v_cvt_f32_u32_e32 v0, v0
	v_ldexp_f32 v8, v0, v1
	s_branch .LBB40_1237
.LBB40_1235:
	s_mov_b32 s6, -1
                                        ; implicit-def: $vgpr8
.LBB40_1236:
	s_mov_b32 s10, 0
.LBB40_1237:
	s_delay_alu instid0(SALU_CYCLE_1)
	s_and_b32 vcc_lo, exec_lo, s10
	s_cbranch_vccz .LBB40_1255
; %bb.1238:
	s_cmp_lt_i32 s1, 27
	s_cbranch_scc1 .LBB40_1241
; %bb.1239:
	s_cmp_gt_i32 s1, 27
	s_cbranch_scc0 .LBB40_1242
; %bb.1240:
	global_load_b32 v0, v[6:7], off
	s_mov_b32 s8, 0
	s_wait_loadcnt 0x0
	v_cvt_f32_u32_e32 v8, v0
	s_branch .LBB40_1243
.LBB40_1241:
	s_mov_b32 s8, -1
                                        ; implicit-def: $vgpr8
	s_branch .LBB40_1246
.LBB40_1242:
	s_mov_b32 s8, -1
                                        ; implicit-def: $vgpr8
.LBB40_1243:
	s_delay_alu instid0(SALU_CYCLE_1)
	s_and_not1_b32 vcc_lo, exec_lo, s8
	s_cbranch_vccnz .LBB40_1245
; %bb.1244:
	global_load_u16 v0, v[6:7], off
	s_wait_loadcnt 0x0
	v_cvt_f32_u32_e32 v8, v0
.LBB40_1245:
	s_mov_b32 s8, 0
.LBB40_1246:
	s_delay_alu instid0(SALU_CYCLE_1)
	s_and_not1_b32 vcc_lo, exec_lo, s8
	s_cbranch_vccnz .LBB40_1254
; %bb.1247:
	global_load_u8 v0, v[6:7], off
	s_mov_b32 s8, 0
	s_mov_b32 s10, exec_lo
	s_wait_loadcnt 0x0
	v_cmpx_lt_i16_e32 0x7f, v0
	s_xor_b32 s10, exec_lo, s10
	s_cbranch_execz .LBB40_1268
; %bb.1248:
	s_mov_b32 s8, -1
	s_mov_b32 s11, exec_lo
	v_cmpx_eq_u16_e32 0x80, v0
; %bb.1249:
	s_xor_b32 s8, exec_lo, -1
; %bb.1250:
	s_or_b32 exec_lo, exec_lo, s11
	s_delay_alu instid0(SALU_CYCLE_1)
	s_and_b32 s8, s8, exec_lo
	s_or_saveexec_b32 s10, s10
	v_mov_b32_e32 v8, 0x7f800001
	s_xor_b32 exec_lo, exec_lo, s10
	s_cbranch_execnz .LBB40_1269
.LBB40_1251:
	s_or_b32 exec_lo, exec_lo, s10
	s_and_saveexec_b32 s10, s8
	s_cbranch_execz .LBB40_1253
.LBB40_1252:
	v_and_b32_e32 v1, 0xffff, v0
	s_delay_alu instid0(VALU_DEP_1) | instskip(SKIP_1) | instid1(VALU_DEP_2)
	v_dual_lshlrev_b32 v0, 24, v0 :: v_dual_bitop2_b32 v3, 7, v1 bitop3:0x40
	v_bfe_u32 v9, v1, 3, 4
	v_and_b32_e32 v0, 0x80000000, v0
	s_delay_alu instid0(VALU_DEP_3) | instskip(NEXT) | instid1(VALU_DEP_3)
	v_clz_i32_u32_e32 v5, v3
	v_cmp_eq_u32_e32 vcc_lo, 0, v9
	s_delay_alu instid0(VALU_DEP_2) | instskip(NEXT) | instid1(VALU_DEP_1)
	v_min_u32_e32 v5, 32, v5
	v_subrev_nc_u32_e32 v8, 28, v5
	v_sub_nc_u32_e32 v5, 29, v5
	s_delay_alu instid0(VALU_DEP_2) | instskip(NEXT) | instid1(VALU_DEP_2)
	v_lshlrev_b32_e32 v1, v8, v1
	v_cndmask_b32_e32 v5, v9, v5, vcc_lo
	s_delay_alu instid0(VALU_DEP_2) | instskip(NEXT) | instid1(VALU_DEP_1)
	v_and_b32_e32 v1, 7, v1
	v_cndmask_b32_e32 v1, v3, v1, vcc_lo
	s_delay_alu instid0(VALU_DEP_3) | instskip(NEXT) | instid1(VALU_DEP_2)
	v_lshl_add_u32 v3, v5, 23, 0x3b800000
	v_lshlrev_b32_e32 v1, 20, v1
	s_delay_alu instid0(VALU_DEP_1)
	v_or3_b32 v8, v0, v3, v1
.LBB40_1253:
	s_or_b32 exec_lo, exec_lo, s10
.LBB40_1254:
	s_mov_b32 s8, -1
.LBB40_1255:
	s_mov_b32 s10, 0
.LBB40_1256:
	s_delay_alu instid0(SALU_CYCLE_1)
	s_and_b32 vcc_lo, exec_lo, s10
	s_cbranch_vccz .LBB40_1289
; %bb.1257:
	s_cmp_gt_i32 s1, 22
	s_cbranch_scc0 .LBB40_1267
; %bb.1258:
	s_cmp_lt_i32 s1, 24
	s_cbranch_scc1 .LBB40_1270
; %bb.1259:
	s_cmp_gt_i32 s1, 24
	s_cbranch_scc0 .LBB40_1271
; %bb.1260:
	global_load_u8 v0, v[6:7], off
	s_mov_b32 s8, exec_lo
	s_wait_loadcnt 0x0
	v_cmpx_lt_i16_e32 0x7f, v0
	s_xor_b32 s8, exec_lo, s8
	s_cbranch_execz .LBB40_1283
; %bb.1261:
	s_mov_b32 s7, -1
	s_mov_b32 s10, exec_lo
	v_cmpx_eq_u16_e32 0x80, v0
; %bb.1262:
	s_xor_b32 s7, exec_lo, -1
; %bb.1263:
	s_or_b32 exec_lo, exec_lo, s10
	s_delay_alu instid0(SALU_CYCLE_1)
	s_and_b32 s7, s7, exec_lo
	s_or_saveexec_b32 s8, s8
	v_mov_b32_e32 v8, 0x7f800001
	s_xor_b32 exec_lo, exec_lo, s8
	s_cbranch_execnz .LBB40_1284
.LBB40_1264:
	s_or_b32 exec_lo, exec_lo, s8
	s_and_saveexec_b32 s8, s7
	s_cbranch_execz .LBB40_1266
.LBB40_1265:
	v_and_b32_e32 v1, 0xffff, v0
	s_delay_alu instid0(VALU_DEP_1) | instskip(SKIP_1) | instid1(VALU_DEP_2)
	v_dual_lshlrev_b32 v0, 24, v0 :: v_dual_bitop2_b32 v3, 3, v1 bitop3:0x40
	v_bfe_u32 v9, v1, 2, 5
	v_and_b32_e32 v0, 0x80000000, v0
	s_delay_alu instid0(VALU_DEP_3) | instskip(NEXT) | instid1(VALU_DEP_3)
	v_clz_i32_u32_e32 v5, v3
	v_cmp_eq_u32_e32 vcc_lo, 0, v9
	s_delay_alu instid0(VALU_DEP_2) | instskip(NEXT) | instid1(VALU_DEP_1)
	v_min_u32_e32 v5, 32, v5
	v_subrev_nc_u32_e32 v8, 29, v5
	v_sub_nc_u32_e32 v5, 30, v5
	s_delay_alu instid0(VALU_DEP_2) | instskip(NEXT) | instid1(VALU_DEP_2)
	v_lshlrev_b32_e32 v1, v8, v1
	v_cndmask_b32_e32 v5, v9, v5, vcc_lo
	s_delay_alu instid0(VALU_DEP_2) | instskip(NEXT) | instid1(VALU_DEP_1)
	v_and_b32_e32 v1, 3, v1
	v_cndmask_b32_e32 v1, v3, v1, vcc_lo
	s_delay_alu instid0(VALU_DEP_3) | instskip(NEXT) | instid1(VALU_DEP_2)
	v_lshl_add_u32 v3, v5, 23, 0x37800000
	v_lshlrev_b32_e32 v1, 21, v1
	s_delay_alu instid0(VALU_DEP_1)
	v_or3_b32 v8, v0, v3, v1
.LBB40_1266:
	s_or_b32 exec_lo, exec_lo, s8
	s_mov_b32 s7, 0
	s_branch .LBB40_1272
.LBB40_1267:
	s_mov_b32 s7, -1
                                        ; implicit-def: $vgpr8
	s_branch .LBB40_1278
.LBB40_1268:
	s_or_saveexec_b32 s10, s10
	v_mov_b32_e32 v8, 0x7f800001
	s_xor_b32 exec_lo, exec_lo, s10
	s_cbranch_execz .LBB40_1251
.LBB40_1269:
	v_cmp_ne_u16_e32 vcc_lo, 0, v0
	v_mov_b32_e32 v8, 0
	s_and_not1_b32 s8, s8, exec_lo
	s_and_b32 s11, vcc_lo, exec_lo
	s_delay_alu instid0(SALU_CYCLE_1)
	s_or_b32 s8, s8, s11
	s_or_b32 exec_lo, exec_lo, s10
	s_and_saveexec_b32 s10, s8
	s_cbranch_execnz .LBB40_1252
	s_branch .LBB40_1253
.LBB40_1270:
	s_mov_b32 s7, -1
                                        ; implicit-def: $vgpr8
	s_branch .LBB40_1275
.LBB40_1271:
	s_mov_b32 s7, -1
                                        ; implicit-def: $vgpr8
.LBB40_1272:
	s_delay_alu instid0(SALU_CYCLE_1)
	s_and_b32 vcc_lo, exec_lo, s7
	s_cbranch_vccz .LBB40_1274
; %bb.1273:
	global_load_u8 v0, v[6:7], off
	s_wait_loadcnt 0x0
	v_lshlrev_b32_e32 v0, 24, v0
	s_delay_alu instid0(VALU_DEP_1) | instskip(NEXT) | instid1(VALU_DEP_1)
	v_and_b32_e32 v1, 0x7f000000, v0
	v_clz_i32_u32_e32 v3, v1
	v_cmp_ne_u32_e32 vcc_lo, 0, v1
	v_add_nc_u32_e32 v8, 0x1000000, v1
	s_delay_alu instid0(VALU_DEP_3) | instskip(NEXT) | instid1(VALU_DEP_1)
	v_min_u32_e32 v3, 32, v3
	v_sub_nc_u32_e64 v3, v3, 4 clamp
	s_delay_alu instid0(VALU_DEP_1) | instskip(NEXT) | instid1(VALU_DEP_1)
	v_dual_lshlrev_b32 v5, v3, v1 :: v_dual_lshlrev_b32 v3, 23, v3
	v_lshrrev_b32_e32 v5, 4, v5
	s_delay_alu instid0(VALU_DEP_1) | instskip(NEXT) | instid1(VALU_DEP_1)
	v_dual_sub_nc_u32 v3, v5, v3 :: v_dual_ashrrev_i32 v5, 8, v8
	v_add_nc_u32_e32 v3, 0x3c000000, v3
	s_delay_alu instid0(VALU_DEP_1) | instskip(NEXT) | instid1(VALU_DEP_1)
	v_and_or_b32 v3, 0x7f800000, v5, v3
	v_cndmask_b32_e32 v1, 0, v3, vcc_lo
	s_delay_alu instid0(VALU_DEP_1)
	v_and_or_b32 v8, 0x80000000, v0, v1
.LBB40_1274:
	s_mov_b32 s7, 0
.LBB40_1275:
	s_delay_alu instid0(SALU_CYCLE_1)
	s_and_not1_b32 vcc_lo, exec_lo, s7
	s_cbranch_vccnz .LBB40_1277
; %bb.1276:
	global_load_u8 v0, v[6:7], off
	s_wait_loadcnt 0x0
	v_lshlrev_b32_e32 v1, 25, v0
	v_lshlrev_b16 v0, 8, v0
	s_delay_alu instid0(VALU_DEP_1) | instskip(SKIP_1) | instid1(VALU_DEP_2)
	v_and_or_b32 v5, 0x7f00, v0, 0.5
	v_bfe_i32 v0, v0, 0, 16
	v_add_f32_e32 v5, -0.5, v5
	v_lshrrev_b32_e32 v3, 4, v1
	v_cmp_gt_u32_e32 vcc_lo, 0x8000000, v1
	s_delay_alu instid0(VALU_DEP_2) | instskip(NEXT) | instid1(VALU_DEP_1)
	v_or_b32_e32 v3, 0x70000000, v3
	v_mul_f32_e32 v3, 0x7800000, v3
	s_delay_alu instid0(VALU_DEP_1) | instskip(NEXT) | instid1(VALU_DEP_1)
	v_cndmask_b32_e32 v1, v3, v5, vcc_lo
	v_and_or_b32 v8, 0x80000000, v0, v1
.LBB40_1277:
	s_mov_b32 s7, 0
	s_mov_b32 s8, -1
.LBB40_1278:
	s_and_not1_b32 vcc_lo, exec_lo, s7
	s_mov_b32 s7, 0
	s_cbranch_vccnz .LBB40_1289
; %bb.1279:
	s_cmp_gt_i32 s1, 14
	s_cbranch_scc0 .LBB40_1282
; %bb.1280:
	s_cmp_eq_u32 s1, 15
	s_cbranch_scc0 .LBB40_1285
; %bb.1281:
	global_load_u16 v0, v[6:7], off
	s_mov_b32 s6, 0
	s_mov_b32 s8, -1
	s_wait_loadcnt 0x0
	v_lshlrev_b32_e32 v8, 16, v0
	s_branch .LBB40_1287
.LBB40_1282:
	s_mov_b32 s7, -1
	s_branch .LBB40_1286
.LBB40_1283:
	s_or_saveexec_b32 s8, s8
	v_mov_b32_e32 v8, 0x7f800001
	s_xor_b32 exec_lo, exec_lo, s8
	s_cbranch_execz .LBB40_1264
.LBB40_1284:
	v_cmp_ne_u16_e32 vcc_lo, 0, v0
	v_mov_b32_e32 v8, 0
	s_and_not1_b32 s7, s7, exec_lo
	s_and_b32 s10, vcc_lo, exec_lo
	s_delay_alu instid0(SALU_CYCLE_1)
	s_or_b32 s7, s7, s10
	s_or_b32 exec_lo, exec_lo, s8
	s_and_saveexec_b32 s8, s7
	s_cbranch_execnz .LBB40_1265
	s_branch .LBB40_1266
.LBB40_1285:
	s_mov_b32 s6, -1
.LBB40_1286:
                                        ; implicit-def: $vgpr8
.LBB40_1287:
	s_and_b32 vcc_lo, exec_lo, s7
	s_mov_b32 s7, 0
	s_cbranch_vccz .LBB40_1289
; %bb.1288:
	s_cmp_lg_u32 s1, 11
	s_mov_b32 s7, -1
	s_cselect_b32 s1, -1, 0
	s_and_not1_b32 s6, s6, exec_lo
	s_and_b32 s1, s1, exec_lo
	s_delay_alu instid0(SALU_CYCLE_1)
	s_or_b32 s6, s6, s1
.LBB40_1289:
	s_mov_b32 s1, 0
.LBB40_1290:
	s_delay_alu instid0(SALU_CYCLE_1)
	s_and_b32 s50, s1, exec_lo
	s_and_not1_b32 s1, s47, exec_lo
	s_and_b32 s6, s6, exec_lo
	s_and_b32 s24, s8, exec_lo
	;; [unrolled: 1-line block ×3, first 2 shown]
	s_or_b32 s51, s1, s6
.LBB40_1291:
	s_wait_xcnt 0x0
	s_or_b32 exec_lo, exec_lo, s36
	s_delay_alu instid0(SALU_CYCLE_1)
	s_and_not1_b32 s1, s47, exec_lo
	s_and_b32 s6, s51, exec_lo
	s_and_b32 s24, s24, exec_lo
	;; [unrolled: 1-line block ×4, first 2 shown]
	s_or_b32 s47, s1, s6
.LBB40_1292:
	s_or_b32 exec_lo, exec_lo, s46
	s_delay_alu instid0(SALU_CYCLE_1)
	s_and_not1_b32 s1, s43, exec_lo
	s_and_b32 s6, s48, exec_lo
	s_and_not1_b32 s7, s44, exec_lo
	s_and_b32 s8, s49, exec_lo
	s_or_b32 s43, s1, s6
	s_and_not1_b32 s1, s42, exec_lo
	s_and_b32 s6, s47, exec_lo
	s_or_b32 s44, s7, s8
	s_and_b32 s24, s24, exec_lo
	s_and_b32 s46, s50, exec_lo
	;; [unrolled: 1-line block ×3, first 2 shown]
	s_or_b32 s42, s1, s6
.LBB40_1293:
	s_or_b32 exec_lo, exec_lo, s45
	s_delay_alu instid0(SALU_CYCLE_1)
	s_and_not1_b32 s1, s38, exec_lo
	s_and_b32 s6, s43, exec_lo
	s_and_not1_b32 s7, s39, exec_lo
	s_and_b32 s8, s44, exec_lo
	s_or_b32 s38, s1, s6
	s_and_not1_b32 s1, s40, exec_lo
	s_and_b32 s6, s42, exec_lo
	s_or_b32 s39, s7, s8
	s_and_b32 s24, s24, exec_lo
	s_and_b32 s43, s46, exec_lo
	;; [unrolled: 1-line block ×3, first 2 shown]
	s_or_b32 s40, s1, s6
	s_or_b32 exec_lo, exec_lo, s41
	s_mov_b32 s1, 0
	s_and_saveexec_b32 s6, s40
	s_cbranch_execz .LBB40_401
.LBB40_1294:
	s_mov_b32 s1, exec_lo
	s_and_not1_b32 s19, s19, exec_lo
	s_trap 2
	s_or_b32 exec_lo, exec_lo, s6
	s_and_saveexec_b32 s6, s19
	s_delay_alu instid0(SALU_CYCLE_1)
	s_xor_b32 s6, exec_lo, s6
	s_cbranch_execnz .LBB40_402
.LBB40_1295:
	s_or_b32 exec_lo, exec_lo, s6
	s_and_saveexec_b32 s6, s43
	s_cbranch_execz .LBB40_1341
.LBB40_1296:
	s_sext_i32_i16 s7, s0
	s_delay_alu instid0(SALU_CYCLE_1)
	s_cmp_lt_i32 s7, 5
	s_cbranch_scc1 .LBB40_1301
; %bb.1297:
	s_cmp_lt_i32 s7, 8
	s_cbranch_scc1 .LBB40_1302
; %bb.1298:
	s_cmp_lt_i32 s7, 9
	s_cbranch_scc1 .LBB40_1303
; %bb.1299:
	s_cmp_gt_i32 s7, 9
	s_cbranch_scc0 .LBB40_1304
; %bb.1300:
	s_wait_loadcnt 0x0
	global_load_b64 v[0:1], v[6:7], off
	s_mov_b32 s7, 0
	s_wait_loadcnt 0x0
	v_cvt_f32_f64_e32 v8, v[0:1]
	s_branch .LBB40_1305
.LBB40_1301:
                                        ; implicit-def: $vgpr8
	s_branch .LBB40_1322
.LBB40_1302:
                                        ; implicit-def: $vgpr8
	s_branch .LBB40_1311
.LBB40_1303:
	s_mov_b32 s7, -1
                                        ; implicit-def: $vgpr8
	s_branch .LBB40_1308
.LBB40_1304:
	s_mov_b32 s7, -1
                                        ; implicit-def: $vgpr8
.LBB40_1305:
	s_delay_alu instid0(SALU_CYCLE_1)
	s_and_not1_b32 vcc_lo, exec_lo, s7
	s_cbranch_vccnz .LBB40_1307
; %bb.1306:
	s_wait_loadcnt 0x0
	global_load_b32 v8, v[6:7], off
.LBB40_1307:
	s_mov_b32 s7, 0
.LBB40_1308:
	s_delay_alu instid0(SALU_CYCLE_1)
	s_and_not1_b32 vcc_lo, exec_lo, s7
	s_cbranch_vccnz .LBB40_1310
; %bb.1309:
	s_wait_loadcnt 0x0
	global_load_b32 v0, v[6:7], off
	s_wait_loadcnt 0x0
	v_cvt_f32_f16_e32 v8, v0
.LBB40_1310:
	s_cbranch_execnz .LBB40_1321
.LBB40_1311:
	s_sext_i32_i16 s7, s0
	s_delay_alu instid0(SALU_CYCLE_1)
	s_cmp_lt_i32 s7, 6
	s_cbranch_scc1 .LBB40_1314
; %bb.1312:
	s_cmp_gt_i32 s7, 6
	s_cbranch_scc0 .LBB40_1315
; %bb.1313:
	s_wait_loadcnt 0x0
	global_load_b64 v[0:1], v[6:7], off
	s_mov_b32 s7, 0
	s_wait_loadcnt 0x0
	v_cvt_f32_f64_e32 v8, v[0:1]
	s_branch .LBB40_1316
.LBB40_1314:
	s_mov_b32 s7, -1
                                        ; implicit-def: $vgpr8
	s_branch .LBB40_1319
.LBB40_1315:
	s_mov_b32 s7, -1
                                        ; implicit-def: $vgpr8
.LBB40_1316:
	s_delay_alu instid0(SALU_CYCLE_1)
	s_and_not1_b32 vcc_lo, exec_lo, s7
	s_cbranch_vccnz .LBB40_1318
; %bb.1317:
	s_wait_loadcnt 0x0
	global_load_b32 v8, v[6:7], off
.LBB40_1318:
	s_mov_b32 s7, 0
.LBB40_1319:
	s_delay_alu instid0(SALU_CYCLE_1)
	s_and_not1_b32 vcc_lo, exec_lo, s7
	s_cbranch_vccnz .LBB40_1321
; %bb.1320:
	s_wait_loadcnt 0x0
	global_load_u16 v0, v[6:7], off
	s_wait_loadcnt 0x0
	v_cvt_f32_f16_e32 v8, v0
.LBB40_1321:
	s_cbranch_execnz .LBB40_1340
.LBB40_1322:
	s_sext_i32_i16 s7, s0
	s_delay_alu instid0(SALU_CYCLE_1)
	s_cmp_lt_i32 s7, 2
	s_cbranch_scc1 .LBB40_1326
; %bb.1323:
	s_cmp_lt_i32 s7, 3
	s_cbranch_scc1 .LBB40_1327
; %bb.1324:
	s_cmp_gt_i32 s7, 3
	s_cbranch_scc0 .LBB40_1328
; %bb.1325:
	s_wait_loadcnt 0x0
	global_load_b64 v[0:1], v[6:7], off
	s_mov_b32 s7, 0
	s_wait_loadcnt 0x0
	v_xor_b32_e32 v3, v0, v1
	v_cls_i32_e32 v5, v1
	s_delay_alu instid0(VALU_DEP_2) | instskip(NEXT) | instid1(VALU_DEP_1)
	v_ashrrev_i32_e32 v3, 31, v3
	v_add_nc_u32_e32 v3, 32, v3
	s_delay_alu instid0(VALU_DEP_1) | instskip(NEXT) | instid1(VALU_DEP_1)
	v_add_min_u32_e64 v3, v5, -1, v3
	v_lshlrev_b64_e32 v[0:1], v3, v[0:1]
	s_delay_alu instid0(VALU_DEP_1) | instskip(NEXT) | instid1(VALU_DEP_1)
	v_min_u32_e32 v0, 1, v0
	v_dual_sub_nc_u32 v1, 32, v3 :: v_dual_bitop2_b32 v0, v1, v0 bitop3:0x54
	s_delay_alu instid0(VALU_DEP_1) | instskip(NEXT) | instid1(VALU_DEP_1)
	v_cvt_f32_i32_e32 v0, v0
	v_ldexp_f32 v8, v0, v1
	s_branch .LBB40_1329
.LBB40_1326:
                                        ; implicit-def: $vgpr8
	s_branch .LBB40_1335
.LBB40_1327:
	s_mov_b32 s7, -1
                                        ; implicit-def: $vgpr8
	s_branch .LBB40_1332
.LBB40_1328:
	s_mov_b32 s7, -1
                                        ; implicit-def: $vgpr8
.LBB40_1329:
	s_delay_alu instid0(SALU_CYCLE_1)
	s_and_not1_b32 vcc_lo, exec_lo, s7
	s_cbranch_vccnz .LBB40_1331
; %bb.1330:
	s_wait_loadcnt 0x0
	global_load_b32 v0, v[6:7], off
	s_wait_loadcnt 0x0
	v_cvt_f32_i32_e32 v8, v0
.LBB40_1331:
	s_mov_b32 s7, 0
.LBB40_1332:
	s_delay_alu instid0(SALU_CYCLE_1)
	s_and_not1_b32 vcc_lo, exec_lo, s7
	s_cbranch_vccnz .LBB40_1334
; %bb.1333:
	s_wait_loadcnt 0x0
	global_load_i16 v0, v[6:7], off
	s_wait_loadcnt 0x0
	v_cvt_f32_i32_e32 v8, v0
.LBB40_1334:
	s_cbranch_execnz .LBB40_1340
.LBB40_1335:
	s_sext_i32_i16 s0, s0
	s_delay_alu instid0(SALU_CYCLE_1)
	s_cmp_gt_i32 s0, 0
	s_mov_b32 s0, 0
	s_cbranch_scc0 .LBB40_1337
; %bb.1336:
	s_wait_loadcnt 0x0
	global_load_i8 v0, v[6:7], off
	s_wait_loadcnt 0x0
	v_cvt_f32_i32_e32 v8, v0
	s_branch .LBB40_1338
.LBB40_1337:
	s_mov_b32 s0, -1
                                        ; implicit-def: $vgpr8
.LBB40_1338:
	s_delay_alu instid0(SALU_CYCLE_1)
	s_and_not1_b32 vcc_lo, exec_lo, s0
	s_cbranch_vccnz .LBB40_1340
; %bb.1339:
	s_wait_loadcnt 0x0
	global_load_u8 v0, v[6:7], off
	s_wait_loadcnt 0x0
	v_cvt_f32_ubyte0_e32 v8, v0
.LBB40_1340:
	s_or_b32 s24, s24, exec_lo
.LBB40_1341:
	s_wait_xcnt 0x0
	s_or_b32 exec_lo, exec_lo, s6
	s_mov_b32 s8, 0
	s_mov_b32 s7, 0
	;; [unrolled: 1-line block ×3, first 2 shown]
                                        ; implicit-def: $sgpr0
                                        ; implicit-def: $vgpr0_vgpr1
                                        ; implicit-def: $vgpr5
	s_and_saveexec_b32 s6, s24
	s_cbranch_execz .LBB40_1349
; %bb.1342:
	v_mov_b32_e32 v5, 0
	s_and_b32 s0, s9, 0xff
	s_delay_alu instid0(SALU_CYCLE_1) | instskip(SKIP_1) | instid1(VALU_DEP_1)
	s_cmp_lt_i32 s0, 11
	s_wait_loadcnt 0x0
	v_add_nc_u64_e32 v[0:1], s[16:17], v[4:5]
	s_cbranch_scc1 .LBB40_1352
; %bb.1343:
	s_and_b32 s7, 0xffff, s0
	s_mov_b32 s9, 0
	s_cmp_gt_i32 s7, 25
	s_cbranch_scc0 .LBB40_1353
; %bb.1344:
	s_cmp_gt_i32 s7, 28
	s_cbranch_scc0 .LBB40_1354
; %bb.1345:
	;; [unrolled: 3-line block ×4, first 2 shown]
	s_cmp_eq_u32 s7, 46
	s_mov_b32 s11, 0
	s_cbranch_scc0 .LBB40_1357
; %bb.1348:
	global_load_b32 v3, v[0:1], off
	s_mov_b32 s10, -1
	s_wait_loadcnt 0x0
	v_lshlrev_b32_e32 v5, 16, v3
	s_branch .LBB40_1359
.LBB40_1349:
	s_or_b32 exec_lo, exec_lo, s6
	s_and_saveexec_b32 s6, s39
	s_cbranch_execnz .LBB40_1422
.LBB40_1350:
	s_or_b32 exec_lo, exec_lo, s6
	s_and_saveexec_b32 s6, s8
	s_delay_alu instid0(SALU_CYCLE_1)
	s_xor_b32 s6, exec_lo, s6
	s_cbranch_execz .LBB40_1423
.LBB40_1351:
	s_wait_loadcnt 0x0
	global_load_u8 v3, v[0:1], off
	s_or_b32 s10, s10, exec_lo
	s_wait_loadcnt 0x0
	v_cmp_ne_u16_e32 vcc_lo, 0, v3
	v_cndmask_b32_e64 v5, 0, 1.0, vcc_lo
	s_wait_xcnt 0x0
	s_or_b32 exec_lo, exec_lo, s6
	s_and_saveexec_b32 s6, s7
	s_cbranch_execz .LBB40_1469
	s_branch .LBB40_1424
.LBB40_1352:
	s_mov_b32 s7, -1
	s_mov_b32 s9, 0
	s_mov_b32 s8, s39
                                        ; implicit-def: $vgpr5
	s_branch .LBB40_1421
.LBB40_1353:
	s_mov_b32 s8, s39
                                        ; implicit-def: $vgpr5
	s_cbranch_execnz .LBB40_1388
	s_branch .LBB40_1420
.LBB40_1354:
	s_mov_b32 s11, -1
	s_mov_b32 s8, s39
                                        ; implicit-def: $vgpr5
	s_branch .LBB40_1369
.LBB40_1355:
	s_mov_b32 s11, -1
	s_mov_b32 s8, s39
                                        ; implicit-def: $vgpr5
	s_branch .LBB40_1364
.LBB40_1356:
	s_mov_b32 s11, -1
	s_mov_b32 s8, s39
	s_branch .LBB40_1358
.LBB40_1357:
	s_mov_b32 s8, -1
.LBB40_1358:
                                        ; implicit-def: $vgpr5
.LBB40_1359:
	s_and_b32 vcc_lo, exec_lo, s11
	s_cbranch_vccz .LBB40_1363
; %bb.1360:
	s_cmp_eq_u32 s7, 44
	s_cbranch_scc0 .LBB40_1362
; %bb.1361:
	global_load_u8 v3, v[0:1], off
	s_mov_b32 s8, 0
	s_mov_b32 s10, -1
	s_wait_loadcnt 0x0
	v_lshlrev_b32_e32 v4, 23, v3
	v_cmp_ne_u32_e32 vcc_lo, 0xff, v3
	s_delay_alu instid0(VALU_DEP_2) | instskip(SKIP_1) | instid1(VALU_DEP_2)
	v_cndmask_b32_e32 v4, 0x7f800001, v4, vcc_lo
	v_cmp_ne_u32_e32 vcc_lo, 0, v3
	v_cndmask_b32_e32 v5, 0x400000, v4, vcc_lo
	s_branch .LBB40_1363
.LBB40_1362:
	s_mov_b32 s8, -1
                                        ; implicit-def: $vgpr5
.LBB40_1363:
	s_mov_b32 s11, 0
.LBB40_1364:
	s_delay_alu instid0(SALU_CYCLE_1)
	s_and_b32 vcc_lo, exec_lo, s11
	s_cbranch_vccz .LBB40_1368
; %bb.1365:
	s_cmp_eq_u32 s7, 29
	s_cbranch_scc0 .LBB40_1367
; %bb.1366:
	global_load_b64 v[4:5], v[0:1], off
	s_mov_b32 s8, 0
	s_mov_b32 s10, -1
	s_mov_b32 s11, 0
	s_wait_loadcnt 0x0
	v_clz_i32_u32_e32 v3, v5
	s_delay_alu instid0(VALU_DEP_1) | instskip(NEXT) | instid1(VALU_DEP_1)
	v_min_u32_e32 v3, 32, v3
	v_lshlrev_b64_e32 v[4:5], v3, v[4:5]
	v_sub_nc_u32_e32 v3, 32, v3
	s_delay_alu instid0(VALU_DEP_2) | instskip(NEXT) | instid1(VALU_DEP_1)
	v_min_u32_e32 v4, 1, v4
	v_or_b32_e32 v4, v5, v4
	s_delay_alu instid0(VALU_DEP_1) | instskip(NEXT) | instid1(VALU_DEP_1)
	v_cvt_f32_u32_e32 v4, v4
	v_ldexp_f32 v5, v4, v3
	s_branch .LBB40_1369
.LBB40_1367:
	s_mov_b32 s8, -1
                                        ; implicit-def: $vgpr5
.LBB40_1368:
	s_mov_b32 s11, 0
.LBB40_1369:
	s_delay_alu instid0(SALU_CYCLE_1)
	s_and_b32 vcc_lo, exec_lo, s11
	s_cbranch_vccz .LBB40_1387
; %bb.1370:
	s_cmp_lt_i32 s7, 27
	s_cbranch_scc1 .LBB40_1373
; %bb.1371:
	s_cmp_gt_i32 s7, 27
	s_cbranch_scc0 .LBB40_1374
; %bb.1372:
	global_load_b32 v3, v[0:1], off
	s_mov_b32 s10, 0
	s_wait_loadcnt 0x0
	v_cvt_f32_u32_e32 v5, v3
	s_branch .LBB40_1375
.LBB40_1373:
	s_mov_b32 s10, -1
                                        ; implicit-def: $vgpr5
	s_branch .LBB40_1378
.LBB40_1374:
	s_mov_b32 s10, -1
                                        ; implicit-def: $vgpr5
.LBB40_1375:
	s_delay_alu instid0(SALU_CYCLE_1)
	s_and_not1_b32 vcc_lo, exec_lo, s10
	s_cbranch_vccnz .LBB40_1377
; %bb.1376:
	global_load_u16 v3, v[0:1], off
	s_wait_loadcnt 0x0
	v_cvt_f32_u32_e32 v5, v3
.LBB40_1377:
	s_mov_b32 s10, 0
.LBB40_1378:
	s_delay_alu instid0(SALU_CYCLE_1)
	s_and_not1_b32 vcc_lo, exec_lo, s10
	s_cbranch_vccnz .LBB40_1386
; %bb.1379:
	global_load_u8 v3, v[0:1], off
	s_mov_b32 s10, 0
	s_mov_b32 s11, exec_lo
	s_wait_loadcnt 0x0
	v_cmpx_lt_i16_e32 0x7f, v3
	s_xor_b32 s11, exec_lo, s11
	s_cbranch_execz .LBB40_1399
; %bb.1380:
	s_mov_b32 s10, -1
	s_mov_b32 s12, exec_lo
	v_cmpx_eq_u16_e32 0x80, v3
; %bb.1381:
	s_xor_b32 s10, exec_lo, -1
; %bb.1382:
	s_or_b32 exec_lo, exec_lo, s12
	s_delay_alu instid0(SALU_CYCLE_1)
	s_and_b32 s10, s10, exec_lo
	s_or_saveexec_b32 s11, s11
	v_mov_b32_e32 v5, 0x7f800001
	s_xor_b32 exec_lo, exec_lo, s11
	s_cbranch_execnz .LBB40_1400
.LBB40_1383:
	s_or_b32 exec_lo, exec_lo, s11
	s_and_saveexec_b32 s11, s10
	s_cbranch_execz .LBB40_1385
.LBB40_1384:
	v_and_b32_e32 v4, 0xffff, v3
	s_delay_alu instid0(VALU_DEP_1) | instskip(SKIP_1) | instid1(VALU_DEP_2)
	v_and_b32_e32 v5, 7, v4
	v_bfe_u32 v9, v4, 3, 4
	v_clz_i32_u32_e32 v6, v5
	s_delay_alu instid0(VALU_DEP_2) | instskip(NEXT) | instid1(VALU_DEP_2)
	v_cmp_eq_u32_e32 vcc_lo, 0, v9
	v_min_u32_e32 v6, 32, v6
	s_delay_alu instid0(VALU_DEP_1) | instskip(NEXT) | instid1(VALU_DEP_1)
	v_subrev_nc_u32_e32 v7, 28, v6
	v_dual_lshlrev_b32 v4, v7, v4 :: v_dual_sub_nc_u32 v6, 29, v6
	s_delay_alu instid0(VALU_DEP_1) | instskip(NEXT) | instid1(VALU_DEP_2)
	v_dual_lshlrev_b32 v3, 24, v3 :: v_dual_bitop2_b32 v4, 7, v4 bitop3:0x40
	v_cndmask_b32_e32 v6, v9, v6, vcc_lo
	s_delay_alu instid0(VALU_DEP_2) | instskip(NEXT) | instid1(VALU_DEP_3)
	v_cndmask_b32_e32 v4, v5, v4, vcc_lo
	v_and_b32_e32 v3, 0x80000000, v3
	s_delay_alu instid0(VALU_DEP_3) | instskip(NEXT) | instid1(VALU_DEP_3)
	v_lshl_add_u32 v5, v6, 23, 0x3b800000
	v_lshlrev_b32_e32 v4, 20, v4
	s_delay_alu instid0(VALU_DEP_1)
	v_or3_b32 v5, v3, v5, v4
.LBB40_1385:
	s_or_b32 exec_lo, exec_lo, s11
.LBB40_1386:
	s_mov_b32 s10, -1
.LBB40_1387:
	s_branch .LBB40_1420
.LBB40_1388:
	s_cmp_gt_i32 s7, 22
	s_cbranch_scc0 .LBB40_1398
; %bb.1389:
	s_cmp_lt_i32 s7, 24
	s_cbranch_scc1 .LBB40_1401
; %bb.1390:
	s_cmp_gt_i32 s7, 24
	s_cbranch_scc0 .LBB40_1402
; %bb.1391:
	global_load_u8 v3, v[0:1], off
	s_mov_b32 s10, exec_lo
	s_wait_loadcnt 0x0
	v_cmpx_lt_i16_e32 0x7f, v3
	s_xor_b32 s10, exec_lo, s10
	s_cbranch_execz .LBB40_1414
; %bb.1392:
	s_mov_b32 s9, -1
	s_mov_b32 s11, exec_lo
	v_cmpx_eq_u16_e32 0x80, v3
; %bb.1393:
	s_xor_b32 s9, exec_lo, -1
; %bb.1394:
	s_or_b32 exec_lo, exec_lo, s11
	s_delay_alu instid0(SALU_CYCLE_1)
	s_and_b32 s9, s9, exec_lo
	s_or_saveexec_b32 s10, s10
	v_mov_b32_e32 v5, 0x7f800001
	s_xor_b32 exec_lo, exec_lo, s10
	s_cbranch_execnz .LBB40_1415
.LBB40_1395:
	s_or_b32 exec_lo, exec_lo, s10
	s_and_saveexec_b32 s10, s9
	s_cbranch_execz .LBB40_1397
.LBB40_1396:
	v_and_b32_e32 v4, 0xffff, v3
	s_delay_alu instid0(VALU_DEP_1) | instskip(SKIP_1) | instid1(VALU_DEP_2)
	v_and_b32_e32 v5, 3, v4
	v_bfe_u32 v9, v4, 2, 5
	v_clz_i32_u32_e32 v6, v5
	s_delay_alu instid0(VALU_DEP_2) | instskip(NEXT) | instid1(VALU_DEP_2)
	v_cmp_eq_u32_e32 vcc_lo, 0, v9
	v_min_u32_e32 v6, 32, v6
	s_delay_alu instid0(VALU_DEP_1) | instskip(NEXT) | instid1(VALU_DEP_1)
	v_subrev_nc_u32_e32 v7, 29, v6
	v_dual_lshlrev_b32 v4, v7, v4 :: v_dual_sub_nc_u32 v6, 30, v6
	s_delay_alu instid0(VALU_DEP_1) | instskip(NEXT) | instid1(VALU_DEP_2)
	v_dual_lshlrev_b32 v3, 24, v3 :: v_dual_bitop2_b32 v4, 3, v4 bitop3:0x40
	v_cndmask_b32_e32 v6, v9, v6, vcc_lo
	s_delay_alu instid0(VALU_DEP_2) | instskip(NEXT) | instid1(VALU_DEP_3)
	v_cndmask_b32_e32 v4, v5, v4, vcc_lo
	v_and_b32_e32 v3, 0x80000000, v3
	s_delay_alu instid0(VALU_DEP_3) | instskip(NEXT) | instid1(VALU_DEP_3)
	v_lshl_add_u32 v5, v6, 23, 0x37800000
	v_lshlrev_b32_e32 v4, 21, v4
	s_delay_alu instid0(VALU_DEP_1)
	v_or3_b32 v5, v3, v5, v4
.LBB40_1397:
	s_or_b32 exec_lo, exec_lo, s10
	s_mov_b32 s9, 0
	s_branch .LBB40_1403
.LBB40_1398:
	s_mov_b32 s9, -1
                                        ; implicit-def: $vgpr5
	s_branch .LBB40_1409
.LBB40_1399:
	s_or_saveexec_b32 s11, s11
	v_mov_b32_e32 v5, 0x7f800001
	s_xor_b32 exec_lo, exec_lo, s11
	s_cbranch_execz .LBB40_1383
.LBB40_1400:
	v_cmp_ne_u16_e32 vcc_lo, 0, v3
	v_mov_b32_e32 v5, 0
	s_and_not1_b32 s10, s10, exec_lo
	s_and_b32 s12, vcc_lo, exec_lo
	s_delay_alu instid0(SALU_CYCLE_1)
	s_or_b32 s10, s10, s12
	s_or_b32 exec_lo, exec_lo, s11
	s_and_saveexec_b32 s11, s10
	s_cbranch_execnz .LBB40_1384
	s_branch .LBB40_1385
.LBB40_1401:
	s_mov_b32 s9, -1
                                        ; implicit-def: $vgpr5
	s_branch .LBB40_1406
.LBB40_1402:
	s_mov_b32 s9, -1
                                        ; implicit-def: $vgpr5
.LBB40_1403:
	s_delay_alu instid0(SALU_CYCLE_1)
	s_and_b32 vcc_lo, exec_lo, s9
	s_cbranch_vccz .LBB40_1405
; %bb.1404:
	global_load_u8 v3, v[0:1], off
	s_wait_loadcnt 0x0
	v_lshlrev_b32_e32 v3, 24, v3
	s_delay_alu instid0(VALU_DEP_1) | instskip(NEXT) | instid1(VALU_DEP_1)
	v_and_b32_e32 v4, 0x7f000000, v3
	v_clz_i32_u32_e32 v5, v4
	v_cmp_ne_u32_e32 vcc_lo, 0, v4
	v_add_nc_u32_e32 v7, 0x1000000, v4
	s_delay_alu instid0(VALU_DEP_3) | instskip(NEXT) | instid1(VALU_DEP_1)
	v_min_u32_e32 v5, 32, v5
	v_sub_nc_u32_e64 v5, v5, 4 clamp
	s_delay_alu instid0(VALU_DEP_1) | instskip(NEXT) | instid1(VALU_DEP_1)
	v_dual_lshlrev_b32 v6, v5, v4 :: v_dual_lshlrev_b32 v5, 23, v5
	v_lshrrev_b32_e32 v6, 4, v6
	s_delay_alu instid0(VALU_DEP_1) | instskip(NEXT) | instid1(VALU_DEP_1)
	v_dual_sub_nc_u32 v5, v6, v5 :: v_dual_ashrrev_i32 v6, 8, v7
	v_add_nc_u32_e32 v5, 0x3c000000, v5
	s_delay_alu instid0(VALU_DEP_1) | instskip(NEXT) | instid1(VALU_DEP_1)
	v_and_or_b32 v5, 0x7f800000, v6, v5
	v_cndmask_b32_e32 v4, 0, v5, vcc_lo
	s_delay_alu instid0(VALU_DEP_1)
	v_and_or_b32 v5, 0x80000000, v3, v4
.LBB40_1405:
	s_mov_b32 s9, 0
.LBB40_1406:
	s_delay_alu instid0(SALU_CYCLE_1)
	s_and_not1_b32 vcc_lo, exec_lo, s9
	s_cbranch_vccnz .LBB40_1408
; %bb.1407:
	global_load_u8 v3, v[0:1], off
	s_wait_loadcnt 0x0
	v_lshlrev_b32_e32 v4, 25, v3
	v_lshlrev_b16 v3, 8, v3
	s_delay_alu instid0(VALU_DEP_1) | instskip(SKIP_1) | instid1(VALU_DEP_2)
	v_and_or_b32 v6, 0x7f00, v3, 0.5
	v_bfe_i32 v3, v3, 0, 16
	v_dual_add_f32 v6, -0.5, v6 :: v_dual_lshrrev_b32 v5, 4, v4
	v_cmp_gt_u32_e32 vcc_lo, 0x8000000, v4
	s_delay_alu instid0(VALU_DEP_2) | instskip(NEXT) | instid1(VALU_DEP_1)
	v_or_b32_e32 v5, 0x70000000, v5
	v_mul_f32_e32 v5, 0x7800000, v5
	s_delay_alu instid0(VALU_DEP_1) | instskip(NEXT) | instid1(VALU_DEP_1)
	v_cndmask_b32_e32 v4, v5, v6, vcc_lo
	v_and_or_b32 v5, 0x80000000, v3, v4
.LBB40_1408:
	s_mov_b32 s9, 0
	s_mov_b32 s10, -1
.LBB40_1409:
	s_and_not1_b32 vcc_lo, exec_lo, s9
	s_mov_b32 s9, 0
	s_cbranch_vccnz .LBB40_1420
; %bb.1410:
	s_cmp_gt_i32 s7, 14
	s_cbranch_scc0 .LBB40_1413
; %bb.1411:
	s_cmp_eq_u32 s7, 15
	s_cbranch_scc0 .LBB40_1416
; %bb.1412:
	global_load_u16 v3, v[0:1], off
	s_mov_b32 s8, 0
	s_mov_b32 s10, -1
	s_wait_loadcnt 0x0
	v_lshlrev_b32_e32 v5, 16, v3
	s_branch .LBB40_1418
.LBB40_1413:
	s_mov_b32 s9, -1
	s_branch .LBB40_1417
.LBB40_1414:
	s_or_saveexec_b32 s10, s10
	v_mov_b32_e32 v5, 0x7f800001
	s_xor_b32 exec_lo, exec_lo, s10
	s_cbranch_execz .LBB40_1395
.LBB40_1415:
	v_cmp_ne_u16_e32 vcc_lo, 0, v3
	v_mov_b32_e32 v5, 0
	s_and_not1_b32 s9, s9, exec_lo
	s_and_b32 s11, vcc_lo, exec_lo
	s_delay_alu instid0(SALU_CYCLE_1)
	s_or_b32 s9, s9, s11
	s_or_b32 exec_lo, exec_lo, s10
	s_and_saveexec_b32 s10, s9
	s_cbranch_execnz .LBB40_1396
	s_branch .LBB40_1397
.LBB40_1416:
	s_mov_b32 s8, -1
.LBB40_1417:
                                        ; implicit-def: $vgpr5
.LBB40_1418:
	s_and_b32 vcc_lo, exec_lo, s9
	s_mov_b32 s9, 0
	s_cbranch_vccz .LBB40_1420
; %bb.1419:
	s_cmp_lg_u32 s7, 11
	s_mov_b32 s9, -1
	s_cselect_b32 s7, -1, 0
	s_and_not1_b32 s8, s8, exec_lo
	s_and_b32 s7, s7, exec_lo
	s_delay_alu instid0(SALU_CYCLE_1)
	s_or_b32 s8, s8, s7
.LBB40_1420:
	s_mov_b32 s7, 0
.LBB40_1421:
	s_and_not1_b32 s11, s39, exec_lo
	s_and_b32 s12, s8, exec_lo
	s_and_b32 s10, s10, exec_lo
	;; [unrolled: 1-line block ×4, first 2 shown]
	s_or_b32 s39, s11, s12
	s_wait_xcnt 0x0
	s_or_b32 exec_lo, exec_lo, s6
	s_and_saveexec_b32 s6, s39
	s_cbranch_execz .LBB40_1350
.LBB40_1422:
	s_or_b32 s1, s1, exec_lo
	s_and_not1_b32 s8, s8, exec_lo
	s_trap 2
	s_or_b32 exec_lo, exec_lo, s6
	s_and_saveexec_b32 s6, s8
	s_delay_alu instid0(SALU_CYCLE_1)
	s_xor_b32 s6, exec_lo, s6
	s_cbranch_execnz .LBB40_1351
.LBB40_1423:
	s_or_b32 exec_lo, exec_lo, s6
	s_and_saveexec_b32 s6, s7
	s_cbranch_execz .LBB40_1469
.LBB40_1424:
	s_sext_i32_i16 s7, s0
	s_delay_alu instid0(SALU_CYCLE_1)
	s_cmp_lt_i32 s7, 5
	s_cbranch_scc1 .LBB40_1429
; %bb.1425:
	s_cmp_lt_i32 s7, 8
	s_cbranch_scc1 .LBB40_1430
; %bb.1426:
	;; [unrolled: 3-line block ×3, first 2 shown]
	s_cmp_gt_i32 s7, 9
	s_cbranch_scc0 .LBB40_1432
; %bb.1428:
	s_wait_loadcnt 0x0
	global_load_b64 v[4:5], v[0:1], off
	s_mov_b32 s7, 0
	s_wait_loadcnt 0x0
	v_cvt_f32_f64_e32 v5, v[4:5]
	s_branch .LBB40_1433
.LBB40_1429:
                                        ; implicit-def: $vgpr5
	s_branch .LBB40_1450
.LBB40_1430:
                                        ; implicit-def: $vgpr5
	s_branch .LBB40_1439
.LBB40_1431:
	s_mov_b32 s7, -1
                                        ; implicit-def: $vgpr5
	s_branch .LBB40_1436
.LBB40_1432:
	s_mov_b32 s7, -1
                                        ; implicit-def: $vgpr5
.LBB40_1433:
	s_delay_alu instid0(SALU_CYCLE_1)
	s_and_not1_b32 vcc_lo, exec_lo, s7
	s_cbranch_vccnz .LBB40_1435
; %bb.1434:
	s_wait_loadcnt 0x0
	global_load_b32 v5, v[0:1], off
.LBB40_1435:
	s_mov_b32 s7, 0
.LBB40_1436:
	s_delay_alu instid0(SALU_CYCLE_1)
	s_and_not1_b32 vcc_lo, exec_lo, s7
	s_cbranch_vccnz .LBB40_1438
; %bb.1437:
	s_wait_loadcnt 0x0
	global_load_b32 v3, v[0:1], off
	s_wait_loadcnt 0x0
	v_cvt_f32_f16_e32 v5, v3
.LBB40_1438:
	s_cbranch_execnz .LBB40_1449
.LBB40_1439:
	s_sext_i32_i16 s7, s0
	s_delay_alu instid0(SALU_CYCLE_1)
	s_cmp_lt_i32 s7, 6
	s_cbranch_scc1 .LBB40_1442
; %bb.1440:
	s_cmp_gt_i32 s7, 6
	s_cbranch_scc0 .LBB40_1443
; %bb.1441:
	s_wait_loadcnt 0x0
	global_load_b64 v[4:5], v[0:1], off
	s_mov_b32 s7, 0
	s_wait_loadcnt 0x0
	v_cvt_f32_f64_e32 v5, v[4:5]
	s_branch .LBB40_1444
.LBB40_1442:
	s_mov_b32 s7, -1
                                        ; implicit-def: $vgpr5
	s_branch .LBB40_1447
.LBB40_1443:
	s_mov_b32 s7, -1
                                        ; implicit-def: $vgpr5
.LBB40_1444:
	s_delay_alu instid0(SALU_CYCLE_1)
	s_and_not1_b32 vcc_lo, exec_lo, s7
	s_cbranch_vccnz .LBB40_1446
; %bb.1445:
	s_wait_loadcnt 0x0
	global_load_b32 v5, v[0:1], off
.LBB40_1446:
	s_mov_b32 s7, 0
.LBB40_1447:
	s_delay_alu instid0(SALU_CYCLE_1)
	s_and_not1_b32 vcc_lo, exec_lo, s7
	s_cbranch_vccnz .LBB40_1449
; %bb.1448:
	s_wait_loadcnt 0x0
	global_load_u16 v3, v[0:1], off
	s_wait_loadcnt 0x0
	v_cvt_f32_f16_e32 v5, v3
.LBB40_1449:
	s_cbranch_execnz .LBB40_1468
.LBB40_1450:
	s_sext_i32_i16 s7, s0
	s_delay_alu instid0(SALU_CYCLE_1)
	s_cmp_lt_i32 s7, 2
	s_cbranch_scc1 .LBB40_1454
; %bb.1451:
	s_cmp_lt_i32 s7, 3
	s_cbranch_scc1 .LBB40_1455
; %bb.1452:
	s_cmp_gt_i32 s7, 3
	s_cbranch_scc0 .LBB40_1456
; %bb.1453:
	s_wait_loadcnt 0x0
	global_load_b64 v[4:5], v[0:1], off
	s_mov_b32 s7, 0
	s_wait_loadcnt 0x0
	v_xor_b32_e32 v3, v4, v5
	v_cls_i32_e32 v6, v5
	s_delay_alu instid0(VALU_DEP_2) | instskip(NEXT) | instid1(VALU_DEP_1)
	v_ashrrev_i32_e32 v3, 31, v3
	v_add_nc_u32_e32 v3, 32, v3
	s_delay_alu instid0(VALU_DEP_1) | instskip(NEXT) | instid1(VALU_DEP_1)
	v_add_min_u32_e64 v3, v6, -1, v3
	v_lshlrev_b64_e32 v[4:5], v3, v[4:5]
	v_sub_nc_u32_e32 v3, 32, v3
	s_delay_alu instid0(VALU_DEP_2) | instskip(NEXT) | instid1(VALU_DEP_1)
	v_min_u32_e32 v4, 1, v4
	v_or_b32_e32 v4, v5, v4
	s_delay_alu instid0(VALU_DEP_1) | instskip(NEXT) | instid1(VALU_DEP_1)
	v_cvt_f32_i32_e32 v4, v4
	v_ldexp_f32 v5, v4, v3
	s_branch .LBB40_1457
.LBB40_1454:
                                        ; implicit-def: $vgpr5
	s_branch .LBB40_1463
.LBB40_1455:
	s_mov_b32 s7, -1
                                        ; implicit-def: $vgpr5
	s_branch .LBB40_1460
.LBB40_1456:
	s_mov_b32 s7, -1
                                        ; implicit-def: $vgpr5
.LBB40_1457:
	s_delay_alu instid0(SALU_CYCLE_1)
	s_and_not1_b32 vcc_lo, exec_lo, s7
	s_cbranch_vccnz .LBB40_1459
; %bb.1458:
	s_wait_loadcnt 0x0
	global_load_b32 v3, v[0:1], off
	s_wait_loadcnt 0x0
	v_cvt_f32_i32_e32 v5, v3
.LBB40_1459:
	s_mov_b32 s7, 0
.LBB40_1460:
	s_delay_alu instid0(SALU_CYCLE_1)
	s_and_not1_b32 vcc_lo, exec_lo, s7
	s_cbranch_vccnz .LBB40_1462
; %bb.1461:
	s_wait_loadcnt 0x0
	global_load_i16 v3, v[0:1], off
	s_wait_loadcnt 0x0
	v_cvt_f32_i32_e32 v5, v3
.LBB40_1462:
	s_cbranch_execnz .LBB40_1468
.LBB40_1463:
	s_sext_i32_i16 s0, s0
	s_delay_alu instid0(SALU_CYCLE_1)
	s_cmp_gt_i32 s0, 0
	s_mov_b32 s0, 0
	s_cbranch_scc0 .LBB40_1465
; %bb.1464:
	s_wait_loadcnt 0x0
	global_load_i8 v3, v[0:1], off
	s_wait_loadcnt 0x0
	v_cvt_f32_i32_e32 v5, v3
	s_branch .LBB40_1466
.LBB40_1465:
	s_mov_b32 s0, -1
                                        ; implicit-def: $vgpr5
.LBB40_1466:
	s_delay_alu instid0(SALU_CYCLE_1)
	s_and_not1_b32 vcc_lo, exec_lo, s0
	s_cbranch_vccnz .LBB40_1468
; %bb.1467:
	s_wait_loadcnt 0x0
	global_load_u8 v0, v[0:1], off
	s_wait_loadcnt 0x0
	v_cvt_f32_ubyte0_e32 v5, v0
.LBB40_1468:
	s_or_b32 s10, s10, exec_lo
.LBB40_1469:
	s_wait_xcnt 0x0
	s_or_b32 exec_lo, exec_lo, s6
	s_mov_b32 s0, 0
	s_mov_b32 s8, 0
                                        ; implicit-def: $sgpr6
                                        ; implicit-def: $vgpr0_vgpr1
                                        ; implicit-def: $vgpr4
	s_and_saveexec_b32 s7, s10
	s_cbranch_execz .LBB40_1544
; %bb.1470:
	s_wait_loadcnt 0x0
	s_delay_alu instid0(VALU_DEP_1) | instskip(SKIP_3) | instid1(VALU_DEP_2)
	v_dual_mov_b32 v3, 0 :: v_dual_mul_f32 v4, v8, v5
	v_cmp_lt_f32_e32 vcc_lo, 0, v8
	s_and_b32 s6, s31, 0xff
	s_mov_b32 s9, 0
	v_add_nc_u64_e32 v[0:1], s[4:5], v[2:3]
	s_mov_b32 s5, -1
	v_cndmask_b32_e32 v4, v4, v8, vcc_lo
	s_cmp_lt_i32 s6, 11
	s_mov_b32 s0, s38
	s_cbranch_scc1 .LBB40_1548
; %bb.1471:
	s_and_b32 s4, 0xffff, s6
	s_mov_b32 s0, s38
	s_cmp_gt_i32 s4, 25
	s_cbranch_scc0 .LBB40_1504
; %bb.1472:
	s_cmp_gt_i32 s4, 28
	s_mov_b32 s0, s38
	s_cbranch_scc0 .LBB40_1488
; %bb.1473:
	s_cmp_gt_i32 s4, 43
	s_mov_b32 s0, s38
	;; [unrolled: 4-line block ×3, first 2 shown]
	s_cbranch_scc0 .LBB40_1478
; %bb.1475:
	s_cmp_eq_u32 s4, 46
	s_mov_b32 s0, -1
	s_cbranch_scc0 .LBB40_1477
; %bb.1476:
	v_bfe_u32 v2, v4, 16, 1
	v_cmp_o_f32_e32 vcc_lo, v4, v4
	s_mov_b32 s0, 0
	s_delay_alu instid0(VALU_DEP_2) | instskip(NEXT) | instid1(VALU_DEP_1)
	v_add3_u32 v2, v4, v2, 0x7fff
	v_lshrrev_b32_e32 v2, 16, v2
	s_delay_alu instid0(VALU_DEP_1)
	v_cndmask_b32_e32 v2, 0x7fc0, v2, vcc_lo
	global_store_b32 v[0:1], v2, off
.LBB40_1477:
	s_mov_b32 s5, 0
.LBB40_1478:
	s_delay_alu instid0(SALU_CYCLE_1)
	s_and_b32 vcc_lo, exec_lo, s5
	s_cbranch_vccz .LBB40_1483
; %bb.1479:
	s_cmp_eq_u32 s4, 44
	s_mov_b32 s0, -1
	s_cbranch_scc0 .LBB40_1483
; %bb.1480:
	v_bfe_u32 v3, v4, 23, 8
	s_wait_xcnt 0x0
	v_mov_b32_e32 v2, 0xff
	s_mov_b32 s5, exec_lo
	s_delay_alu instid0(VALU_DEP_2)
	v_cmpx_ne_u32_e32 0xff, v3
	s_cbranch_execz .LBB40_1482
; %bb.1481:
	v_and_b32_e32 v2, 0x400000, v4
	v_and_or_b32 v3, 0x3fffff, v4, v3
	s_delay_alu instid0(VALU_DEP_2) | instskip(NEXT) | instid1(VALU_DEP_2)
	v_cmp_ne_u32_e32 vcc_lo, 0, v2
	v_cmp_ne_u32_e64 s0, 0, v3
	v_lshrrev_b32_e32 v2, 23, v4
	s_and_b32 s0, vcc_lo, s0
	s_delay_alu instid0(SALU_CYCLE_1) | instskip(NEXT) | instid1(VALU_DEP_1)
	v_cndmask_b32_e64 v3, 0, 1, s0
	v_add_nc_u32_e32 v2, v2, v3
.LBB40_1482:
	s_or_b32 exec_lo, exec_lo, s5
	s_mov_b32 s0, 0
	global_store_b8 v[0:1], v2, off
.LBB40_1483:
	s_mov_b32 s5, 0
.LBB40_1484:
	s_delay_alu instid0(SALU_CYCLE_1)
	s_and_b32 vcc_lo, exec_lo, s5
	s_cbranch_vccz .LBB40_1487
; %bb.1485:
	s_cmp_eq_u32 s4, 29
	s_mov_b32 s0, -1
	s_cbranch_scc0 .LBB40_1487
; %bb.1486:
	s_wait_xcnt 0x0
	v_trunc_f32_e32 v2, v4
	s_mov_b32 s0, 0
	s_delay_alu instid0(VALU_DEP_1) | instskip(NEXT) | instid1(VALU_DEP_1)
	v_mul_f32_e32 v3, 0x2f800000, v2
	v_floor_f32_e32 v3, v3
	s_delay_alu instid0(VALU_DEP_1) | instskip(SKIP_1) | instid1(VALU_DEP_2)
	v_fmamk_f32 v2, v3, 0xcf800000, v2
	v_cvt_u32_f32_e32 v3, v3
	v_cvt_u32_f32_e32 v2, v2
	global_store_b64 v[0:1], v[2:3], off
.LBB40_1487:
	s_mov_b32 s5, 0
.LBB40_1488:
	s_delay_alu instid0(SALU_CYCLE_1)
	s_and_b32 vcc_lo, exec_lo, s5
	s_cbranch_vccz .LBB40_1503
; %bb.1489:
	s_cmp_lt_i32 s4, 27
	s_mov_b32 s5, -1
	s_cbranch_scc1 .LBB40_1495
; %bb.1490:
	s_cmp_gt_i32 s4, 27
	s_cbranch_scc0 .LBB40_1492
; %bb.1491:
	s_wait_xcnt 0x0
	v_cvt_u32_f32_e32 v2, v4
	s_mov_b32 s5, 0
	global_store_b32 v[0:1], v2, off
.LBB40_1492:
	s_and_not1_b32 vcc_lo, exec_lo, s5
	s_cbranch_vccnz .LBB40_1494
; %bb.1493:
	s_wait_xcnt 0x0
	v_cvt_u32_f32_e32 v2, v4
	global_store_b16 v[0:1], v2, off
.LBB40_1494:
	s_mov_b32 s5, 0
.LBB40_1495:
	s_delay_alu instid0(SALU_CYCLE_1)
	s_and_not1_b32 vcc_lo, exec_lo, s5
	s_cbranch_vccnz .LBB40_1503
; %bb.1496:
	s_wait_xcnt 0x0
	v_and_b32_e32 v2, 0x7fffffff, v4
	v_mov_b32_e32 v3, 0x80
	s_mov_b32 s5, exec_lo
	s_delay_alu instid0(VALU_DEP_2)
	v_cmpx_gt_u32_e32 0x43800000, v2
	s_cbranch_execz .LBB40_1502
; %bb.1497:
	v_cmp_lt_u32_e32 vcc_lo, 0x3bffffff, v2
                                        ; implicit-def: $vgpr2
	s_and_saveexec_b32 s9, vcc_lo
	s_delay_alu instid0(SALU_CYCLE_1)
	s_xor_b32 s9, exec_lo, s9
	s_cbranch_execz .LBB40_1647
; %bb.1498:
	v_bfe_u32 v2, v4, 20, 1
	s_mov_b32 s8, exec_lo
	s_delay_alu instid0(VALU_DEP_1) | instskip(NEXT) | instid1(VALU_DEP_1)
	v_add3_u32 v2, v4, v2, 0x487ffff
	v_lshrrev_b32_e32 v2, 20, v2
	s_and_not1_saveexec_b32 s9, s9
	s_cbranch_execnz .LBB40_1648
.LBB40_1499:
	s_or_b32 exec_lo, exec_lo, s9
	v_mov_b32_e32 v3, 0
	s_and_saveexec_b32 s9, s8
.LBB40_1500:
	v_lshrrev_b32_e32 v3, 24, v4
	s_delay_alu instid0(VALU_DEP_1)
	v_and_or_b32 v3, 0x80, v3, v2
.LBB40_1501:
	s_or_b32 exec_lo, exec_lo, s9
.LBB40_1502:
	s_delay_alu instid0(SALU_CYCLE_1)
	s_or_b32 exec_lo, exec_lo, s5
	global_store_b8 v[0:1], v3, off
.LBB40_1503:
	s_mov_b32 s5, 0
.LBB40_1504:
	s_delay_alu instid0(SALU_CYCLE_1)
	s_and_b32 vcc_lo, exec_lo, s5
	s_mov_b32 s5, 0
	s_cbranch_vccz .LBB40_1547
; %bb.1505:
	s_cmp_gt_i32 s4, 22
	s_mov_b32 s8, -1
	s_cbranch_scc0 .LBB40_1537
; %bb.1506:
	s_cmp_lt_i32 s4, 24
	s_cbranch_scc1 .LBB40_1526
; %bb.1507:
	s_cmp_gt_i32 s4, 24
	s_cbranch_scc0 .LBB40_1515
; %bb.1508:
	s_wait_xcnt 0x0
	v_and_b32_e32 v2, 0x7fffffff, v4
	v_mov_b32_e32 v3, 0x80
	s_mov_b32 s8, exec_lo
	s_delay_alu instid0(VALU_DEP_2)
	v_cmpx_gt_u32_e32 0x47800000, v2
	s_cbranch_execz .LBB40_1514
; %bb.1509:
	v_cmp_lt_u32_e32 vcc_lo, 0x37ffffff, v2
	s_mov_b32 s9, 0
                                        ; implicit-def: $vgpr2
	s_and_saveexec_b32 s10, vcc_lo
	s_delay_alu instid0(SALU_CYCLE_1)
	s_xor_b32 s10, exec_lo, s10
	s_cbranch_execz .LBB40_1773
; %bb.1510:
	v_bfe_u32 v2, v4, 21, 1
	s_mov_b32 s9, exec_lo
	s_delay_alu instid0(VALU_DEP_1) | instskip(NEXT) | instid1(VALU_DEP_1)
	v_add3_u32 v2, v4, v2, 0x88fffff
	v_lshrrev_b32_e32 v2, 21, v2
	s_and_not1_saveexec_b32 s10, s10
	s_cbranch_execnz .LBB40_1774
.LBB40_1511:
	s_or_b32 exec_lo, exec_lo, s10
	v_mov_b32_e32 v3, 0
	s_and_saveexec_b32 s10, s9
.LBB40_1512:
	v_lshrrev_b32_e32 v3, 24, v4
	s_delay_alu instid0(VALU_DEP_1)
	v_and_or_b32 v3, 0x80, v3, v2
.LBB40_1513:
	s_or_b32 exec_lo, exec_lo, s10
.LBB40_1514:
	s_delay_alu instid0(SALU_CYCLE_1)
	s_or_b32 exec_lo, exec_lo, s8
	s_mov_b32 s8, 0
	global_store_b8 v[0:1], v3, off
.LBB40_1515:
	s_and_b32 vcc_lo, exec_lo, s8
	s_cbranch_vccz .LBB40_1525
; %bb.1516:
	s_wait_xcnt 0x0
	v_and_b32_e32 v3, 0x7fffffff, v4
	s_mov_b32 s8, exec_lo
                                        ; implicit-def: $vgpr2
	s_delay_alu instid0(VALU_DEP_1)
	v_cmpx_gt_u32_e32 0x43f00000, v3
	s_xor_b32 s8, exec_lo, s8
	s_cbranch_execz .LBB40_1522
; %bb.1517:
	s_mov_b32 s9, exec_lo
                                        ; implicit-def: $vgpr2
	v_cmpx_lt_u32_e32 0x3c7fffff, v3
	s_xor_b32 s9, exec_lo, s9
; %bb.1518:
	v_bfe_u32 v2, v4, 20, 1
	s_delay_alu instid0(VALU_DEP_1) | instskip(NEXT) | instid1(VALU_DEP_1)
	v_add3_u32 v2, v4, v2, 0x407ffff
	v_and_b32_e32 v3, 0xff00000, v2
	v_lshrrev_b32_e32 v2, 20, v2
	s_delay_alu instid0(VALU_DEP_2) | instskip(NEXT) | instid1(VALU_DEP_2)
	v_cmp_ne_u32_e32 vcc_lo, 0x7f00000, v3
	v_cndmask_b32_e32 v2, 0x7e, v2, vcc_lo
; %bb.1519:
	s_and_not1_saveexec_b32 s9, s9
; %bb.1520:
	v_add_f32_e64 v2, 0x46800000, |v4|
; %bb.1521:
	s_or_b32 exec_lo, exec_lo, s9
                                        ; implicit-def: $vgpr3
.LBB40_1522:
	s_and_not1_saveexec_b32 s8, s8
; %bb.1523:
	v_mov_b32_e32 v2, 0x7f
	v_cmp_lt_u32_e32 vcc_lo, 0x7f800000, v3
	s_delay_alu instid0(VALU_DEP_2)
	v_cndmask_b32_e32 v2, 0x7e, v2, vcc_lo
; %bb.1524:
	s_or_b32 exec_lo, exec_lo, s8
	v_lshrrev_b32_e32 v3, 24, v4
	s_delay_alu instid0(VALU_DEP_1)
	v_and_or_b32 v2, 0x80, v3, v2
	global_store_b8 v[0:1], v2, off
.LBB40_1525:
	s_mov_b32 s8, 0
.LBB40_1526:
	s_delay_alu instid0(SALU_CYCLE_1)
	s_and_not1_b32 vcc_lo, exec_lo, s8
	s_cbranch_vccnz .LBB40_1536
; %bb.1527:
	s_wait_xcnt 0x0
	v_and_b32_e32 v3, 0x7fffffff, v4
	s_mov_b32 s8, exec_lo
                                        ; implicit-def: $vgpr2
	s_delay_alu instid0(VALU_DEP_1)
	v_cmpx_gt_u32_e32 0x47800000, v3
	s_xor_b32 s8, exec_lo, s8
	s_cbranch_execz .LBB40_1533
; %bb.1528:
	s_mov_b32 s9, exec_lo
                                        ; implicit-def: $vgpr2
	v_cmpx_lt_u32_e32 0x387fffff, v3
	s_xor_b32 s9, exec_lo, s9
; %bb.1529:
	v_bfe_u32 v2, v4, 21, 1
	s_delay_alu instid0(VALU_DEP_1) | instskip(NEXT) | instid1(VALU_DEP_1)
	v_add3_u32 v2, v4, v2, 0x80fffff
	v_lshrrev_b32_e32 v2, 21, v2
; %bb.1530:
	s_and_not1_saveexec_b32 s9, s9
; %bb.1531:
	v_add_f32_e64 v2, 0x43000000, |v4|
; %bb.1532:
	s_or_b32 exec_lo, exec_lo, s9
                                        ; implicit-def: $vgpr3
.LBB40_1533:
	s_and_not1_saveexec_b32 s8, s8
; %bb.1534:
	v_mov_b32_e32 v2, 0x7f
	v_cmp_lt_u32_e32 vcc_lo, 0x7f800000, v3
	s_delay_alu instid0(VALU_DEP_2)
	v_cndmask_b32_e32 v2, 0x7c, v2, vcc_lo
; %bb.1535:
	s_or_b32 exec_lo, exec_lo, s8
	v_lshrrev_b32_e32 v3, 24, v4
	s_delay_alu instid0(VALU_DEP_1)
	v_and_or_b32 v2, 0x80, v3, v2
	global_store_b8 v[0:1], v2, off
.LBB40_1536:
	s_mov_b32 s8, 0
.LBB40_1537:
	s_delay_alu instid0(SALU_CYCLE_1)
	s_and_not1_b32 vcc_lo, exec_lo, s8
	s_mov_b32 s9, 0
	s_cbranch_vccnz .LBB40_1548
; %bb.1538:
	s_cmp_gt_i32 s4, 14
	s_mov_b32 s8, -1
	s_cbranch_scc0 .LBB40_1542
; %bb.1539:
	s_cmp_eq_u32 s4, 15
	s_mov_b32 s0, -1
	s_cbranch_scc0 .LBB40_1541
; %bb.1540:
	s_wait_xcnt 0x0
	v_bfe_u32 v2, v4, 16, 1
	v_cmp_o_f32_e32 vcc_lo, v4, v4
	s_mov_b32 s0, 0
	s_delay_alu instid0(VALU_DEP_2) | instskip(NEXT) | instid1(VALU_DEP_1)
	v_add3_u32 v2, v4, v2, 0x7fff
	v_lshrrev_b32_e32 v2, 16, v2
	s_delay_alu instid0(VALU_DEP_1)
	v_cndmask_b32_e32 v2, 0x7fc0, v2, vcc_lo
	global_store_b16 v[0:1], v2, off
.LBB40_1541:
	s_mov_b32 s8, 0
.LBB40_1542:
	s_delay_alu instid0(SALU_CYCLE_1)
	s_and_b32 vcc_lo, exec_lo, s8
	s_cbranch_vccz .LBB40_1548
; %bb.1543:
	s_cmp_lg_u32 s4, 11
	s_mov_b32 s9, -1
	s_cselect_b32 s4, -1, 0
	s_and_not1_b32 s0, s0, exec_lo
	s_and_b32 s4, s4, exec_lo
	s_delay_alu instid0(SALU_CYCLE_1)
	s_or_b32 s0, s0, s4
	s_branch .LBB40_1548
.LBB40_1544:
	s_or_b32 exec_lo, exec_lo, s7
	s_and_saveexec_b32 s4, s38
	s_cbranch_execnz .LBB40_1549
.LBB40_1545:
	s_or_b32 exec_lo, exec_lo, s4
	s_and_saveexec_b32 s4, s0
	s_delay_alu instid0(SALU_CYCLE_1)
	s_xor_b32 s0, exec_lo, s4
	s_cbranch_execz .LBB40_1550
.LBB40_1546:
	v_cmp_neq_f32_e32 vcc_lo, 0, v4
	v_cndmask_b32_e64 v2, 0, 1, vcc_lo
	s_wait_loadcnt 0x0
	global_store_b8 v[0:1], v2, off
	s_wait_xcnt 0x0
	s_or_b32 exec_lo, exec_lo, s0
	s_and_saveexec_b32 s0, s8
	s_delay_alu instid0(SALU_CYCLE_1)
	s_xor_b32 s0, exec_lo, s0
	s_cbranch_execz .LBB40_1588
	s_branch .LBB40_1551
.LBB40_1547:
	s_mov_b32 s9, 0
.LBB40_1548:
	s_and_b32 s8, s5, exec_lo
	s_and_not1_b32 s4, s38, exec_lo
	s_and_b32 s5, s0, exec_lo
	s_and_b32 s0, s9, exec_lo
	s_or_b32 s38, s4, s5
	s_wait_xcnt 0x0
	s_or_b32 exec_lo, exec_lo, s7
	s_and_saveexec_b32 s4, s38
	s_cbranch_execz .LBB40_1545
.LBB40_1549:
	s_or_b32 s1, s1, exec_lo
	s_and_not1_b32 s0, s0, exec_lo
	s_trap 2
	s_or_b32 exec_lo, exec_lo, s4
	s_and_saveexec_b32 s4, s0
	s_delay_alu instid0(SALU_CYCLE_1)
	s_xor_b32 s0, exec_lo, s4
	s_cbranch_execnz .LBB40_1546
.LBB40_1550:
	s_or_b32 exec_lo, exec_lo, s0
	s_and_saveexec_b32 s0, s8
	s_delay_alu instid0(SALU_CYCLE_1)
	s_xor_b32 s0, exec_lo, s0
	s_cbranch_execz .LBB40_1588
.LBB40_1551:
	s_sext_i32_i16 s5, s6
	s_mov_b32 s4, -1
	s_cmp_lt_i32 s5, 5
	s_cbranch_scc1 .LBB40_1572
; %bb.1552:
	s_cmp_lt_i32 s5, 8
	s_cbranch_scc1 .LBB40_1562
; %bb.1553:
	;; [unrolled: 3-line block ×3, first 2 shown]
	s_cmp_gt_i32 s5, 9
	s_cbranch_scc0 .LBB40_1556
; %bb.1555:
	s_wait_loadcnt 0x0
	v_cvt_f64_f32_e32 v[6:7], v4
	v_mov_b32_e32 v8, 0
	s_mov_b32 s4, 0
	s_delay_alu instid0(VALU_DEP_1)
	v_mov_b32_e32 v9, v8
	global_store_b128 v[0:1], v[6:9], off
.LBB40_1556:
	s_and_not1_b32 vcc_lo, exec_lo, s4
	s_cbranch_vccnz .LBB40_1558
; %bb.1557:
	s_wait_loadcnt 0x0
	v_mov_b32_e32 v5, 0
	global_store_b64 v[0:1], v[4:5], off
.LBB40_1558:
	s_mov_b32 s4, 0
.LBB40_1559:
	s_delay_alu instid0(SALU_CYCLE_1)
	s_and_not1_b32 vcc_lo, exec_lo, s4
	s_cbranch_vccnz .LBB40_1561
; %bb.1560:
	v_cvt_f16_f32_e32 v2, v4
	s_delay_alu instid0(VALU_DEP_1)
	v_and_b32_e32 v2, 0xffff, v2
	s_wait_loadcnt 0x0
	global_store_b32 v[0:1], v2, off
.LBB40_1561:
	s_mov_b32 s4, 0
.LBB40_1562:
	s_delay_alu instid0(SALU_CYCLE_1)
	s_and_not1_b32 vcc_lo, exec_lo, s4
	s_cbranch_vccnz .LBB40_1571
; %bb.1563:
	s_sext_i32_i16 s5, s6
	s_mov_b32 s4, -1
	s_cmp_lt_i32 s5, 6
	s_cbranch_scc1 .LBB40_1569
; %bb.1564:
	s_cmp_gt_i32 s5, 6
	s_cbranch_scc0 .LBB40_1566
; %bb.1565:
	s_wait_xcnt 0x0
	v_cvt_f64_f32_e32 v[2:3], v4
	s_mov_b32 s4, 0
	s_wait_loadcnt 0x0
	global_store_b64 v[0:1], v[2:3], off
.LBB40_1566:
	s_and_not1_b32 vcc_lo, exec_lo, s4
	s_cbranch_vccnz .LBB40_1568
; %bb.1567:
	s_wait_loadcnt 0x0
	global_store_b32 v[0:1], v4, off
.LBB40_1568:
	s_mov_b32 s4, 0
.LBB40_1569:
	s_delay_alu instid0(SALU_CYCLE_1)
	s_and_not1_b32 vcc_lo, exec_lo, s4
	s_cbranch_vccnz .LBB40_1571
; %bb.1570:
	s_wait_xcnt 0x0
	v_cvt_f16_f32_e32 v2, v4
	s_wait_loadcnt 0x0
	global_store_b16 v[0:1], v2, off
.LBB40_1571:
	s_mov_b32 s4, 0
.LBB40_1572:
	s_delay_alu instid0(SALU_CYCLE_1)
	s_and_not1_b32 vcc_lo, exec_lo, s4
	s_cbranch_vccnz .LBB40_1588
; %bb.1573:
	s_sext_i32_i16 s5, s6
	s_mov_b32 s4, -1
	s_cmp_lt_i32 s5, 2
	s_cbranch_scc1 .LBB40_1583
; %bb.1574:
	s_cmp_lt_i32 s5, 3
	s_cbranch_scc1 .LBB40_1580
; %bb.1575:
	s_cmp_gt_i32 s5, 3
	s_cbranch_scc0 .LBB40_1577
; %bb.1576:
	s_wait_xcnt 0x0
	v_trunc_f32_e32 v2, v4
	s_mov_b32 s4, 0
	s_delay_alu instid0(VALU_DEP_1) | instskip(NEXT) | instid1(VALU_DEP_1)
	v_mul_f32_e64 v3, 0x2f800000, |v2|
	v_floor_f32_e32 v3, v3
	s_wait_loadcnt 0x0
	s_delay_alu instid0(VALU_DEP_1) | instskip(SKIP_2) | instid1(VALU_DEP_3)
	v_fma_f32 v5, 0xcf800000, v3, |v2|
	v_ashrrev_i32_e32 v2, 31, v2
	v_cvt_u32_f32_e32 v6, v3
	v_cvt_u32_f32_e32 v5, v5
	s_delay_alu instid0(VALU_DEP_3) | instskip(NEXT) | instid1(VALU_DEP_3)
	v_mov_b32_e32 v3, v2
	v_xor_b32_e32 v7, v6, v2
	s_delay_alu instid0(VALU_DEP_3) | instskip(NEXT) | instid1(VALU_DEP_1)
	v_xor_b32_e32 v6, v5, v2
	v_sub_nc_u64_e32 v[2:3], v[6:7], v[2:3]
	global_store_b64 v[0:1], v[2:3], off
.LBB40_1577:
	s_and_not1_b32 vcc_lo, exec_lo, s4
	s_cbranch_vccnz .LBB40_1579
; %bb.1578:
	s_wait_xcnt 0x0
	v_cvt_i32_f32_e32 v2, v4
	s_wait_loadcnt 0x0
	global_store_b32 v[0:1], v2, off
.LBB40_1579:
	s_mov_b32 s4, 0
.LBB40_1580:
	s_delay_alu instid0(SALU_CYCLE_1)
	s_and_not1_b32 vcc_lo, exec_lo, s4
	s_cbranch_vccnz .LBB40_1582
; %bb.1581:
	s_wait_xcnt 0x0
	v_cvt_i32_f32_e32 v2, v4
	s_wait_loadcnt 0x0
	global_store_b16 v[0:1], v2, off
.LBB40_1582:
	s_mov_b32 s4, 0
.LBB40_1583:
	s_delay_alu instid0(SALU_CYCLE_1)
	s_and_not1_b32 vcc_lo, exec_lo, s4
	s_cbranch_vccnz .LBB40_1588
; %bb.1584:
	s_sext_i32_i16 s4, s6
	s_delay_alu instid0(SALU_CYCLE_1)
	s_cmp_gt_i32 s4, 0
	s_mov_b32 s4, -1
	s_cbranch_scc0 .LBB40_1586
; %bb.1585:
	s_wait_xcnt 0x0
	v_cvt_i32_f32_e32 v2, v4
	s_mov_b32 s4, 0
	s_wait_loadcnt 0x0
	global_store_b8 v[0:1], v2, off
.LBB40_1586:
	s_and_not1_b32 vcc_lo, exec_lo, s4
	s_cbranch_vccnz .LBB40_1588
; %bb.1587:
	s_wait_xcnt 0x0
	v_trunc_f32_e32 v2, v4
	s_delay_alu instid0(VALU_DEP_1) | instskip(NEXT) | instid1(VALU_DEP_1)
	v_mul_f32_e64 v3, 0x2f800000, |v2|
	v_floor_f32_e32 v3, v3
	s_delay_alu instid0(VALU_DEP_1) | instskip(SKIP_1) | instid1(VALU_DEP_2)
	v_fma_f32 v3, 0xcf800000, v3, |v2|
	v_ashrrev_i32_e32 v2, 31, v2
	v_cvt_u32_f32_e32 v3, v3
	s_delay_alu instid0(VALU_DEP_1) | instskip(NEXT) | instid1(VALU_DEP_1)
	v_xor_b32_e32 v3, v3, v2
	v_sub_nc_u32_e32 v2, v3, v2
	s_wait_loadcnt 0x0
	global_store_b8 v[0:1], v2, off
.LBB40_1588:
	s_wait_xcnt 0x0
	s_or_b32 exec_lo, exec_lo, s0
	s_delay_alu instid0(SALU_CYCLE_1)
	s_and_b32 s8, s1, exec_lo
                                        ; implicit-def: $vgpr1
                                        ; implicit-def: $vgpr0
.LBB40_1589:
	s_or_saveexec_b32 s9, s30
	s_mov_b32 s0, 0
                                        ; implicit-def: $vgpr2_vgpr3
                                        ; implicit-def: $sgpr1
                                        ; implicit-def: $vgpr4
	s_xor_b32 exec_lo, exec_lo, s9
	s_cbranch_execz .LBB40_3108
; %bb.1590:
	v_cndmask_b32_e64 v3, 0, 1, s29
	s_and_not1_b32 vcc_lo, exec_lo, s29
	s_cbranch_vccnz .LBB40_1596
; %bb.1591:
	s_cmp_lg_u32 s26, 0
	s_mov_b32 s4, 0
	s_cbranch_scc0 .LBB40_1600
; %bb.1592:
	s_min_u32 s5, s27, 15
	s_wait_loadcnt 0x0
	v_dual_mov_b32 v6, 0 :: v_dual_mov_b32 v2, v0
	v_dual_mov_b32 v22, 0 :: v_dual_mov_b32 v20, 0
	s_add_co_i32 s6, s5, 1
	s_mov_b64 s[0:1], 0xffffffffffffffe8
	s_and_b32 s6, s6, 30
	s_add_nc_u64 s[0:1], s[2:3], s[0:1]
.LBB40_1593:                            ; =>This Inner Loop Header: Depth=1
	s_clause 0x1
	s_load_b128 s[12:15], s[0:1], 0x1c
	s_load_b64 s[10:11], s[0:1], 0x2c
	s_add_co_i32 s6, s6, -2
	s_delay_alu instid0(SALU_CYCLE_1) | instskip(SKIP_2) | instid1(VALU_DEP_1)
	s_cmp_lg_u32 s6, 0
	s_wait_kmcnt 0x0
	v_mul_hi_u32 v4, s13, v2
	v_add_nc_u32_e32 v4, v2, v4
	s_delay_alu instid0(VALU_DEP_1) | instskip(NEXT) | instid1(VALU_DEP_1)
	v_lshrrev_b32_e32 v4, s14, v4
	v_mul_hi_u32 v5, s10, v4
	v_mul_lo_u32 v7, v4, s12
	s_clause 0x1
	s_load_b128 s[16:19], s[0:1], 0xdc
	s_load_b64 s[12:13], s[0:1], 0xec
	s_wait_xcnt 0x0
	s_add_nc_u64 s[0:1], s[0:1], 24
	s_delay_alu instid0(VALU_DEP_1) | instskip(NEXT) | instid1(VALU_DEP_1)
	v_dual_add_nc_u32 v5, v4, v5 :: v_dual_sub_nc_u32 v7, v2, v7
	v_lshrrev_b32_e32 v2, s11, v5
	s_wait_kmcnt 0x0
	s_delay_alu instid0(VALU_DEP_2) | instskip(NEXT) | instid1(VALU_DEP_2)
	v_mad_u32 v6, v7, s16, v6
	v_mul_lo_u32 v5, v2, s15
	v_mad_u32 v8, v7, s18, v20
	v_mad_u32 v7, v7, s17, v22
	s_delay_alu instid0(VALU_DEP_3) | instskip(NEXT) | instid1(VALU_DEP_1)
	v_sub_nc_u32_e32 v4, v4, v5
	v_mad_u32 v6, v4, s19, v6
	s_delay_alu instid0(VALU_DEP_4) | instskip(NEXT) | instid1(VALU_DEP_4)
	v_mad_u32 v20, v4, s13, v8
	v_mad_u32 v22, v4, s12, v7
	s_cbranch_scc1 .LBB40_1593
; %bb.1594:
	s_bitcmp1_b32 s5, 0
	s_cselect_b32 s5, -1, 0
	s_delay_alu instid0(SALU_CYCLE_1)
	s_and_b32 vcc_lo, exec_lo, s5
	s_cbranch_vccnz .LBB40_1597
; %bb.1595:
	s_clause 0x1
	s_load_b96 s[12:14], s[0:1], 0x1c
	s_load_b96 s[16:18], s[0:1], 0xdc
	s_wait_kmcnt 0x0
	v_mul_hi_u32 v4, s13, v2
	s_delay_alu instid0(VALU_DEP_1) | instskip(NEXT) | instid1(VALU_DEP_1)
	v_add_nc_u32_e32 v4, v2, v4
	v_lshrrev_b32_e32 v4, s14, v4
	s_delay_alu instid0(VALU_DEP_1) | instskip(NEXT) | instid1(VALU_DEP_1)
	v_mul_lo_u32 v4, v4, s12
	v_sub_nc_u32_e32 v2, v2, v4
	s_delay_alu instid0(VALU_DEP_1)
	v_mad_u32 v6, v2, s16, v6
	v_mad_u32 v22, v2, s17, v22
	;; [unrolled: 1-line block ×3, first 2 shown]
	s_and_not1_b32 vcc_lo, exec_lo, s4
	s_cbranch_vccz .LBB40_1598
	s_branch .LBB40_1601
.LBB40_1596:
	s_mov_b32 s4, -1
                                        ; implicit-def: $vgpr20
                                        ; implicit-def: $vgpr22
                                        ; implicit-def: $vgpr6
.LBB40_1597:
	s_delay_alu instid0(SALU_CYCLE_1)
	s_and_not1_b32 vcc_lo, exec_lo, s4
	s_cbranch_vccnz .LBB40_1601
.LBB40_1598:
	s_clause 0x1
	s_load_b96 s[4:6], s[2:3], 0x4
	s_load_b96 s[12:14], s[2:3], 0xc4
	s_cmp_lt_u32 s26, 2
	s_wait_kmcnt 0x0
	v_mul_hi_u32 v2, s5, v0
	s_delay_alu instid0(VALU_DEP_1) | instskip(NEXT) | instid1(VALU_DEP_1)
	v_add_nc_u32_e32 v2, v0, v2
	v_lshrrev_b32_e32 v2, s6, v2
	s_delay_alu instid0(VALU_DEP_1) | instskip(NEXT) | instid1(VALU_DEP_1)
	v_mul_lo_u32 v4, v2, s4
	v_sub_nc_u32_e32 v4, v0, v4
	s_wait_loadcnt 0x0
	s_delay_alu instid0(VALU_DEP_1)
	v_mul_lo_u32 v6, v4, s12
	v_mul_lo_u32 v20, v4, s14
	;; [unrolled: 1-line block ×3, first 2 shown]
	s_cbranch_scc1 .LBB40_1601
; %bb.1599:
	s_clause 0x1
	s_load_b96 s[4:6], s[2:3], 0x10
	s_load_b96 s[12:14], s[2:3], 0xd0
	s_wait_kmcnt 0x0
	v_mul_hi_u32 v4, s5, v2
	s_delay_alu instid0(VALU_DEP_1) | instskip(NEXT) | instid1(VALU_DEP_1)
	v_add_nc_u32_e32 v4, v2, v4
	v_lshrrev_b32_e32 v4, s6, v4
	s_delay_alu instid0(VALU_DEP_1) | instskip(NEXT) | instid1(VALU_DEP_1)
	v_mul_lo_u32 v4, v4, s4
	v_sub_nc_u32_e32 v2, v2, v4
	s_delay_alu instid0(VALU_DEP_1)
	v_mad_u32 v6, v2, s12, v6
	v_mad_u32 v22, v2, s13, v22
	;; [unrolled: 1-line block ×3, first 2 shown]
	s_branch .LBB40_1601
.LBB40_1600:
	v_dual_mov_b32 v20, 0 :: v_dual_mov_b32 v22, 0
	s_wait_loadcnt 0x0
	v_mov_b32_e32 v6, 0
	s_and_not1_b32 vcc_lo, exec_lo, s4
	s_cbranch_vccz .LBB40_1598
.LBB40_1601:
	v_cmp_ne_u32_e32 vcc_lo, 1, v3
	v_add_nc_u32_e32 v2, 0x80, v0
	s_cbranch_vccnz .LBB40_1607
; %bb.1602:
	s_cmp_lg_u32 s26, 0
	s_mov_b32 s4, 0
	s_cbranch_scc0 .LBB40_1611
; %bb.1603:
	s_min_u32 s5, s27, 15
	s_wait_loadcnt 0x0
	v_dual_mov_b32 v4, 0 :: v_dual_mov_b32 v5, v2
	v_dual_mov_b32 v18, 0 :: v_dual_mov_b32 v16, 0
	s_add_co_i32 s6, s5, 1
	s_mov_b64 s[0:1], 0xffffffffffffffe8
	s_and_b32 s6, s6, 30
	s_add_nc_u64 s[0:1], s[2:3], s[0:1]
.LBB40_1604:                            ; =>This Inner Loop Header: Depth=1
	s_clause 0x1
	s_load_b128 s[12:15], s[0:1], 0x1c
	s_load_b64 s[10:11], s[0:1], 0x2c
	s_add_co_i32 s6, s6, -2
	s_delay_alu instid0(SALU_CYCLE_1) | instskip(SKIP_2) | instid1(VALU_DEP_1)
	s_cmp_lg_u32 s6, 0
	s_wait_kmcnt 0x0
	v_mul_hi_u32 v7, s13, v5
	v_add_nc_u32_e32 v7, v5, v7
	s_delay_alu instid0(VALU_DEP_1) | instskip(NEXT) | instid1(VALU_DEP_1)
	v_lshrrev_b32_e32 v7, s14, v7
	v_mul_hi_u32 v8, s10, v7
	v_mul_lo_u32 v9, v7, s12
	s_clause 0x1
	s_load_b128 s[16:19], s[0:1], 0xdc
	s_load_b64 s[12:13], s[0:1], 0xec
	s_wait_xcnt 0x0
	s_add_nc_u64 s[0:1], s[0:1], 24
	s_delay_alu instid0(VALU_DEP_1) | instskip(NEXT) | instid1(VALU_DEP_1)
	v_dual_add_nc_u32 v8, v7, v8 :: v_dual_sub_nc_u32 v9, v5, v9
	v_lshrrev_b32_e32 v5, s11, v8
	s_wait_kmcnt 0x0
	s_delay_alu instid0(VALU_DEP_2) | instskip(NEXT) | instid1(VALU_DEP_2)
	v_mad_u32 v4, v9, s16, v4
	v_mul_lo_u32 v8, v5, s15
	v_mad_u32 v10, v9, s18, v16
	v_mad_u32 v9, v9, s17, v18
	s_delay_alu instid0(VALU_DEP_3) | instskip(NEXT) | instid1(VALU_DEP_1)
	v_sub_nc_u32_e32 v7, v7, v8
	v_mad_u32 v4, v7, s19, v4
	s_delay_alu instid0(VALU_DEP_4) | instskip(NEXT) | instid1(VALU_DEP_4)
	v_mad_u32 v16, v7, s13, v10
	v_mad_u32 v18, v7, s12, v9
	s_cbranch_scc1 .LBB40_1604
; %bb.1605:
	s_bitcmp1_b32 s5, 0
	s_cselect_b32 s5, -1, 0
	s_delay_alu instid0(SALU_CYCLE_1)
	s_and_b32 vcc_lo, exec_lo, s5
	s_cbranch_vccnz .LBB40_1608
; %bb.1606:
	s_clause 0x1
	s_load_b96 s[12:14], s[0:1], 0x1c
	s_load_b96 s[16:18], s[0:1], 0xdc
	s_wait_kmcnt 0x0
	v_mul_hi_u32 v7, s13, v5
	s_delay_alu instid0(VALU_DEP_1) | instskip(NEXT) | instid1(VALU_DEP_1)
	v_add_nc_u32_e32 v7, v5, v7
	v_lshrrev_b32_e32 v7, s14, v7
	s_delay_alu instid0(VALU_DEP_1) | instskip(NEXT) | instid1(VALU_DEP_1)
	v_mul_lo_u32 v7, v7, s12
	v_sub_nc_u32_e32 v5, v5, v7
	s_delay_alu instid0(VALU_DEP_1)
	v_mad_u32 v4, v5, s16, v4
	v_mad_u32 v18, v5, s17, v18
	;; [unrolled: 1-line block ×3, first 2 shown]
	s_and_not1_b32 vcc_lo, exec_lo, s4
	s_cbranch_vccz .LBB40_1609
	s_branch .LBB40_1612
.LBB40_1607:
	s_mov_b32 s4, -1
                                        ; implicit-def: $vgpr16
                                        ; implicit-def: $vgpr18
                                        ; implicit-def: $vgpr4
.LBB40_1608:
	s_delay_alu instid0(SALU_CYCLE_1)
	s_and_not1_b32 vcc_lo, exec_lo, s4
	s_cbranch_vccnz .LBB40_1612
.LBB40_1609:
	s_clause 0x1
	s_load_b96 s[4:6], s[2:3], 0x4
	s_load_b96 s[12:14], s[2:3], 0xc4
	s_cmp_lt_u32 s26, 2
	s_wait_kmcnt 0x0
	v_mul_hi_u32 v4, s5, v2
	s_delay_alu instid0(VALU_DEP_1) | instskip(SKIP_1) | instid1(VALU_DEP_1)
	v_add_nc_u32_e32 v4, v2, v4
	s_wait_loadcnt 0x0
	v_lshrrev_b32_e32 v5, s6, v4
	s_delay_alu instid0(VALU_DEP_1) | instskip(NEXT) | instid1(VALU_DEP_1)
	v_mul_lo_u32 v4, v5, s4
	v_sub_nc_u32_e32 v2, v2, v4
	s_delay_alu instid0(VALU_DEP_1)
	v_mul_lo_u32 v4, v2, s12
	v_mul_lo_u32 v16, v2, s14
	;; [unrolled: 1-line block ×3, first 2 shown]
	s_cbranch_scc1 .LBB40_1612
; %bb.1610:
	s_clause 0x1
	s_load_b96 s[4:6], s[2:3], 0x10
	s_load_b96 s[12:14], s[2:3], 0xd0
	s_wait_kmcnt 0x0
	v_mul_hi_u32 v2, s5, v5
	s_delay_alu instid0(VALU_DEP_1) | instskip(NEXT) | instid1(VALU_DEP_1)
	v_add_nc_u32_e32 v2, v5, v2
	v_lshrrev_b32_e32 v2, s6, v2
	s_delay_alu instid0(VALU_DEP_1) | instskip(NEXT) | instid1(VALU_DEP_1)
	v_mul_lo_u32 v2, v2, s4
	v_sub_nc_u32_e32 v2, v5, v2
	s_delay_alu instid0(VALU_DEP_1)
	v_mad_u32 v4, v2, s12, v4
	v_mad_u32 v18, v2, s13, v18
	;; [unrolled: 1-line block ×3, first 2 shown]
	s_branch .LBB40_1612
.LBB40_1611:
	v_dual_mov_b32 v16, 0 :: v_dual_mov_b32 v18, 0
	v_mov_b32_e32 v4, 0
	s_and_not1_b32 vcc_lo, exec_lo, s4
	s_cbranch_vccz .LBB40_1609
.LBB40_1612:
	v_cmp_ne_u32_e32 vcc_lo, 1, v3
	v_add_nc_u32_e32 v0, 0x100, v0
	s_cbranch_vccnz .LBB40_1618
; %bb.1613:
	s_cmp_lg_u32 s26, 0
	s_mov_b32 s4, 0
	s_cbranch_scc0 .LBB40_1622
; %bb.1614:
	s_min_u32 s5, s27, 15
	s_wait_loadcnt 0x0
	v_dual_mov_b32 v2, 0 :: v_dual_mov_b32 v5, v0
	v_dual_mov_b32 v14, 0 :: v_dual_mov_b32 v12, 0
	s_add_co_i32 s6, s5, 1
	s_mov_b64 s[0:1], 0xffffffffffffffe8
	s_and_b32 s6, s6, 30
	s_add_nc_u64 s[0:1], s[2:3], s[0:1]
.LBB40_1615:                            ; =>This Inner Loop Header: Depth=1
	s_clause 0x1
	s_load_b128 s[12:15], s[0:1], 0x1c
	s_load_b64 s[10:11], s[0:1], 0x2c
	s_add_co_i32 s6, s6, -2
	s_delay_alu instid0(SALU_CYCLE_1) | instskip(SKIP_2) | instid1(VALU_DEP_1)
	s_cmp_lg_u32 s6, 0
	s_wait_kmcnt 0x0
	v_mul_hi_u32 v7, s13, v5
	v_add_nc_u32_e32 v7, v5, v7
	s_delay_alu instid0(VALU_DEP_1) | instskip(NEXT) | instid1(VALU_DEP_1)
	v_lshrrev_b32_e32 v7, s14, v7
	v_mul_hi_u32 v8, s10, v7
	v_mul_lo_u32 v9, v7, s12
	s_clause 0x1
	s_load_b128 s[16:19], s[0:1], 0xdc
	s_load_b64 s[12:13], s[0:1], 0xec
	s_wait_xcnt 0x0
	s_add_nc_u64 s[0:1], s[0:1], 24
	s_delay_alu instid0(VALU_DEP_1) | instskip(NEXT) | instid1(VALU_DEP_1)
	v_dual_add_nc_u32 v8, v7, v8 :: v_dual_sub_nc_u32 v9, v5, v9
	v_lshrrev_b32_e32 v5, s11, v8
	s_wait_kmcnt 0x0
	s_delay_alu instid0(VALU_DEP_2) | instskip(NEXT) | instid1(VALU_DEP_2)
	v_mad_u32 v2, v9, s16, v2
	v_mul_lo_u32 v8, v5, s15
	v_mad_u32 v10, v9, s18, v12
	v_mad_u32 v9, v9, s17, v14
	s_delay_alu instid0(VALU_DEP_3) | instskip(NEXT) | instid1(VALU_DEP_1)
	v_sub_nc_u32_e32 v7, v7, v8
	v_mad_u32 v2, v7, s19, v2
	s_delay_alu instid0(VALU_DEP_4) | instskip(NEXT) | instid1(VALU_DEP_4)
	v_mad_u32 v12, v7, s13, v10
	v_mad_u32 v14, v7, s12, v9
	s_cbranch_scc1 .LBB40_1615
; %bb.1616:
	s_bitcmp1_b32 s5, 0
	s_cselect_b32 s5, -1, 0
	s_delay_alu instid0(SALU_CYCLE_1)
	s_and_b32 vcc_lo, exec_lo, s5
	s_cbranch_vccnz .LBB40_1619
; %bb.1617:
	s_clause 0x1
	s_load_b96 s[12:14], s[0:1], 0x1c
	s_load_b96 s[16:18], s[0:1], 0xdc
	s_wait_kmcnt 0x0
	v_mul_hi_u32 v7, s13, v5
	s_delay_alu instid0(VALU_DEP_1) | instskip(NEXT) | instid1(VALU_DEP_1)
	v_add_nc_u32_e32 v7, v5, v7
	v_lshrrev_b32_e32 v7, s14, v7
	s_delay_alu instid0(VALU_DEP_1) | instskip(NEXT) | instid1(VALU_DEP_1)
	v_mul_lo_u32 v7, v7, s12
	v_sub_nc_u32_e32 v5, v5, v7
	s_delay_alu instid0(VALU_DEP_1)
	v_mad_u32 v2, v5, s16, v2
	v_mad_u32 v14, v5, s17, v14
	;; [unrolled: 1-line block ×3, first 2 shown]
	s_and_not1_b32 vcc_lo, exec_lo, s4
	s_cbranch_vccz .LBB40_1620
	s_branch .LBB40_1623
.LBB40_1618:
	s_mov_b32 s4, -1
                                        ; implicit-def: $vgpr12
                                        ; implicit-def: $vgpr14
                                        ; implicit-def: $vgpr2
.LBB40_1619:
	s_delay_alu instid0(SALU_CYCLE_1)
	s_and_not1_b32 vcc_lo, exec_lo, s4
	s_cbranch_vccnz .LBB40_1623
.LBB40_1620:
	s_clause 0x1
	s_load_b96 s[4:6], s[2:3], 0x4
	s_load_b96 s[12:14], s[2:3], 0xc4
	s_cmp_lt_u32 s26, 2
	s_wait_kmcnt 0x0
	v_mul_hi_u32 v2, s5, v0
	s_delay_alu instid0(VALU_DEP_1) | instskip(SKIP_1) | instid1(VALU_DEP_1)
	v_add_nc_u32_e32 v2, v0, v2
	s_wait_loadcnt 0x0
	v_lshrrev_b32_e32 v5, s6, v2
	s_delay_alu instid0(VALU_DEP_1) | instskip(NEXT) | instid1(VALU_DEP_1)
	v_mul_lo_u32 v2, v5, s4
	v_sub_nc_u32_e32 v0, v0, v2
	s_delay_alu instid0(VALU_DEP_1)
	v_mul_lo_u32 v2, v0, s12
	v_mul_lo_u32 v12, v0, s14
	;; [unrolled: 1-line block ×3, first 2 shown]
	s_cbranch_scc1 .LBB40_1623
; %bb.1621:
	s_clause 0x1
	s_load_b96 s[4:6], s[2:3], 0x10
	s_load_b96 s[12:14], s[2:3], 0xd0
	s_wait_kmcnt 0x0
	v_mul_hi_u32 v0, s5, v5
	s_delay_alu instid0(VALU_DEP_1) | instskip(NEXT) | instid1(VALU_DEP_1)
	v_add_nc_u32_e32 v0, v5, v0
	v_lshrrev_b32_e32 v0, s6, v0
	s_delay_alu instid0(VALU_DEP_1) | instskip(NEXT) | instid1(VALU_DEP_1)
	v_mul_lo_u32 v0, v0, s4
	v_sub_nc_u32_e32 v0, v5, v0
	s_delay_alu instid0(VALU_DEP_1)
	v_mad_u32 v2, v0, s12, v2
	v_mad_u32 v14, v0, s13, v14
	;; [unrolled: 1-line block ×3, first 2 shown]
	s_branch .LBB40_1623
.LBB40_1622:
	v_dual_mov_b32 v12, 0 :: v_dual_mov_b32 v14, 0
	v_mov_b32_e32 v2, 0
	s_and_not1_b32 vcc_lo, exec_lo, s4
	s_cbranch_vccz .LBB40_1620
.LBB40_1623:
	v_cmp_ne_u32_e32 vcc_lo, 1, v3
	s_cbranch_vccnz .LBB40_1629
; %bb.1624:
	s_cmp_lg_u32 s26, 0
	s_mov_b32 s4, 0
	s_cbranch_scc0 .LBB40_1633
; %bb.1625:
	s_min_u32 s5, s27, 15
	s_wait_loadcnt 0x0
	v_dual_mov_b32 v0, 0 :: v_dual_mov_b32 v3, v1
	v_dual_mov_b32 v10, 0 :: v_dual_mov_b32 v8, 0
	s_add_co_i32 s6, s5, 1
	s_mov_b64 s[0:1], 0xffffffffffffffe8
	s_and_b32 s6, s6, 30
	s_add_nc_u64 s[0:1], s[2:3], s[0:1]
.LBB40_1626:                            ; =>This Inner Loop Header: Depth=1
	s_clause 0x1
	s_load_b128 s[12:15], s[0:1], 0x1c
	s_load_b64 s[10:11], s[0:1], 0x2c
	s_add_co_i32 s6, s6, -2
	s_delay_alu instid0(SALU_CYCLE_1) | instskip(SKIP_2) | instid1(VALU_DEP_1)
	s_cmp_lg_u32 s6, 0
	s_wait_kmcnt 0x0
	v_mul_hi_u32 v5, s13, v3
	v_add_nc_u32_e32 v5, v3, v5
	s_delay_alu instid0(VALU_DEP_1) | instskip(NEXT) | instid1(VALU_DEP_1)
	v_lshrrev_b32_e32 v5, s14, v5
	v_mul_hi_u32 v7, s10, v5
	v_mul_lo_u32 v9, v5, s12
	s_clause 0x1
	s_load_b128 s[16:19], s[0:1], 0xdc
	s_load_b64 s[12:13], s[0:1], 0xec
	s_wait_xcnt 0x0
	s_add_nc_u64 s[0:1], s[0:1], 24
	s_delay_alu instid0(VALU_DEP_1) | instskip(NEXT) | instid1(VALU_DEP_1)
	v_dual_add_nc_u32 v7, v5, v7 :: v_dual_sub_nc_u32 v9, v3, v9
	v_lshrrev_b32_e32 v3, s11, v7
	s_wait_kmcnt 0x0
	s_delay_alu instid0(VALU_DEP_2) | instskip(NEXT) | instid1(VALU_DEP_2)
	v_mad_u32 v0, v9, s16, v0
	v_mul_lo_u32 v7, v3, s15
	v_mad_u32 v8, v9, s18, v8
	v_mad_u32 v9, v9, s17, v10
	s_delay_alu instid0(VALU_DEP_3) | instskip(NEXT) | instid1(VALU_DEP_1)
	v_sub_nc_u32_e32 v5, v5, v7
	v_mad_u32 v0, v5, s19, v0
	s_delay_alu instid0(VALU_DEP_4) | instskip(NEXT) | instid1(VALU_DEP_4)
	v_mad_u32 v8, v5, s13, v8
	v_mad_u32 v10, v5, s12, v9
	s_cbranch_scc1 .LBB40_1626
; %bb.1627:
	s_bitcmp1_b32 s5, 0
	s_cselect_b32 s5, -1, 0
	s_delay_alu instid0(SALU_CYCLE_1)
	s_and_b32 vcc_lo, exec_lo, s5
	s_cbranch_vccnz .LBB40_1630
; %bb.1628:
	s_clause 0x1
	s_load_b96 s[12:14], s[0:1], 0x1c
	s_load_b96 s[16:18], s[0:1], 0xdc
	s_wait_kmcnt 0x0
	v_mul_hi_u32 v5, s13, v3
	s_delay_alu instid0(VALU_DEP_1) | instskip(NEXT) | instid1(VALU_DEP_1)
	v_add_nc_u32_e32 v5, v3, v5
	v_lshrrev_b32_e32 v5, s14, v5
	s_delay_alu instid0(VALU_DEP_1) | instskip(NEXT) | instid1(VALU_DEP_1)
	v_mul_lo_u32 v5, v5, s12
	v_sub_nc_u32_e32 v3, v3, v5
	s_delay_alu instid0(VALU_DEP_1)
	v_mad_u32 v0, v3, s16, v0
	v_mad_u32 v10, v3, s17, v10
	;; [unrolled: 1-line block ×3, first 2 shown]
	s_and_not1_b32 vcc_lo, exec_lo, s4
	s_cbranch_vccz .LBB40_1631
	s_branch .LBB40_1634
.LBB40_1629:
	s_mov_b32 s4, -1
                                        ; implicit-def: $vgpr8
                                        ; implicit-def: $vgpr10
                                        ; implicit-def: $vgpr0
.LBB40_1630:
	s_delay_alu instid0(SALU_CYCLE_1)
	s_and_not1_b32 vcc_lo, exec_lo, s4
	s_cbranch_vccnz .LBB40_1634
.LBB40_1631:
	s_clause 0x1
	s_load_b96 s[4:6], s[2:3], 0x4
	s_load_b96 s[12:14], s[2:3], 0xc4
	s_cmp_lt_u32 s26, 2
	s_wait_loadcnt 0x0
	s_wait_kmcnt 0x0
	v_mul_hi_u32 v0, s5, v1
	s_delay_alu instid0(VALU_DEP_1) | instskip(NEXT) | instid1(VALU_DEP_1)
	v_add_nc_u32_e32 v0, v1, v0
	v_lshrrev_b32_e32 v3, s6, v0
	s_delay_alu instid0(VALU_DEP_1) | instskip(NEXT) | instid1(VALU_DEP_1)
	v_mul_lo_u32 v0, v3, s4
	v_sub_nc_u32_e32 v1, v1, v0
	s_delay_alu instid0(VALU_DEP_1)
	v_mul_lo_u32 v0, v1, s12
	v_mul_lo_u32 v8, v1, s14
	;; [unrolled: 1-line block ×3, first 2 shown]
	s_cbranch_scc1 .LBB40_1634
; %bb.1632:
	s_clause 0x1
	s_load_b96 s[4:6], s[2:3], 0x10
	s_load_b96 s[12:14], s[2:3], 0xd0
	s_wait_kmcnt 0x0
	v_mul_hi_u32 v1, s5, v3
	s_delay_alu instid0(VALU_DEP_1) | instskip(NEXT) | instid1(VALU_DEP_1)
	v_add_nc_u32_e32 v1, v3, v1
	v_lshrrev_b32_e32 v1, s6, v1
	s_delay_alu instid0(VALU_DEP_1) | instskip(NEXT) | instid1(VALU_DEP_1)
	v_mul_lo_u32 v1, v1, s4
	v_sub_nc_u32_e32 v1, v3, v1
	s_delay_alu instid0(VALU_DEP_1)
	v_mad_u32 v0, v1, s12, v0
	v_mad_u32 v10, v1, s13, v10
	;; [unrolled: 1-line block ×3, first 2 shown]
	s_branch .LBB40_1634
.LBB40_1633:
	s_wait_loadcnt 0x0
	v_dual_mov_b32 v8, 0 :: v_dual_mov_b32 v10, 0
	v_mov_b32_e32 v0, 0
	s_and_not1_b32 vcc_lo, exec_lo, s4
	s_cbranch_vccz .LBB40_1631
.LBB40_1634:
	v_mov_b32_e32 v23, 0
	s_load_b128 s[4:7], s[2:3], 0x188
	s_wait_loadcnt 0x0
	global_load_u8 v1, v23, s[2:3] offset:418
	s_wait_kmcnt 0x0
	v_add_nc_u64_e32 v[22:23], s[6:7], v[22:23]
	s_wait_loadcnt 0x0
	v_and_b32_e32 v3, 0xffff, v1
	v_readfirstlane_b32 s11, v1
	s_delay_alu instid0(VALU_DEP_2)
	v_cmp_gt_i32_e32 vcc_lo, 11, v3
	s_cbranch_vccnz .LBB40_1641
; %bb.1635:
	s_and_b32 s0, 0xffff, s11
	s_mov_b32 s12, 0
	s_cmp_gt_i32 s0, 25
	s_cbranch_scc0 .LBB40_1643
; %bb.1636:
	s_cmp_gt_i32 s0, 28
	s_cbranch_scc0 .LBB40_1644
; %bb.1637:
	;; [unrolled: 3-line block ×4, first 2 shown]
	s_cmp_eq_u32 s0, 46
	s_mov_b32 s10, 0
	s_cbranch_scc0 .LBB40_1649
; %bb.1640:
	global_load_b32 v1, v[22:23], off
	s_mov_b32 s1, 0
	s_mov_b32 s13, -1
	s_wait_loadcnt 0x0
	v_lshlrev_b32_e32 v1, 16, v1
	s_branch .LBB40_1651
.LBB40_1641:
	s_mov_b32 s13, 0
	s_mov_b32 s10, s8
                                        ; implicit-def: $vgpr1
	s_cbranch_execnz .LBB40_1714
.LBB40_1642:
	s_and_not1_b32 vcc_lo, exec_lo, s13
	s_cbranch_vccz .LBB40_1759
	s_branch .LBB40_3106
.LBB40_1643:
	s_mov_b32 s13, 0
	s_mov_b32 s1, 0
                                        ; implicit-def: $vgpr1
	s_cbranch_execnz .LBB40_1679
	s_branch .LBB40_1710
.LBB40_1644:
	s_mov_b32 s10, -1
	s_mov_b32 s13, 0
	s_mov_b32 s1, 0
                                        ; implicit-def: $vgpr1
	s_branch .LBB40_1660
.LBB40_1645:
	s_mov_b32 s13, 0
	s_mov_b32 s1, 0
                                        ; implicit-def: $vgpr1
	s_cbranch_execnz .LBB40_1656
	s_branch .LBB40_1659
.LBB40_1646:
	s_mov_b32 s10, -1
	s_mov_b32 s13, 0
	s_mov_b32 s1, 0
	s_branch .LBB40_1650
.LBB40_1647:
	s_and_not1_saveexec_b32 s9, s9
	s_cbranch_execz .LBB40_1499
.LBB40_1648:
	v_add_f32_e64 v2, 0x46000000, |v4|
	s_and_not1_b32 s8, s8, exec_lo
	s_delay_alu instid0(VALU_DEP_1) | instskip(NEXT) | instid1(VALU_DEP_1)
	v_and_b32_e32 v2, 0xff, v2
	v_cmp_ne_u32_e32 vcc_lo, 0, v2
	s_and_b32 s10, vcc_lo, exec_lo
	s_delay_alu instid0(SALU_CYCLE_1)
	s_or_b32 s8, s8, s10
	s_or_b32 exec_lo, exec_lo, s9
	v_mov_b32_e32 v3, 0
	s_and_saveexec_b32 s9, s8
	s_cbranch_execnz .LBB40_1500
	s_branch .LBB40_1501
.LBB40_1649:
	s_mov_b32 s1, -1
	s_mov_b32 s13, 0
.LBB40_1650:
                                        ; implicit-def: $vgpr1
.LBB40_1651:
	s_and_b32 vcc_lo, exec_lo, s10
	s_cbranch_vccz .LBB40_1654
; %bb.1652:
	s_cmp_eq_u32 s0, 44
	s_cbranch_scc0 .LBB40_1655
; %bb.1653:
	global_load_u8 v1, v[22:23], off
	s_mov_b32 s1, 0
	s_mov_b32 s13, -1
	s_wait_loadcnt 0x0
	v_lshlrev_b32_e32 v3, 23, v1
	v_cmp_ne_u32_e32 vcc_lo, 0xff, v1
	s_delay_alu instid0(VALU_DEP_2) | instskip(SKIP_1) | instid1(VALU_DEP_2)
	v_cndmask_b32_e32 v3, 0x7f800001, v3, vcc_lo
	v_cmp_ne_u32_e32 vcc_lo, 0, v1
	v_cndmask_b32_e32 v1, 0x400000, v3, vcc_lo
.LBB40_1654:
	s_branch .LBB40_1659
.LBB40_1655:
	s_mov_b32 s1, -1
                                        ; implicit-def: $vgpr1
	s_branch .LBB40_1659
.LBB40_1656:
	s_cmp_eq_u32 s0, 29
	s_cbranch_scc0 .LBB40_1658
; %bb.1657:
	global_load_b64 v[24:25], v[22:23], off
	s_mov_b32 s1, 0
	s_mov_b32 s13, -1
	s_mov_b32 s10, 0
	s_wait_loadcnt 0x0
	v_clz_i32_u32_e32 v1, v25
	s_delay_alu instid0(VALU_DEP_1) | instskip(NEXT) | instid1(VALU_DEP_1)
	v_min_u32_e32 v1, 32, v1
	v_lshlrev_b64_e32 v[24:25], v1, v[24:25]
	v_sub_nc_u32_e32 v1, 32, v1
	s_delay_alu instid0(VALU_DEP_2) | instskip(NEXT) | instid1(VALU_DEP_1)
	v_min_u32_e32 v3, 1, v24
	v_or_b32_e32 v3, v25, v3
	s_delay_alu instid0(VALU_DEP_1) | instskip(NEXT) | instid1(VALU_DEP_1)
	v_cvt_f32_u32_e32 v3, v3
	v_ldexp_f32 v1, v3, v1
	s_branch .LBB40_1660
.LBB40_1658:
	s_mov_b32 s1, -1
                                        ; implicit-def: $vgpr1
.LBB40_1659:
	s_mov_b32 s10, 0
.LBB40_1660:
	s_delay_alu instid0(SALU_CYCLE_1)
	s_and_b32 vcc_lo, exec_lo, s10
	s_cbranch_vccz .LBB40_1678
; %bb.1661:
	s_cmp_lt_i32 s0, 27
	s_cbranch_scc1 .LBB40_1664
; %bb.1662:
	s_cmp_gt_i32 s0, 27
	s_cbranch_scc0 .LBB40_1665
; %bb.1663:
	global_load_b32 v1, v[22:23], off
	s_mov_b32 s10, 0
	s_wait_loadcnt 0x0
	v_cvt_f32_u32_e32 v1, v1
	s_branch .LBB40_1666
.LBB40_1664:
	s_mov_b32 s10, -1
                                        ; implicit-def: $vgpr1
	s_branch .LBB40_1669
.LBB40_1665:
	s_mov_b32 s10, -1
                                        ; implicit-def: $vgpr1
.LBB40_1666:
	s_delay_alu instid0(SALU_CYCLE_1)
	s_and_not1_b32 vcc_lo, exec_lo, s10
	s_cbranch_vccnz .LBB40_1668
; %bb.1667:
	global_load_u16 v1, v[22:23], off
	s_wait_loadcnt 0x0
	v_cvt_f32_u32_e32 v1, v1
.LBB40_1668:
	s_mov_b32 s10, 0
.LBB40_1669:
	s_delay_alu instid0(SALU_CYCLE_1)
	s_and_not1_b32 vcc_lo, exec_lo, s10
	s_cbranch_vccnz .LBB40_1677
; %bb.1670:
	global_load_u8 v3, v[22:23], off
	s_mov_b32 s10, 0
	s_mov_b32 s13, exec_lo
	s_wait_loadcnt 0x0
	v_cmpx_lt_i16_e32 0x7f, v3
	s_xor_b32 s13, exec_lo, s13
	s_cbranch_execz .LBB40_1690
; %bb.1671:
	s_mov_b32 s10, -1
	s_mov_b32 s14, exec_lo
	v_cmpx_eq_u16_e32 0x80, v3
; %bb.1672:
	s_xor_b32 s10, exec_lo, -1
; %bb.1673:
	s_or_b32 exec_lo, exec_lo, s14
	s_delay_alu instid0(SALU_CYCLE_1)
	s_and_b32 s10, s10, exec_lo
	s_or_saveexec_b32 s13, s13
	v_mov_b32_e32 v1, 0x7f800001
	s_xor_b32 exec_lo, exec_lo, s13
	s_cbranch_execnz .LBB40_1691
.LBB40_1674:
	s_or_b32 exec_lo, exec_lo, s13
	s_and_saveexec_b32 s13, s10
	s_cbranch_execz .LBB40_1676
.LBB40_1675:
	v_and_b32_e32 v1, 0xffff, v3
	s_delay_alu instid0(VALU_DEP_1) | instskip(SKIP_1) | instid1(VALU_DEP_2)
	v_and_b32_e32 v5, 7, v1
	v_bfe_u32 v11, v1, 3, 4
	v_clz_i32_u32_e32 v7, v5
	s_delay_alu instid0(VALU_DEP_2) | instskip(NEXT) | instid1(VALU_DEP_2)
	v_cmp_eq_u32_e32 vcc_lo, 0, v11
	v_min_u32_e32 v7, 32, v7
	s_delay_alu instid0(VALU_DEP_1) | instskip(NEXT) | instid1(VALU_DEP_1)
	v_subrev_nc_u32_e32 v9, 28, v7
	v_dual_lshlrev_b32 v1, v9, v1 :: v_dual_sub_nc_u32 v7, 29, v7
	s_delay_alu instid0(VALU_DEP_1) | instskip(NEXT) | instid1(VALU_DEP_1)
	v_dual_lshlrev_b32 v3, 24, v3 :: v_dual_bitop2_b32 v1, 7, v1 bitop3:0x40
	v_dual_cndmask_b32 v1, v5, v1, vcc_lo :: v_dual_cndmask_b32 v7, v11, v7, vcc_lo
	s_delay_alu instid0(VALU_DEP_2) | instskip(NEXT) | instid1(VALU_DEP_2)
	v_and_b32_e32 v3, 0x80000000, v3
	v_lshlrev_b32_e32 v1, 20, v1
	s_delay_alu instid0(VALU_DEP_3) | instskip(NEXT) | instid1(VALU_DEP_1)
	v_lshl_add_u32 v5, v7, 23, 0x3b800000
	v_or3_b32 v1, v3, v5, v1
.LBB40_1676:
	s_or_b32 exec_lo, exec_lo, s13
.LBB40_1677:
	s_mov_b32 s13, -1
.LBB40_1678:
	s_branch .LBB40_1710
.LBB40_1679:
	s_cmp_gt_i32 s0, 22
	s_cbranch_scc0 .LBB40_1689
; %bb.1680:
	s_cmp_lt_i32 s0, 24
	s_cbranch_scc1 .LBB40_1692
; %bb.1681:
	s_cmp_gt_i32 s0, 24
	s_cbranch_scc0 .LBB40_1693
; %bb.1682:
	global_load_u8 v3, v[22:23], off
	s_mov_b32 s10, 0
	s_mov_b32 s12, exec_lo
	s_wait_loadcnt 0x0
	v_cmpx_lt_i16_e32 0x7f, v3
	s_xor_b32 s12, exec_lo, s12
	s_cbranch_execz .LBB40_1704
; %bb.1683:
	s_mov_b32 s10, -1
	s_mov_b32 s13, exec_lo
	v_cmpx_eq_u16_e32 0x80, v3
; %bb.1684:
	s_xor_b32 s10, exec_lo, -1
; %bb.1685:
	s_or_b32 exec_lo, exec_lo, s13
	s_delay_alu instid0(SALU_CYCLE_1)
	s_and_b32 s10, s10, exec_lo
	s_or_saveexec_b32 s12, s12
	v_mov_b32_e32 v1, 0x7f800001
	s_xor_b32 exec_lo, exec_lo, s12
	s_cbranch_execnz .LBB40_1705
.LBB40_1686:
	s_or_b32 exec_lo, exec_lo, s12
	s_and_saveexec_b32 s12, s10
	s_cbranch_execz .LBB40_1688
.LBB40_1687:
	v_and_b32_e32 v1, 0xffff, v3
	s_delay_alu instid0(VALU_DEP_1) | instskip(SKIP_1) | instid1(VALU_DEP_2)
	v_and_b32_e32 v5, 3, v1
	v_bfe_u32 v11, v1, 2, 5
	v_clz_i32_u32_e32 v7, v5
	s_delay_alu instid0(VALU_DEP_2) | instskip(NEXT) | instid1(VALU_DEP_2)
	v_cmp_eq_u32_e32 vcc_lo, 0, v11
	v_min_u32_e32 v7, 32, v7
	s_delay_alu instid0(VALU_DEP_1) | instskip(NEXT) | instid1(VALU_DEP_1)
	v_subrev_nc_u32_e32 v9, 29, v7
	v_dual_lshlrev_b32 v1, v9, v1 :: v_dual_sub_nc_u32 v7, 30, v7
	s_delay_alu instid0(VALU_DEP_1) | instskip(NEXT) | instid1(VALU_DEP_1)
	v_dual_lshlrev_b32 v3, 24, v3 :: v_dual_bitop2_b32 v1, 3, v1 bitop3:0x40
	v_dual_cndmask_b32 v1, v5, v1, vcc_lo :: v_dual_cndmask_b32 v7, v11, v7, vcc_lo
	s_delay_alu instid0(VALU_DEP_2) | instskip(NEXT) | instid1(VALU_DEP_2)
	v_and_b32_e32 v3, 0x80000000, v3
	v_lshlrev_b32_e32 v1, 21, v1
	s_delay_alu instid0(VALU_DEP_3) | instskip(NEXT) | instid1(VALU_DEP_1)
	v_lshl_add_u32 v5, v7, 23, 0x37800000
	v_or3_b32 v1, v3, v5, v1
.LBB40_1688:
	s_or_b32 exec_lo, exec_lo, s12
	s_mov_b32 s10, 0
	s_branch .LBB40_1694
.LBB40_1689:
                                        ; implicit-def: $vgpr1
	s_mov_b32 s12, 0
	s_branch .LBB40_1700
.LBB40_1690:
	s_or_saveexec_b32 s13, s13
	v_mov_b32_e32 v1, 0x7f800001
	s_xor_b32 exec_lo, exec_lo, s13
	s_cbranch_execz .LBB40_1674
.LBB40_1691:
	v_cmp_ne_u16_e32 vcc_lo, 0, v3
	v_mov_b32_e32 v1, 0
	s_and_not1_b32 s10, s10, exec_lo
	s_and_b32 s14, vcc_lo, exec_lo
	s_delay_alu instid0(SALU_CYCLE_1)
	s_or_b32 s10, s10, s14
	s_or_b32 exec_lo, exec_lo, s13
	s_and_saveexec_b32 s13, s10
	s_cbranch_execnz .LBB40_1675
	s_branch .LBB40_1676
.LBB40_1692:
	s_mov_b32 s10, -1
                                        ; implicit-def: $vgpr1
	s_branch .LBB40_1697
.LBB40_1693:
	s_mov_b32 s10, -1
                                        ; implicit-def: $vgpr1
.LBB40_1694:
	s_delay_alu instid0(SALU_CYCLE_1)
	s_and_b32 vcc_lo, exec_lo, s10
	s_cbranch_vccz .LBB40_1696
; %bb.1695:
	global_load_u8 v1, v[22:23], off
	s_wait_loadcnt 0x0
	v_lshlrev_b32_e32 v1, 24, v1
	s_delay_alu instid0(VALU_DEP_1) | instskip(NEXT) | instid1(VALU_DEP_1)
	v_and_b32_e32 v3, 0x7f000000, v1
	v_clz_i32_u32_e32 v5, v3
	v_add_nc_u32_e32 v9, 0x1000000, v3
	v_cmp_ne_u32_e32 vcc_lo, 0, v3
	s_delay_alu instid0(VALU_DEP_3) | instskip(NEXT) | instid1(VALU_DEP_1)
	v_min_u32_e32 v5, 32, v5
	v_sub_nc_u32_e64 v5, v5, 4 clamp
	s_delay_alu instid0(VALU_DEP_1) | instskip(NEXT) | instid1(VALU_DEP_1)
	v_dual_lshlrev_b32 v7, v5, v3 :: v_dual_lshlrev_b32 v5, 23, v5
	v_lshrrev_b32_e32 v7, 4, v7
	s_delay_alu instid0(VALU_DEP_1) | instskip(SKIP_1) | instid1(VALU_DEP_2)
	v_sub_nc_u32_e32 v5, v7, v5
	v_ashrrev_i32_e32 v7, 8, v9
	v_add_nc_u32_e32 v5, 0x3c000000, v5
	s_delay_alu instid0(VALU_DEP_1) | instskip(NEXT) | instid1(VALU_DEP_1)
	v_and_or_b32 v5, 0x7f800000, v7, v5
	v_cndmask_b32_e32 v3, 0, v5, vcc_lo
	s_delay_alu instid0(VALU_DEP_1)
	v_and_or_b32 v1, 0x80000000, v1, v3
.LBB40_1696:
	s_mov_b32 s10, 0
.LBB40_1697:
	s_delay_alu instid0(SALU_CYCLE_1)
	s_and_not1_b32 vcc_lo, exec_lo, s10
	s_cbranch_vccnz .LBB40_1699
; %bb.1698:
	global_load_u8 v1, v[22:23], off
	s_wait_loadcnt 0x0
	v_lshlrev_b32_e32 v3, 25, v1
	v_lshlrev_b16 v1, 8, v1
	s_delay_alu instid0(VALU_DEP_1) | instskip(SKIP_1) | instid1(VALU_DEP_2)
	v_and_or_b32 v7, 0x7f00, v1, 0.5
	v_bfe_i32 v1, v1, 0, 16
	v_add_f32_e32 v7, -0.5, v7
	v_lshrrev_b32_e32 v5, 4, v3
	v_cmp_gt_u32_e32 vcc_lo, 0x8000000, v3
	s_delay_alu instid0(VALU_DEP_2) | instskip(NEXT) | instid1(VALU_DEP_1)
	v_or_b32_e32 v5, 0x70000000, v5
	v_mul_f32_e32 v5, 0x7800000, v5
	s_delay_alu instid0(VALU_DEP_1) | instskip(NEXT) | instid1(VALU_DEP_1)
	v_cndmask_b32_e32 v3, v5, v7, vcc_lo
	v_and_or_b32 v1, 0x80000000, v1, v3
.LBB40_1699:
	s_mov_b32 s13, -1
	s_mov_b32 s12, 0
	s_cbranch_execnz .LBB40_1710
.LBB40_1700:
	s_cmp_gt_i32 s0, 14
	s_cbranch_scc0 .LBB40_1703
; %bb.1701:
	s_cmp_eq_u32 s0, 15
	s_cbranch_scc0 .LBB40_1706
; %bb.1702:
	global_load_u16 v1, v[22:23], off
	s_mov_b32 s1, 0
	s_mov_b32 s13, -1
	s_wait_loadcnt 0x0
	v_lshlrev_b32_e32 v1, 16, v1
	s_branch .LBB40_1707
.LBB40_1703:
	s_mov_b32 s10, -1
                                        ; implicit-def: $vgpr1
	s_branch .LBB40_1708
.LBB40_1704:
	s_or_saveexec_b32 s12, s12
	v_mov_b32_e32 v1, 0x7f800001
	s_xor_b32 exec_lo, exec_lo, s12
	s_cbranch_execz .LBB40_1686
.LBB40_1705:
	v_cmp_ne_u16_e32 vcc_lo, 0, v3
	v_mov_b32_e32 v1, 0
	s_and_not1_b32 s10, s10, exec_lo
	s_and_b32 s13, vcc_lo, exec_lo
	s_delay_alu instid0(SALU_CYCLE_1)
	s_or_b32 s10, s10, s13
	s_or_b32 exec_lo, exec_lo, s12
	s_and_saveexec_b32 s12, s10
	s_cbranch_execnz .LBB40_1687
	s_branch .LBB40_1688
.LBB40_1706:
	s_mov_b32 s1, -1
                                        ; implicit-def: $vgpr1
.LBB40_1707:
	s_mov_b32 s10, 0
.LBB40_1708:
	s_delay_alu instid0(SALU_CYCLE_1)
	s_and_b32 vcc_lo, exec_lo, s10
	s_cbranch_vccz .LBB40_1710
; %bb.1709:
	s_cmp_lg_u32 s0, 11
	s_mov_b32 s12, -1
	s_cselect_b32 s1, -1, 0
.LBB40_1710:
	s_delay_alu instid0(SALU_CYCLE_1)
	s_and_b32 vcc_lo, exec_lo, s1
	s_mov_b32 s10, s8
	s_cbranch_vccnz .LBB40_1771
; %bb.1711:
	s_and_not1_b32 vcc_lo, exec_lo, s12
	s_cbranch_vccnz .LBB40_1713
.LBB40_1712:
	global_load_u8 v1, v[22:23], off
	s_mov_b32 s13, -1
	s_wait_loadcnt 0x0
	v_cmp_ne_u16_e32 vcc_lo, 0, v1
	v_cndmask_b32_e64 v1, 0, 1.0, vcc_lo
.LBB40_1713:
	s_branch .LBB40_1642
.LBB40_1714:
	s_and_b32 s0, 0xffff, s11
	s_delay_alu instid0(SALU_CYCLE_1)
	s_cmp_lt_i32 s0, 5
	s_cbranch_scc1 .LBB40_1719
; %bb.1715:
	s_cmp_lt_i32 s0, 8
	s_cbranch_scc1 .LBB40_1720
; %bb.1716:
	;; [unrolled: 3-line block ×3, first 2 shown]
	s_cmp_gt_i32 s0, 9
	s_cbranch_scc0 .LBB40_1722
; %bb.1718:
	global_load_b64 v[24:25], v[22:23], off
	s_mov_b32 s1, 0
	s_wait_loadcnt 0x0
	v_cvt_f32_f64_e32 v1, v[24:25]
	s_branch .LBB40_1723
.LBB40_1719:
                                        ; implicit-def: $vgpr1
	s_branch .LBB40_1740
.LBB40_1720:
                                        ; implicit-def: $vgpr1
	s_branch .LBB40_1729
.LBB40_1721:
	s_mov_b32 s1, -1
                                        ; implicit-def: $vgpr1
	s_branch .LBB40_1726
.LBB40_1722:
	s_mov_b32 s1, -1
                                        ; implicit-def: $vgpr1
.LBB40_1723:
	s_delay_alu instid0(SALU_CYCLE_1)
	s_and_not1_b32 vcc_lo, exec_lo, s1
	s_cbranch_vccnz .LBB40_1725
; %bb.1724:
	global_load_b32 v1, v[22:23], off
.LBB40_1725:
	s_mov_b32 s1, 0
.LBB40_1726:
	s_delay_alu instid0(SALU_CYCLE_1)
	s_and_not1_b32 vcc_lo, exec_lo, s1
	s_cbranch_vccnz .LBB40_1728
; %bb.1727:
	s_wait_loadcnt 0x0
	global_load_b32 v1, v[22:23], off
	s_wait_loadcnt 0x0
	v_cvt_f32_f16_e32 v1, v1
.LBB40_1728:
	s_cbranch_execnz .LBB40_1739
.LBB40_1729:
	s_cmp_lt_i32 s0, 6
	s_cbranch_scc1 .LBB40_1732
; %bb.1730:
	s_cmp_gt_i32 s0, 6
	s_cbranch_scc0 .LBB40_1733
; %bb.1731:
	global_load_b64 v[24:25], v[22:23], off
	s_mov_b32 s1, 0
	s_wait_loadcnt 0x0
	v_cvt_f32_f64_e32 v1, v[24:25]
	s_branch .LBB40_1734
.LBB40_1732:
	s_mov_b32 s1, -1
                                        ; implicit-def: $vgpr1
	s_branch .LBB40_1737
.LBB40_1733:
	s_mov_b32 s1, -1
                                        ; implicit-def: $vgpr1
.LBB40_1734:
	s_delay_alu instid0(SALU_CYCLE_1)
	s_and_not1_b32 vcc_lo, exec_lo, s1
	s_cbranch_vccnz .LBB40_1736
; %bb.1735:
	s_wait_loadcnt 0x0
	global_load_b32 v1, v[22:23], off
.LBB40_1736:
	s_mov_b32 s1, 0
.LBB40_1737:
	s_delay_alu instid0(SALU_CYCLE_1)
	s_and_not1_b32 vcc_lo, exec_lo, s1
	s_cbranch_vccnz .LBB40_1739
; %bb.1738:
	s_wait_loadcnt 0x0
	global_load_u16 v1, v[22:23], off
	s_wait_loadcnt 0x0
	v_cvt_f32_f16_e32 v1, v1
.LBB40_1739:
	s_cbranch_execnz .LBB40_1758
.LBB40_1740:
	s_cmp_lt_i32 s0, 2
	s_cbranch_scc1 .LBB40_1744
; %bb.1741:
	s_cmp_lt_i32 s0, 3
	s_cbranch_scc1 .LBB40_1745
; %bb.1742:
	s_cmp_gt_i32 s0, 3
	s_cbranch_scc0 .LBB40_1746
; %bb.1743:
	global_load_b64 v[24:25], v[22:23], off
	s_mov_b32 s1, 0
	s_wait_loadcnt 0x0
	v_xor_b32_e32 v1, v24, v25
	v_cls_i32_e32 v3, v25
	s_delay_alu instid0(VALU_DEP_2) | instskip(NEXT) | instid1(VALU_DEP_1)
	v_ashrrev_i32_e32 v1, 31, v1
	v_add_nc_u32_e32 v1, 32, v1
	s_delay_alu instid0(VALU_DEP_1) | instskip(NEXT) | instid1(VALU_DEP_1)
	v_add_min_u32_e64 v1, v3, -1, v1
	v_lshlrev_b64_e32 v[24:25], v1, v[24:25]
	v_sub_nc_u32_e32 v1, 32, v1
	s_delay_alu instid0(VALU_DEP_2) | instskip(NEXT) | instid1(VALU_DEP_1)
	v_min_u32_e32 v3, 1, v24
	v_or_b32_e32 v3, v25, v3
	s_delay_alu instid0(VALU_DEP_1) | instskip(NEXT) | instid1(VALU_DEP_1)
	v_cvt_f32_i32_e32 v3, v3
	v_ldexp_f32 v1, v3, v1
	s_branch .LBB40_1747
.LBB40_1744:
                                        ; implicit-def: $vgpr1
	s_branch .LBB40_1753
.LBB40_1745:
	s_mov_b32 s1, -1
                                        ; implicit-def: $vgpr1
	s_branch .LBB40_1750
.LBB40_1746:
	s_mov_b32 s1, -1
                                        ; implicit-def: $vgpr1
.LBB40_1747:
	s_delay_alu instid0(SALU_CYCLE_1)
	s_and_not1_b32 vcc_lo, exec_lo, s1
	s_cbranch_vccnz .LBB40_1749
; %bb.1748:
	s_wait_loadcnt 0x0
	global_load_b32 v1, v[22:23], off
	s_wait_loadcnt 0x0
	v_cvt_f32_i32_e32 v1, v1
.LBB40_1749:
	s_mov_b32 s1, 0
.LBB40_1750:
	s_delay_alu instid0(SALU_CYCLE_1)
	s_and_not1_b32 vcc_lo, exec_lo, s1
	s_cbranch_vccnz .LBB40_1752
; %bb.1751:
	s_wait_loadcnt 0x0
	global_load_i16 v1, v[22:23], off
	s_wait_loadcnt 0x0
	v_cvt_f32_i32_e32 v1, v1
.LBB40_1752:
	s_cbranch_execnz .LBB40_1758
.LBB40_1753:
	s_cmp_gt_i32 s0, 0
	s_mov_b32 s0, 0
	s_cbranch_scc0 .LBB40_1755
; %bb.1754:
	s_wait_loadcnt 0x0
	global_load_i8 v1, v[22:23], off
	s_wait_loadcnt 0x0
	v_cvt_f32_i32_e32 v1, v1
	s_branch .LBB40_1756
.LBB40_1755:
	s_mov_b32 s0, -1
                                        ; implicit-def: $vgpr1
.LBB40_1756:
	s_delay_alu instid0(SALU_CYCLE_1)
	s_and_not1_b32 vcc_lo, exec_lo, s0
	s_cbranch_vccnz .LBB40_1758
; %bb.1757:
	s_wait_loadcnt 0x0
	global_load_u8 v1, v[22:23], off
	s_wait_loadcnt 0x0
	v_cvt_f32_ubyte0_e32 v1, v1
.LBB40_1758:
.LBB40_1759:
	v_mov_b32_e32 v21, 0
	s_load_b64 s[0:1], s[2:3], 0x198
	global_load_u8 v3, v21, s[2:3] offset:419
	s_wait_kmcnt 0x0
	v_add_nc_u64_e32 v[20:21], s[0:1], v[20:21]
	s_wait_loadcnt 0x0
	v_and_b32_e32 v5, 0xffff, v3
	v_readfirstlane_b32 s12, v3
	s_delay_alu instid0(VALU_DEP_2)
	v_cmp_gt_i32_e32 vcc_lo, 11, v5
	s_cbranch_vccnz .LBB40_1766
; %bb.1760:
	s_and_b32 s13, 0xffff, s12
	s_mov_b32 s15, 0
	s_cmp_gt_i32 s13, 25
	s_cbranch_scc0 .LBB40_1768
; %bb.1761:
	s_cmp_gt_i32 s13, 28
	s_cbranch_scc0 .LBB40_1769
; %bb.1762:
	;; [unrolled: 3-line block ×4, first 2 shown]
	s_cmp_eq_u32 s13, 46
	s_mov_b32 s17, 0
	s_cbranch_scc0 .LBB40_1775
; %bb.1765:
	global_load_b32 v3, v[20:21], off
	s_mov_b32 s14, 0
	s_mov_b32 s16, -1
	s_wait_loadcnt 0x0
	v_lshlrev_b32_e32 v5, 16, v3
	s_branch .LBB40_1777
.LBB40_1766:
	s_mov_b32 s16, 0
                                        ; implicit-def: $vgpr5
	s_cbranch_execnz .LBB40_1842
.LBB40_1767:
	s_and_not1_b32 vcc_lo, exec_lo, s16
	s_cbranch_vccz .LBB40_1889
	s_branch .LBB40_3106
.LBB40_1768:
	s_mov_b32 s16, 0
	s_mov_b32 s14, 0
                                        ; implicit-def: $vgpr5
	s_cbranch_execnz .LBB40_1806
	s_branch .LBB40_1838
.LBB40_1769:
	s_mov_b32 s17, -1
	s_mov_b32 s16, 0
	s_mov_b32 s14, 0
                                        ; implicit-def: $vgpr5
	s_branch .LBB40_1787
.LBB40_1770:
	s_mov_b32 s17, -1
	s_mov_b32 s16, 0
	s_mov_b32 s14, 0
                                        ; implicit-def: $vgpr5
	s_branch .LBB40_1782
.LBB40_1771:
	s_or_b32 s10, s8, exec_lo
	s_trap 2
	s_cbranch_execz .LBB40_1712
	s_branch .LBB40_1713
.LBB40_1772:
	s_mov_b32 s17, -1
	s_mov_b32 s16, 0
	s_mov_b32 s14, 0
	s_branch .LBB40_1776
.LBB40_1773:
	s_and_not1_saveexec_b32 s10, s10
	s_cbranch_execz .LBB40_1511
.LBB40_1774:
	v_add_f32_e64 v2, 0x42800000, |v4|
	s_and_not1_b32 s9, s9, exec_lo
	s_delay_alu instid0(VALU_DEP_1) | instskip(NEXT) | instid1(VALU_DEP_1)
	v_and_b32_e32 v2, 0xff, v2
	v_cmp_ne_u32_e32 vcc_lo, 0, v2
	s_and_b32 s11, vcc_lo, exec_lo
	s_delay_alu instid0(SALU_CYCLE_1)
	s_or_b32 s9, s9, s11
	s_or_b32 exec_lo, exec_lo, s10
	v_mov_b32_e32 v3, 0
	s_and_saveexec_b32 s10, s9
	s_cbranch_execnz .LBB40_1512
	s_branch .LBB40_1513
.LBB40_1775:
	s_mov_b32 s14, -1
	s_mov_b32 s16, 0
.LBB40_1776:
                                        ; implicit-def: $vgpr5
.LBB40_1777:
	s_and_b32 vcc_lo, exec_lo, s17
	s_cbranch_vccz .LBB40_1781
; %bb.1778:
	s_cmp_eq_u32 s13, 44
	s_cbranch_scc0 .LBB40_1780
; %bb.1779:
	global_load_u8 v3, v[20:21], off
	s_mov_b32 s14, 0
	s_mov_b32 s16, -1
	s_wait_loadcnt 0x0
	v_lshlrev_b32_e32 v5, 23, v3
	v_cmp_ne_u32_e32 vcc_lo, 0xff, v3
	s_delay_alu instid0(VALU_DEP_2) | instskip(SKIP_1) | instid1(VALU_DEP_2)
	v_cndmask_b32_e32 v5, 0x7f800001, v5, vcc_lo
	v_cmp_ne_u32_e32 vcc_lo, 0, v3
	v_cndmask_b32_e32 v5, 0x400000, v5, vcc_lo
	s_branch .LBB40_1781
.LBB40_1780:
	s_mov_b32 s14, -1
                                        ; implicit-def: $vgpr5
.LBB40_1781:
	s_mov_b32 s17, 0
.LBB40_1782:
	s_delay_alu instid0(SALU_CYCLE_1)
	s_and_b32 vcc_lo, exec_lo, s17
	s_cbranch_vccz .LBB40_1786
; %bb.1783:
	s_cmp_eq_u32 s13, 29
	s_cbranch_scc0 .LBB40_1785
; %bb.1784:
	global_load_b64 v[22:23], v[20:21], off
	s_mov_b32 s14, 0
	s_mov_b32 s16, -1
	s_mov_b32 s17, 0
	s_wait_loadcnt 0x0
	v_clz_i32_u32_e32 v3, v23
	s_delay_alu instid0(VALU_DEP_1) | instskip(NEXT) | instid1(VALU_DEP_1)
	v_min_u32_e32 v3, 32, v3
	v_lshlrev_b64_e32 v[22:23], v3, v[22:23]
	v_sub_nc_u32_e32 v3, 32, v3
	s_delay_alu instid0(VALU_DEP_2) | instskip(NEXT) | instid1(VALU_DEP_1)
	v_min_u32_e32 v5, 1, v22
	v_or_b32_e32 v5, v23, v5
	s_delay_alu instid0(VALU_DEP_1) | instskip(NEXT) | instid1(VALU_DEP_1)
	v_cvt_f32_u32_e32 v5, v5
	v_ldexp_f32 v5, v5, v3
	s_branch .LBB40_1787
.LBB40_1785:
	s_mov_b32 s14, -1
                                        ; implicit-def: $vgpr5
.LBB40_1786:
	s_mov_b32 s17, 0
.LBB40_1787:
	s_delay_alu instid0(SALU_CYCLE_1)
	s_and_b32 vcc_lo, exec_lo, s17
	s_cbranch_vccz .LBB40_1805
; %bb.1788:
	s_cmp_lt_i32 s13, 27
	s_cbranch_scc1 .LBB40_1791
; %bb.1789:
	s_cmp_gt_i32 s13, 27
	s_cbranch_scc0 .LBB40_1792
; %bb.1790:
	global_load_b32 v3, v[20:21], off
	s_mov_b32 s16, 0
	s_wait_loadcnt 0x0
	v_cvt_f32_u32_e32 v5, v3
	s_branch .LBB40_1793
.LBB40_1791:
	s_mov_b32 s16, -1
                                        ; implicit-def: $vgpr5
	s_branch .LBB40_1796
.LBB40_1792:
	s_mov_b32 s16, -1
                                        ; implicit-def: $vgpr5
.LBB40_1793:
	s_delay_alu instid0(SALU_CYCLE_1)
	s_and_not1_b32 vcc_lo, exec_lo, s16
	s_cbranch_vccnz .LBB40_1795
; %bb.1794:
	global_load_u16 v3, v[20:21], off
	s_wait_loadcnt 0x0
	v_cvt_f32_u32_e32 v5, v3
.LBB40_1795:
	s_mov_b32 s16, 0
.LBB40_1796:
	s_delay_alu instid0(SALU_CYCLE_1)
	s_and_not1_b32 vcc_lo, exec_lo, s16
	s_cbranch_vccnz .LBB40_1804
; %bb.1797:
	global_load_u8 v3, v[20:21], off
	s_mov_b32 s16, 0
	s_mov_b32 s17, exec_lo
	s_wait_loadcnt 0x0
	v_cmpx_lt_i16_e32 0x7f, v3
	s_xor_b32 s17, exec_lo, s17
	s_cbranch_execz .LBB40_1817
; %bb.1798:
	s_mov_b32 s16, -1
	s_mov_b32 s18, exec_lo
	v_cmpx_eq_u16_e32 0x80, v3
; %bb.1799:
	s_xor_b32 s16, exec_lo, -1
; %bb.1800:
	s_or_b32 exec_lo, exec_lo, s18
	s_delay_alu instid0(SALU_CYCLE_1)
	s_and_b32 s16, s16, exec_lo
	s_or_saveexec_b32 s17, s17
	v_mov_b32_e32 v5, 0x7f800001
	s_xor_b32 exec_lo, exec_lo, s17
	s_cbranch_execnz .LBB40_1818
.LBB40_1801:
	s_or_b32 exec_lo, exec_lo, s17
	s_and_saveexec_b32 s17, s16
	s_cbranch_execz .LBB40_1803
.LBB40_1802:
	v_and_b32_e32 v5, 0xffff, v3
	s_delay_alu instid0(VALU_DEP_1) | instskip(SKIP_1) | instid1(VALU_DEP_2)
	v_dual_lshlrev_b32 v3, 24, v3 :: v_dual_bitop2_b32 v7, 7, v5 bitop3:0x40
	v_bfe_u32 v13, v5, 3, 4
	v_and_b32_e32 v3, 0x80000000, v3
	s_delay_alu instid0(VALU_DEP_3) | instskip(NEXT) | instid1(VALU_DEP_3)
	v_clz_i32_u32_e32 v9, v7
	v_cmp_eq_u32_e32 vcc_lo, 0, v13
	s_delay_alu instid0(VALU_DEP_2) | instskip(NEXT) | instid1(VALU_DEP_1)
	v_min_u32_e32 v9, 32, v9
	v_subrev_nc_u32_e32 v11, 28, v9
	v_sub_nc_u32_e32 v9, 29, v9
	s_delay_alu instid0(VALU_DEP_2) | instskip(NEXT) | instid1(VALU_DEP_2)
	v_lshlrev_b32_e32 v5, v11, v5
	v_cndmask_b32_e32 v9, v13, v9, vcc_lo
	s_delay_alu instid0(VALU_DEP_2) | instskip(NEXT) | instid1(VALU_DEP_1)
	v_and_b32_e32 v5, 7, v5
	v_cndmask_b32_e32 v5, v7, v5, vcc_lo
	s_delay_alu instid0(VALU_DEP_3) | instskip(NEXT) | instid1(VALU_DEP_2)
	v_lshl_add_u32 v7, v9, 23, 0x3b800000
	v_lshlrev_b32_e32 v5, 20, v5
	s_delay_alu instid0(VALU_DEP_1)
	v_or3_b32 v5, v3, v7, v5
.LBB40_1803:
	s_or_b32 exec_lo, exec_lo, s17
.LBB40_1804:
	s_mov_b32 s16, -1
.LBB40_1805:
	s_branch .LBB40_1838
.LBB40_1806:
	s_cmp_gt_i32 s13, 22
	s_cbranch_scc0 .LBB40_1816
; %bb.1807:
	s_cmp_lt_i32 s13, 24
	s_cbranch_scc1 .LBB40_1819
; %bb.1808:
	s_cmp_gt_i32 s13, 24
	s_cbranch_scc0 .LBB40_1820
; %bb.1809:
	global_load_u8 v3, v[20:21], off
	s_mov_b32 s16, exec_lo
	s_wait_loadcnt 0x0
	v_cmpx_lt_i16_e32 0x7f, v3
	s_xor_b32 s16, exec_lo, s16
	s_cbranch_execz .LBB40_1832
; %bb.1810:
	s_mov_b32 s15, -1
	s_mov_b32 s17, exec_lo
	v_cmpx_eq_u16_e32 0x80, v3
; %bb.1811:
	s_xor_b32 s15, exec_lo, -1
; %bb.1812:
	s_or_b32 exec_lo, exec_lo, s17
	s_delay_alu instid0(SALU_CYCLE_1)
	s_and_b32 s15, s15, exec_lo
	s_or_saveexec_b32 s16, s16
	v_mov_b32_e32 v5, 0x7f800001
	s_xor_b32 exec_lo, exec_lo, s16
	s_cbranch_execnz .LBB40_1833
.LBB40_1813:
	s_or_b32 exec_lo, exec_lo, s16
	s_and_saveexec_b32 s16, s15
	s_cbranch_execz .LBB40_1815
.LBB40_1814:
	v_and_b32_e32 v5, 0xffff, v3
	s_delay_alu instid0(VALU_DEP_1) | instskip(SKIP_1) | instid1(VALU_DEP_2)
	v_dual_lshlrev_b32 v3, 24, v3 :: v_dual_bitop2_b32 v7, 3, v5 bitop3:0x40
	v_bfe_u32 v13, v5, 2, 5
	v_and_b32_e32 v3, 0x80000000, v3
	s_delay_alu instid0(VALU_DEP_3) | instskip(NEXT) | instid1(VALU_DEP_3)
	v_clz_i32_u32_e32 v9, v7
	v_cmp_eq_u32_e32 vcc_lo, 0, v13
	s_delay_alu instid0(VALU_DEP_2) | instskip(NEXT) | instid1(VALU_DEP_1)
	v_min_u32_e32 v9, 32, v9
	v_subrev_nc_u32_e32 v11, 29, v9
	v_sub_nc_u32_e32 v9, 30, v9
	s_delay_alu instid0(VALU_DEP_2) | instskip(NEXT) | instid1(VALU_DEP_2)
	v_lshlrev_b32_e32 v5, v11, v5
	v_cndmask_b32_e32 v9, v13, v9, vcc_lo
	s_delay_alu instid0(VALU_DEP_2) | instskip(NEXT) | instid1(VALU_DEP_1)
	v_and_b32_e32 v5, 3, v5
	v_cndmask_b32_e32 v5, v7, v5, vcc_lo
	s_delay_alu instid0(VALU_DEP_3) | instskip(NEXT) | instid1(VALU_DEP_2)
	v_lshl_add_u32 v7, v9, 23, 0x37800000
	v_lshlrev_b32_e32 v5, 21, v5
	s_delay_alu instid0(VALU_DEP_1)
	v_or3_b32 v5, v3, v7, v5
.LBB40_1815:
	s_or_b32 exec_lo, exec_lo, s16
	s_mov_b32 s15, 0
	s_branch .LBB40_1821
.LBB40_1816:
	s_mov_b32 s15, -1
                                        ; implicit-def: $vgpr5
	s_branch .LBB40_1827
.LBB40_1817:
	s_or_saveexec_b32 s17, s17
	v_mov_b32_e32 v5, 0x7f800001
	s_xor_b32 exec_lo, exec_lo, s17
	s_cbranch_execz .LBB40_1801
.LBB40_1818:
	v_cmp_ne_u16_e32 vcc_lo, 0, v3
	v_mov_b32_e32 v5, 0
	s_and_not1_b32 s16, s16, exec_lo
	s_and_b32 s18, vcc_lo, exec_lo
	s_delay_alu instid0(SALU_CYCLE_1)
	s_or_b32 s16, s16, s18
	s_or_b32 exec_lo, exec_lo, s17
	s_and_saveexec_b32 s17, s16
	s_cbranch_execnz .LBB40_1802
	s_branch .LBB40_1803
.LBB40_1819:
	s_mov_b32 s15, -1
                                        ; implicit-def: $vgpr5
	s_branch .LBB40_1824
.LBB40_1820:
	s_mov_b32 s15, -1
                                        ; implicit-def: $vgpr5
.LBB40_1821:
	s_delay_alu instid0(SALU_CYCLE_1)
	s_and_b32 vcc_lo, exec_lo, s15
	s_cbranch_vccz .LBB40_1823
; %bb.1822:
	global_load_u8 v3, v[20:21], off
	s_wait_loadcnt 0x0
	v_lshlrev_b32_e32 v3, 24, v3
	s_delay_alu instid0(VALU_DEP_1) | instskip(NEXT) | instid1(VALU_DEP_1)
	v_and_b32_e32 v5, 0x7f000000, v3
	v_clz_i32_u32_e32 v7, v5
	v_add_nc_u32_e32 v11, 0x1000000, v5
	v_cmp_ne_u32_e32 vcc_lo, 0, v5
	s_delay_alu instid0(VALU_DEP_3) | instskip(NEXT) | instid1(VALU_DEP_1)
	v_min_u32_e32 v7, 32, v7
	v_sub_nc_u32_e64 v7, v7, 4 clamp
	s_delay_alu instid0(VALU_DEP_1) | instskip(NEXT) | instid1(VALU_DEP_1)
	v_dual_lshlrev_b32 v9, v7, v5 :: v_dual_lshlrev_b32 v7, 23, v7
	v_lshrrev_b32_e32 v9, 4, v9
	s_delay_alu instid0(VALU_DEP_1) | instskip(SKIP_1) | instid1(VALU_DEP_2)
	v_sub_nc_u32_e32 v7, v9, v7
	v_ashrrev_i32_e32 v9, 8, v11
	v_add_nc_u32_e32 v7, 0x3c000000, v7
	s_delay_alu instid0(VALU_DEP_1) | instskip(NEXT) | instid1(VALU_DEP_1)
	v_and_or_b32 v7, 0x7f800000, v9, v7
	v_cndmask_b32_e32 v5, 0, v7, vcc_lo
	s_delay_alu instid0(VALU_DEP_1)
	v_and_or_b32 v5, 0x80000000, v3, v5
.LBB40_1823:
	s_mov_b32 s15, 0
.LBB40_1824:
	s_delay_alu instid0(SALU_CYCLE_1)
	s_and_not1_b32 vcc_lo, exec_lo, s15
	s_cbranch_vccnz .LBB40_1826
; %bb.1825:
	global_load_u8 v3, v[20:21], off
	s_wait_loadcnt 0x0
	v_lshlrev_b32_e32 v5, 25, v3
	v_lshlrev_b16 v3, 8, v3
	s_delay_alu instid0(VALU_DEP_1) | instskip(SKIP_1) | instid1(VALU_DEP_2)
	v_and_or_b32 v9, 0x7f00, v3, 0.5
	v_bfe_i32 v3, v3, 0, 16
	v_add_f32_e32 v9, -0.5, v9
	v_lshrrev_b32_e32 v7, 4, v5
	v_cmp_gt_u32_e32 vcc_lo, 0x8000000, v5
	s_delay_alu instid0(VALU_DEP_2) | instskip(NEXT) | instid1(VALU_DEP_1)
	v_or_b32_e32 v7, 0x70000000, v7
	v_mul_f32_e32 v7, 0x7800000, v7
	s_delay_alu instid0(VALU_DEP_1) | instskip(NEXT) | instid1(VALU_DEP_1)
	v_cndmask_b32_e32 v5, v7, v9, vcc_lo
	v_and_or_b32 v5, 0x80000000, v3, v5
.LBB40_1826:
	s_mov_b32 s15, 0
	s_mov_b32 s16, -1
.LBB40_1827:
	s_and_not1_b32 vcc_lo, exec_lo, s15
	s_mov_b32 s15, 0
	s_cbranch_vccnz .LBB40_1838
; %bb.1828:
	s_cmp_gt_i32 s13, 14
	s_cbranch_scc0 .LBB40_1831
; %bb.1829:
	s_cmp_eq_u32 s13, 15
	s_cbranch_scc0 .LBB40_1834
; %bb.1830:
	global_load_u16 v3, v[20:21], off
	s_mov_b32 s14, 0
	s_mov_b32 s16, -1
	s_wait_loadcnt 0x0
	v_lshlrev_b32_e32 v5, 16, v3
	s_branch .LBB40_1836
.LBB40_1831:
	s_mov_b32 s15, -1
	s_branch .LBB40_1835
.LBB40_1832:
	s_or_saveexec_b32 s16, s16
	v_mov_b32_e32 v5, 0x7f800001
	s_xor_b32 exec_lo, exec_lo, s16
	s_cbranch_execz .LBB40_1813
.LBB40_1833:
	v_cmp_ne_u16_e32 vcc_lo, 0, v3
	v_mov_b32_e32 v5, 0
	s_and_not1_b32 s15, s15, exec_lo
	s_and_b32 s17, vcc_lo, exec_lo
	s_delay_alu instid0(SALU_CYCLE_1)
	s_or_b32 s15, s15, s17
	s_or_b32 exec_lo, exec_lo, s16
	s_and_saveexec_b32 s16, s15
	s_cbranch_execnz .LBB40_1814
	s_branch .LBB40_1815
.LBB40_1834:
	s_mov_b32 s14, -1
.LBB40_1835:
                                        ; implicit-def: $vgpr5
.LBB40_1836:
	s_and_b32 vcc_lo, exec_lo, s15
	s_mov_b32 s15, 0
	s_cbranch_vccz .LBB40_1838
; %bb.1837:
	s_cmp_lg_u32 s13, 11
	s_mov_b32 s15, -1
	s_cselect_b32 s14, -1, 0
.LBB40_1838:
	s_delay_alu instid0(SALU_CYCLE_1)
	s_and_b32 vcc_lo, exec_lo, s14
	s_cbranch_vccnz .LBB40_1901
; %bb.1839:
	s_and_not1_b32 vcc_lo, exec_lo, s15
	s_cbranch_vccnz .LBB40_1841
.LBB40_1840:
	global_load_u8 v3, v[20:21], off
	s_mov_b32 s16, -1
	s_wait_loadcnt 0x0
	v_cmp_ne_u16_e32 vcc_lo, 0, v3
	v_cndmask_b32_e64 v5, 0, 1.0, vcc_lo
.LBB40_1841:
	s_branch .LBB40_1767
.LBB40_1842:
	s_and_b32 s13, 0xffff, s12
	s_delay_alu instid0(SALU_CYCLE_1)
	s_cmp_lt_i32 s13, 5
	s_cbranch_scc1 .LBB40_1847
; %bb.1843:
	s_cmp_lt_i32 s13, 8
	s_cbranch_scc1 .LBB40_1848
; %bb.1844:
	;; [unrolled: 3-line block ×3, first 2 shown]
	s_cmp_gt_i32 s13, 9
	s_cbranch_scc0 .LBB40_1850
; %bb.1846:
	global_load_b64 v[22:23], v[20:21], off
	s_mov_b32 s14, 0
	s_wait_loadcnt 0x0
	v_cvt_f32_f64_e32 v5, v[22:23]
	s_branch .LBB40_1851
.LBB40_1847:
                                        ; implicit-def: $vgpr5
	s_branch .LBB40_1869
.LBB40_1848:
	s_mov_b32 s14, -1
                                        ; implicit-def: $vgpr5
	s_branch .LBB40_1857
.LBB40_1849:
	s_mov_b32 s14, -1
                                        ; implicit-def: $vgpr5
	s_branch .LBB40_1854
.LBB40_1850:
	s_mov_b32 s14, -1
                                        ; implicit-def: $vgpr5
.LBB40_1851:
	s_delay_alu instid0(SALU_CYCLE_1)
	s_and_not1_b32 vcc_lo, exec_lo, s14
	s_cbranch_vccnz .LBB40_1853
; %bb.1852:
	global_load_b32 v5, v[20:21], off
.LBB40_1853:
	s_mov_b32 s14, 0
.LBB40_1854:
	s_delay_alu instid0(SALU_CYCLE_1)
	s_and_not1_b32 vcc_lo, exec_lo, s14
	s_cbranch_vccnz .LBB40_1856
; %bb.1855:
	global_load_b32 v3, v[20:21], off
	s_wait_loadcnt 0x0
	v_cvt_f32_f16_e32 v5, v3
.LBB40_1856:
	s_mov_b32 s14, 0
.LBB40_1857:
	s_delay_alu instid0(SALU_CYCLE_1)
	s_and_not1_b32 vcc_lo, exec_lo, s14
	s_cbranch_vccnz .LBB40_1868
; %bb.1858:
	s_cmp_lt_i32 s13, 6
	s_cbranch_scc1 .LBB40_1861
; %bb.1859:
	s_cmp_gt_i32 s13, 6
	s_cbranch_scc0 .LBB40_1862
; %bb.1860:
	global_load_b64 v[22:23], v[20:21], off
	s_mov_b32 s14, 0
	s_wait_loadcnt 0x0
	v_cvt_f32_f64_e32 v5, v[22:23]
	s_branch .LBB40_1863
.LBB40_1861:
	s_mov_b32 s14, -1
                                        ; implicit-def: $vgpr5
	s_branch .LBB40_1866
.LBB40_1862:
	s_mov_b32 s14, -1
                                        ; implicit-def: $vgpr5
.LBB40_1863:
	s_delay_alu instid0(SALU_CYCLE_1)
	s_and_not1_b32 vcc_lo, exec_lo, s14
	s_cbranch_vccnz .LBB40_1865
; %bb.1864:
	s_wait_loadcnt 0x0
	global_load_b32 v5, v[20:21], off
.LBB40_1865:
	s_mov_b32 s14, 0
.LBB40_1866:
	s_delay_alu instid0(SALU_CYCLE_1)
	s_and_not1_b32 vcc_lo, exec_lo, s14
	s_cbranch_vccnz .LBB40_1868
; %bb.1867:
	global_load_u16 v3, v[20:21], off
	s_wait_loadcnt 0x0
	v_cvt_f32_f16_e32 v5, v3
.LBB40_1868:
	s_cbranch_execnz .LBB40_1888
.LBB40_1869:
	s_cmp_lt_i32 s13, 2
	s_cbranch_scc1 .LBB40_1873
; %bb.1870:
	s_cmp_lt_i32 s13, 3
	s_cbranch_scc1 .LBB40_1874
; %bb.1871:
	s_cmp_gt_i32 s13, 3
	s_cbranch_scc0 .LBB40_1875
; %bb.1872:
	global_load_b64 v[22:23], v[20:21], off
	s_mov_b32 s14, 0
	s_wait_loadcnt 0x0
	v_xor_b32_e32 v3, v22, v23
	v_cls_i32_e32 v5, v23
	s_delay_alu instid0(VALU_DEP_2) | instskip(NEXT) | instid1(VALU_DEP_1)
	v_ashrrev_i32_e32 v3, 31, v3
	v_add_nc_u32_e32 v3, 32, v3
	s_delay_alu instid0(VALU_DEP_1) | instskip(NEXT) | instid1(VALU_DEP_1)
	v_add_min_u32_e64 v3, v5, -1, v3
	v_lshlrev_b64_e32 v[22:23], v3, v[22:23]
	v_sub_nc_u32_e32 v3, 32, v3
	s_delay_alu instid0(VALU_DEP_2) | instskip(NEXT) | instid1(VALU_DEP_1)
	v_min_u32_e32 v5, 1, v22
	v_or_b32_e32 v5, v23, v5
	s_delay_alu instid0(VALU_DEP_1) | instskip(NEXT) | instid1(VALU_DEP_1)
	v_cvt_f32_i32_e32 v5, v5
	v_ldexp_f32 v5, v5, v3
	s_branch .LBB40_1876
.LBB40_1873:
	s_mov_b32 s14, -1
                                        ; implicit-def: $vgpr5
	s_branch .LBB40_1882
.LBB40_1874:
	s_mov_b32 s14, -1
                                        ; implicit-def: $vgpr5
	s_branch .LBB40_1879
.LBB40_1875:
	s_mov_b32 s14, -1
                                        ; implicit-def: $vgpr5
.LBB40_1876:
	s_delay_alu instid0(SALU_CYCLE_1)
	s_and_not1_b32 vcc_lo, exec_lo, s14
	s_cbranch_vccnz .LBB40_1878
; %bb.1877:
	global_load_b32 v3, v[20:21], off
	s_wait_loadcnt 0x0
	v_cvt_f32_i32_e32 v5, v3
.LBB40_1878:
	s_mov_b32 s14, 0
.LBB40_1879:
	s_delay_alu instid0(SALU_CYCLE_1)
	s_and_not1_b32 vcc_lo, exec_lo, s14
	s_cbranch_vccnz .LBB40_1881
; %bb.1880:
	global_load_i16 v3, v[20:21], off
	s_wait_loadcnt 0x0
	v_cvt_f32_i32_e32 v5, v3
.LBB40_1881:
	s_mov_b32 s14, 0
.LBB40_1882:
	s_delay_alu instid0(SALU_CYCLE_1)
	s_and_not1_b32 vcc_lo, exec_lo, s14
	s_cbranch_vccnz .LBB40_1888
; %bb.1883:
	s_cmp_gt_i32 s13, 0
	s_mov_b32 s13, 0
	s_cbranch_scc0 .LBB40_1885
; %bb.1884:
	global_load_i8 v3, v[20:21], off
	s_wait_loadcnt 0x0
	v_cvt_f32_i32_e32 v5, v3
	s_branch .LBB40_1886
.LBB40_1885:
	s_mov_b32 s13, -1
                                        ; implicit-def: $vgpr5
.LBB40_1886:
	s_delay_alu instid0(SALU_CYCLE_1)
	s_and_not1_b32 vcc_lo, exec_lo, s13
	s_cbranch_vccnz .LBB40_1888
; %bb.1887:
	global_load_u8 v3, v[20:21], off
	s_wait_loadcnt 0x0
	v_cvt_f32_ubyte0_e32 v5, v3
.LBB40_1888:
.LBB40_1889:
	v_mov_b32_e32 v19, 0
	s_and_b32 s11, 0xffff, s11
	s_delay_alu instid0(SALU_CYCLE_1) | instskip(NEXT) | instid1(VALU_DEP_1)
	s_cmp_lt_i32 s11, 11
	v_add_nc_u64_e32 v[18:19], s[6:7], v[18:19]
	s_cbranch_scc1 .LBB40_1896
; %bb.1890:
	s_cmp_gt_i32 s11, 25
	s_mov_b32 s14, 0
	s_cbranch_scc0 .LBB40_1898
; %bb.1891:
	s_cmp_gt_i32 s11, 28
	s_cbranch_scc0 .LBB40_1899
; %bb.1892:
	s_cmp_gt_i32 s11, 43
	s_cbranch_scc0 .LBB40_1900
; %bb.1893:
	s_cmp_gt_i32 s11, 45
	s_cbranch_scc0 .LBB40_1902
; %bb.1894:
	s_cmp_eq_u32 s11, 46
	s_mov_b32 s16, 0
	s_cbranch_scc0 .LBB40_1903
; %bb.1895:
	global_load_b32 v3, v[18:19], off
	s_mov_b32 s13, 0
	s_mov_b32 s15, -1
	s_wait_loadcnt 0x0
	v_lshlrev_b32_e32 v3, 16, v3
	s_branch .LBB40_1905
.LBB40_1896:
	s_mov_b32 s15, 0
                                        ; implicit-def: $vgpr3
	s_cbranch_execnz .LBB40_1971
.LBB40_1897:
	s_and_not1_b32 vcc_lo, exec_lo, s15
	s_cbranch_vccz .LBB40_2019
	s_branch .LBB40_3106
.LBB40_1898:
	s_mov_b32 s16, -1
	s_mov_b32 s15, 0
	s_mov_b32 s13, 0
                                        ; implicit-def: $vgpr3
	s_branch .LBB40_1934
.LBB40_1899:
	s_mov_b32 s16, -1
	s_mov_b32 s15, 0
	s_mov_b32 s13, 0
                                        ; implicit-def: $vgpr3
	s_branch .LBB40_1915
.LBB40_1900:
	s_mov_b32 s16, -1
	s_mov_b32 s15, 0
	s_mov_b32 s13, 0
                                        ; implicit-def: $vgpr3
	s_branch .LBB40_1910
.LBB40_1901:
	s_or_b32 s10, s10, exec_lo
	s_trap 2
	s_cbranch_execz .LBB40_1840
	s_branch .LBB40_1841
.LBB40_1902:
	s_mov_b32 s16, -1
	s_mov_b32 s15, 0
	s_mov_b32 s13, 0
	s_branch .LBB40_1904
.LBB40_1903:
	s_mov_b32 s13, -1
	s_mov_b32 s15, 0
.LBB40_1904:
                                        ; implicit-def: $vgpr3
.LBB40_1905:
	s_and_b32 vcc_lo, exec_lo, s16
	s_cbranch_vccz .LBB40_1909
; %bb.1906:
	s_cmp_eq_u32 s11, 44
	s_cbranch_scc0 .LBB40_1908
; %bb.1907:
	global_load_u8 v3, v[18:19], off
	s_mov_b32 s13, 0
	s_mov_b32 s15, -1
	s_wait_loadcnt 0x0
	v_lshlrev_b32_e32 v7, 23, v3
	v_cmp_ne_u32_e32 vcc_lo, 0xff, v3
	s_delay_alu instid0(VALU_DEP_2) | instskip(SKIP_1) | instid1(VALU_DEP_2)
	v_cndmask_b32_e32 v7, 0x7f800001, v7, vcc_lo
	v_cmp_ne_u32_e32 vcc_lo, 0, v3
	v_cndmask_b32_e32 v3, 0x400000, v7, vcc_lo
	s_branch .LBB40_1909
.LBB40_1908:
	s_mov_b32 s13, -1
                                        ; implicit-def: $vgpr3
.LBB40_1909:
	s_mov_b32 s16, 0
.LBB40_1910:
	s_delay_alu instid0(SALU_CYCLE_1)
	s_and_b32 vcc_lo, exec_lo, s16
	s_cbranch_vccz .LBB40_1914
; %bb.1911:
	s_cmp_eq_u32 s11, 29
	s_cbranch_scc0 .LBB40_1913
; %bb.1912:
	global_load_b64 v[20:21], v[18:19], off
	s_mov_b32 s13, 0
	s_mov_b32 s15, -1
	s_mov_b32 s16, 0
	s_wait_loadcnt 0x0
	v_clz_i32_u32_e32 v3, v21
	s_delay_alu instid0(VALU_DEP_1) | instskip(NEXT) | instid1(VALU_DEP_1)
	v_min_u32_e32 v3, 32, v3
	v_lshlrev_b64_e32 v[20:21], v3, v[20:21]
	v_sub_nc_u32_e32 v3, 32, v3
	s_delay_alu instid0(VALU_DEP_2) | instskip(NEXT) | instid1(VALU_DEP_1)
	v_min_u32_e32 v7, 1, v20
	v_or_b32_e32 v7, v21, v7
	s_delay_alu instid0(VALU_DEP_1) | instskip(NEXT) | instid1(VALU_DEP_1)
	v_cvt_f32_u32_e32 v7, v7
	v_ldexp_f32 v3, v7, v3
	s_branch .LBB40_1915
.LBB40_1913:
	s_mov_b32 s13, -1
                                        ; implicit-def: $vgpr3
.LBB40_1914:
	s_mov_b32 s16, 0
.LBB40_1915:
	s_delay_alu instid0(SALU_CYCLE_1)
	s_and_b32 vcc_lo, exec_lo, s16
	s_cbranch_vccz .LBB40_1933
; %bb.1916:
	s_cmp_lt_i32 s11, 27
	s_cbranch_scc1 .LBB40_1919
; %bb.1917:
	s_cmp_gt_i32 s11, 27
	s_cbranch_scc0 .LBB40_1920
; %bb.1918:
	global_load_b32 v3, v[18:19], off
	s_mov_b32 s15, 0
	s_wait_loadcnt 0x0
	v_cvt_f32_u32_e32 v3, v3
	s_branch .LBB40_1921
.LBB40_1919:
	s_mov_b32 s15, -1
                                        ; implicit-def: $vgpr3
	s_branch .LBB40_1924
.LBB40_1920:
	s_mov_b32 s15, -1
                                        ; implicit-def: $vgpr3
.LBB40_1921:
	s_delay_alu instid0(SALU_CYCLE_1)
	s_and_not1_b32 vcc_lo, exec_lo, s15
	s_cbranch_vccnz .LBB40_1923
; %bb.1922:
	global_load_u16 v3, v[18:19], off
	s_wait_loadcnt 0x0
	v_cvt_f32_u32_e32 v3, v3
.LBB40_1923:
	s_mov_b32 s15, 0
.LBB40_1924:
	s_delay_alu instid0(SALU_CYCLE_1)
	s_and_not1_b32 vcc_lo, exec_lo, s15
	s_cbranch_vccnz .LBB40_1932
; %bb.1925:
	global_load_u8 v7, v[18:19], off
	s_mov_b32 s15, 0
	s_mov_b32 s16, exec_lo
	s_wait_loadcnt 0x0
	v_cmpx_lt_i16_e32 0x7f, v7
	s_xor_b32 s16, exec_lo, s16
	s_cbranch_execz .LBB40_1946
; %bb.1926:
	s_mov_b32 s15, -1
	s_mov_b32 s17, exec_lo
	v_cmpx_eq_u16_e32 0x80, v7
; %bb.1927:
	s_xor_b32 s15, exec_lo, -1
; %bb.1928:
	s_or_b32 exec_lo, exec_lo, s17
	s_delay_alu instid0(SALU_CYCLE_1)
	s_and_b32 s15, s15, exec_lo
	s_or_saveexec_b32 s16, s16
	v_mov_b32_e32 v3, 0x7f800001
	s_xor_b32 exec_lo, exec_lo, s16
	s_cbranch_execnz .LBB40_1947
.LBB40_1929:
	s_or_b32 exec_lo, exec_lo, s16
	s_and_saveexec_b32 s16, s15
	s_cbranch_execz .LBB40_1931
.LBB40_1930:
	v_and_b32_e32 v3, 0xffff, v7
	v_lshlrev_b32_e32 v7, 24, v7
	s_delay_alu instid0(VALU_DEP_2) | instskip(SKIP_1) | instid1(VALU_DEP_3)
	v_and_b32_e32 v9, 7, v3
	v_bfe_u32 v15, v3, 3, 4
	v_and_b32_e32 v7, 0x80000000, v7
	s_delay_alu instid0(VALU_DEP_3) | instskip(NEXT) | instid1(VALU_DEP_3)
	v_clz_i32_u32_e32 v11, v9
	v_cmp_eq_u32_e32 vcc_lo, 0, v15
	s_delay_alu instid0(VALU_DEP_2) | instskip(NEXT) | instid1(VALU_DEP_1)
	v_min_u32_e32 v11, 32, v11
	v_subrev_nc_u32_e32 v13, 28, v11
	v_sub_nc_u32_e32 v11, 29, v11
	s_delay_alu instid0(VALU_DEP_2) | instskip(NEXT) | instid1(VALU_DEP_2)
	v_lshlrev_b32_e32 v3, v13, v3
	v_cndmask_b32_e32 v11, v15, v11, vcc_lo
	s_delay_alu instid0(VALU_DEP_2) | instskip(NEXT) | instid1(VALU_DEP_1)
	v_and_b32_e32 v3, 7, v3
	v_cndmask_b32_e32 v3, v9, v3, vcc_lo
	s_delay_alu instid0(VALU_DEP_3) | instskip(NEXT) | instid1(VALU_DEP_2)
	v_lshl_add_u32 v9, v11, 23, 0x3b800000
	v_lshlrev_b32_e32 v3, 20, v3
	s_delay_alu instid0(VALU_DEP_1)
	v_or3_b32 v3, v7, v9, v3
.LBB40_1931:
	s_or_b32 exec_lo, exec_lo, s16
.LBB40_1932:
	s_mov_b32 s15, -1
.LBB40_1933:
	s_mov_b32 s16, 0
.LBB40_1934:
	s_delay_alu instid0(SALU_CYCLE_1)
	s_and_b32 vcc_lo, exec_lo, s16
	s_cbranch_vccz .LBB40_1967
; %bb.1935:
	s_cmp_gt_i32 s11, 22
	s_cbranch_scc0 .LBB40_1945
; %bb.1936:
	s_cmp_lt_i32 s11, 24
	s_cbranch_scc1 .LBB40_1948
; %bb.1937:
	s_cmp_gt_i32 s11, 24
	s_cbranch_scc0 .LBB40_1949
; %bb.1938:
	global_load_u8 v7, v[18:19], off
	s_mov_b32 s15, exec_lo
	s_wait_loadcnt 0x0
	v_cmpx_lt_i16_e32 0x7f, v7
	s_xor_b32 s15, exec_lo, s15
	s_cbranch_execz .LBB40_1961
; %bb.1939:
	s_mov_b32 s14, -1
	s_mov_b32 s16, exec_lo
	v_cmpx_eq_u16_e32 0x80, v7
; %bb.1940:
	s_xor_b32 s14, exec_lo, -1
; %bb.1941:
	s_or_b32 exec_lo, exec_lo, s16
	s_delay_alu instid0(SALU_CYCLE_1)
	s_and_b32 s14, s14, exec_lo
	s_or_saveexec_b32 s15, s15
	v_mov_b32_e32 v3, 0x7f800001
	s_xor_b32 exec_lo, exec_lo, s15
	s_cbranch_execnz .LBB40_1962
.LBB40_1942:
	s_or_b32 exec_lo, exec_lo, s15
	s_and_saveexec_b32 s15, s14
	s_cbranch_execz .LBB40_1944
.LBB40_1943:
	v_and_b32_e32 v3, 0xffff, v7
	v_lshlrev_b32_e32 v7, 24, v7
	s_delay_alu instid0(VALU_DEP_2) | instskip(SKIP_1) | instid1(VALU_DEP_3)
	v_and_b32_e32 v9, 3, v3
	v_bfe_u32 v15, v3, 2, 5
	v_and_b32_e32 v7, 0x80000000, v7
	s_delay_alu instid0(VALU_DEP_3) | instskip(NEXT) | instid1(VALU_DEP_3)
	v_clz_i32_u32_e32 v11, v9
	v_cmp_eq_u32_e32 vcc_lo, 0, v15
	s_delay_alu instid0(VALU_DEP_2) | instskip(NEXT) | instid1(VALU_DEP_1)
	v_min_u32_e32 v11, 32, v11
	v_subrev_nc_u32_e32 v13, 29, v11
	v_sub_nc_u32_e32 v11, 30, v11
	s_delay_alu instid0(VALU_DEP_2) | instskip(NEXT) | instid1(VALU_DEP_2)
	v_lshlrev_b32_e32 v3, v13, v3
	v_cndmask_b32_e32 v11, v15, v11, vcc_lo
	s_delay_alu instid0(VALU_DEP_2) | instskip(NEXT) | instid1(VALU_DEP_1)
	v_and_b32_e32 v3, 3, v3
	v_cndmask_b32_e32 v3, v9, v3, vcc_lo
	s_delay_alu instid0(VALU_DEP_3) | instskip(NEXT) | instid1(VALU_DEP_2)
	v_lshl_add_u32 v9, v11, 23, 0x37800000
	v_lshlrev_b32_e32 v3, 21, v3
	s_delay_alu instid0(VALU_DEP_1)
	v_or3_b32 v3, v7, v9, v3
.LBB40_1944:
	s_or_b32 exec_lo, exec_lo, s15
	s_mov_b32 s14, 0
	s_branch .LBB40_1950
.LBB40_1945:
	s_mov_b32 s14, -1
                                        ; implicit-def: $vgpr3
	s_branch .LBB40_1956
.LBB40_1946:
	s_or_saveexec_b32 s16, s16
	v_mov_b32_e32 v3, 0x7f800001
	s_xor_b32 exec_lo, exec_lo, s16
	s_cbranch_execz .LBB40_1929
.LBB40_1947:
	v_cmp_ne_u16_e32 vcc_lo, 0, v7
	v_mov_b32_e32 v3, 0
	s_and_not1_b32 s15, s15, exec_lo
	s_and_b32 s17, vcc_lo, exec_lo
	s_delay_alu instid0(SALU_CYCLE_1)
	s_or_b32 s15, s15, s17
	s_or_b32 exec_lo, exec_lo, s16
	s_and_saveexec_b32 s16, s15
	s_cbranch_execnz .LBB40_1930
	s_branch .LBB40_1931
.LBB40_1948:
	s_mov_b32 s14, -1
                                        ; implicit-def: $vgpr3
	s_branch .LBB40_1953
.LBB40_1949:
	s_mov_b32 s14, -1
                                        ; implicit-def: $vgpr3
.LBB40_1950:
	s_delay_alu instid0(SALU_CYCLE_1)
	s_and_b32 vcc_lo, exec_lo, s14
	s_cbranch_vccz .LBB40_1952
; %bb.1951:
	global_load_u8 v3, v[18:19], off
	s_wait_loadcnt 0x0
	v_lshlrev_b32_e32 v3, 24, v3
	s_delay_alu instid0(VALU_DEP_1) | instskip(NEXT) | instid1(VALU_DEP_1)
	v_and_b32_e32 v7, 0x7f000000, v3
	v_clz_i32_u32_e32 v9, v7
	v_cmp_ne_u32_e32 vcc_lo, 0, v7
	v_add_nc_u32_e32 v13, 0x1000000, v7
	s_delay_alu instid0(VALU_DEP_3) | instskip(NEXT) | instid1(VALU_DEP_1)
	v_min_u32_e32 v9, 32, v9
	v_sub_nc_u32_e64 v9, v9, 4 clamp
	s_delay_alu instid0(VALU_DEP_1) | instskip(NEXT) | instid1(VALU_DEP_1)
	v_dual_lshlrev_b32 v11, v9, v7 :: v_dual_lshlrev_b32 v9, 23, v9
	v_lshrrev_b32_e32 v11, 4, v11
	s_delay_alu instid0(VALU_DEP_1) | instskip(SKIP_1) | instid1(VALU_DEP_2)
	v_sub_nc_u32_e32 v9, v11, v9
	v_ashrrev_i32_e32 v11, 8, v13
	v_add_nc_u32_e32 v9, 0x3c000000, v9
	s_delay_alu instid0(VALU_DEP_1) | instskip(NEXT) | instid1(VALU_DEP_1)
	v_and_or_b32 v9, 0x7f800000, v11, v9
	v_cndmask_b32_e32 v7, 0, v9, vcc_lo
	s_delay_alu instid0(VALU_DEP_1)
	v_and_or_b32 v3, 0x80000000, v3, v7
.LBB40_1952:
	s_mov_b32 s14, 0
.LBB40_1953:
	s_delay_alu instid0(SALU_CYCLE_1)
	s_and_not1_b32 vcc_lo, exec_lo, s14
	s_cbranch_vccnz .LBB40_1955
; %bb.1954:
	global_load_u8 v3, v[18:19], off
	s_wait_loadcnt 0x0
	v_lshlrev_b32_e32 v7, 25, v3
	v_lshlrev_b16 v3, 8, v3
	s_delay_alu instid0(VALU_DEP_2) | instskip(NEXT) | instid1(VALU_DEP_2)
	v_lshrrev_b32_e32 v9, 4, v7
	v_and_or_b32 v11, 0x7f00, v3, 0.5
	v_cmp_gt_u32_e32 vcc_lo, 0x8000000, v7
	v_bfe_i32 v3, v3, 0, 16
	s_delay_alu instid0(VALU_DEP_4) | instskip(NEXT) | instid1(VALU_DEP_4)
	v_or_b32_e32 v9, 0x70000000, v9
	v_add_f32_e32 v11, -0.5, v11
	s_delay_alu instid0(VALU_DEP_2) | instskip(NEXT) | instid1(VALU_DEP_1)
	v_mul_f32_e32 v9, 0x7800000, v9
	v_cndmask_b32_e32 v7, v9, v11, vcc_lo
	s_delay_alu instid0(VALU_DEP_1)
	v_and_or_b32 v3, 0x80000000, v3, v7
.LBB40_1955:
	s_mov_b32 s14, 0
	s_mov_b32 s15, -1
.LBB40_1956:
	s_and_not1_b32 vcc_lo, exec_lo, s14
	s_mov_b32 s14, 0
	s_cbranch_vccnz .LBB40_1967
; %bb.1957:
	s_cmp_gt_i32 s11, 14
	s_cbranch_scc0 .LBB40_1960
; %bb.1958:
	s_cmp_eq_u32 s11, 15
	s_cbranch_scc0 .LBB40_1963
; %bb.1959:
	global_load_u16 v3, v[18:19], off
	s_mov_b32 s13, 0
	s_mov_b32 s15, -1
	s_wait_loadcnt 0x0
	v_lshlrev_b32_e32 v3, 16, v3
	s_branch .LBB40_1965
.LBB40_1960:
	s_mov_b32 s14, -1
	s_branch .LBB40_1964
.LBB40_1961:
	s_or_saveexec_b32 s15, s15
	v_mov_b32_e32 v3, 0x7f800001
	s_xor_b32 exec_lo, exec_lo, s15
	s_cbranch_execz .LBB40_1942
.LBB40_1962:
	v_cmp_ne_u16_e32 vcc_lo, 0, v7
	v_mov_b32_e32 v3, 0
	s_and_not1_b32 s14, s14, exec_lo
	s_and_b32 s16, vcc_lo, exec_lo
	s_delay_alu instid0(SALU_CYCLE_1)
	s_or_b32 s14, s14, s16
	s_or_b32 exec_lo, exec_lo, s15
	s_and_saveexec_b32 s15, s14
	s_cbranch_execnz .LBB40_1943
	s_branch .LBB40_1944
.LBB40_1963:
	s_mov_b32 s13, -1
.LBB40_1964:
                                        ; implicit-def: $vgpr3
.LBB40_1965:
	s_and_b32 vcc_lo, exec_lo, s14
	s_mov_b32 s14, 0
	s_cbranch_vccz .LBB40_1967
; %bb.1966:
	s_cmp_lg_u32 s11, 11
	s_mov_b32 s14, -1
	s_cselect_b32 s13, -1, 0
.LBB40_1967:
	s_delay_alu instid0(SALU_CYCLE_1)
	s_and_b32 vcc_lo, exec_lo, s13
	s_cbranch_vccnz .LBB40_2030
; %bb.1968:
	s_and_not1_b32 vcc_lo, exec_lo, s14
	s_cbranch_vccnz .LBB40_1970
.LBB40_1969:
	global_load_u8 v3, v[18:19], off
	s_mov_b32 s15, -1
	s_wait_loadcnt 0x0
	v_cmp_ne_u16_e32 vcc_lo, 0, v3
	v_cndmask_b32_e64 v3, 0, 1.0, vcc_lo
.LBB40_1970:
	s_branch .LBB40_1897
.LBB40_1971:
	s_cmp_lt_i32 s11, 5
	s_cbranch_scc1 .LBB40_1976
; %bb.1972:
	s_cmp_lt_i32 s11, 8
	s_cbranch_scc1 .LBB40_1977
; %bb.1973:
	;; [unrolled: 3-line block ×3, first 2 shown]
	s_cmp_gt_i32 s11, 9
	s_cbranch_scc0 .LBB40_1979
; %bb.1975:
	global_load_b64 v[20:21], v[18:19], off
	s_mov_b32 s13, 0
	s_wait_loadcnt 0x0
	v_cvt_f32_f64_e32 v3, v[20:21]
	s_branch .LBB40_1980
.LBB40_1976:
	s_mov_b32 s13, -1
                                        ; implicit-def: $vgpr3
	s_branch .LBB40_1998
.LBB40_1977:
	s_mov_b32 s13, -1
                                        ; implicit-def: $vgpr3
	s_branch .LBB40_1986
.LBB40_1978:
	s_mov_b32 s13, -1
                                        ; implicit-def: $vgpr3
	s_branch .LBB40_1983
.LBB40_1979:
	s_mov_b32 s13, -1
                                        ; implicit-def: $vgpr3
.LBB40_1980:
	s_delay_alu instid0(SALU_CYCLE_1)
	s_and_not1_b32 vcc_lo, exec_lo, s13
	s_cbranch_vccnz .LBB40_1982
; %bb.1981:
	global_load_b32 v3, v[18:19], off
.LBB40_1982:
	s_mov_b32 s13, 0
.LBB40_1983:
	s_delay_alu instid0(SALU_CYCLE_1)
	s_and_not1_b32 vcc_lo, exec_lo, s13
	s_cbranch_vccnz .LBB40_1985
; %bb.1984:
	s_wait_loadcnt 0x0
	global_load_b32 v3, v[18:19], off
	s_wait_loadcnt 0x0
	v_cvt_f32_f16_e32 v3, v3
.LBB40_1985:
	s_mov_b32 s13, 0
.LBB40_1986:
	s_delay_alu instid0(SALU_CYCLE_1)
	s_and_not1_b32 vcc_lo, exec_lo, s13
	s_cbranch_vccnz .LBB40_1997
; %bb.1987:
	s_cmp_lt_i32 s11, 6
	s_cbranch_scc1 .LBB40_1990
; %bb.1988:
	s_cmp_gt_i32 s11, 6
	s_cbranch_scc0 .LBB40_1991
; %bb.1989:
	global_load_b64 v[20:21], v[18:19], off
	s_mov_b32 s13, 0
	s_wait_loadcnt 0x0
	v_cvt_f32_f64_e32 v3, v[20:21]
	s_branch .LBB40_1992
.LBB40_1990:
	s_mov_b32 s13, -1
                                        ; implicit-def: $vgpr3
	s_branch .LBB40_1995
.LBB40_1991:
	s_mov_b32 s13, -1
                                        ; implicit-def: $vgpr3
.LBB40_1992:
	s_delay_alu instid0(SALU_CYCLE_1)
	s_and_not1_b32 vcc_lo, exec_lo, s13
	s_cbranch_vccnz .LBB40_1994
; %bb.1993:
	s_wait_loadcnt 0x0
	global_load_b32 v3, v[18:19], off
.LBB40_1994:
	s_mov_b32 s13, 0
.LBB40_1995:
	s_delay_alu instid0(SALU_CYCLE_1)
	s_and_not1_b32 vcc_lo, exec_lo, s13
	s_cbranch_vccnz .LBB40_1997
; %bb.1996:
	s_wait_loadcnt 0x0
	global_load_u16 v3, v[18:19], off
	s_wait_loadcnt 0x0
	v_cvt_f32_f16_e32 v3, v3
.LBB40_1997:
	s_mov_b32 s13, 0
.LBB40_1998:
	s_delay_alu instid0(SALU_CYCLE_1)
	s_and_not1_b32 vcc_lo, exec_lo, s13
	s_cbranch_vccnz .LBB40_2018
; %bb.1999:
	s_cmp_lt_i32 s11, 2
	s_cbranch_scc1 .LBB40_2003
; %bb.2000:
	s_cmp_lt_i32 s11, 3
	s_cbranch_scc1 .LBB40_2004
; %bb.2001:
	s_cmp_gt_i32 s11, 3
	s_cbranch_scc0 .LBB40_2005
; %bb.2002:
	global_load_b64 v[20:21], v[18:19], off
	s_mov_b32 s13, 0
	s_wait_loadcnt 0x0
	v_xor_b32_e32 v3, v20, v21
	v_cls_i32_e32 v7, v21
	s_delay_alu instid0(VALU_DEP_2) | instskip(NEXT) | instid1(VALU_DEP_1)
	v_ashrrev_i32_e32 v3, 31, v3
	v_add_nc_u32_e32 v3, 32, v3
	s_delay_alu instid0(VALU_DEP_1) | instskip(NEXT) | instid1(VALU_DEP_1)
	v_add_min_u32_e64 v3, v7, -1, v3
	v_lshlrev_b64_e32 v[20:21], v3, v[20:21]
	v_sub_nc_u32_e32 v3, 32, v3
	s_delay_alu instid0(VALU_DEP_2) | instskip(NEXT) | instid1(VALU_DEP_1)
	v_min_u32_e32 v7, 1, v20
	v_or_b32_e32 v7, v21, v7
	s_delay_alu instid0(VALU_DEP_1) | instskip(NEXT) | instid1(VALU_DEP_1)
	v_cvt_f32_i32_e32 v7, v7
	v_ldexp_f32 v3, v7, v3
	s_branch .LBB40_2006
.LBB40_2003:
	s_mov_b32 s13, -1
                                        ; implicit-def: $vgpr3
	s_branch .LBB40_2012
.LBB40_2004:
	s_mov_b32 s13, -1
                                        ; implicit-def: $vgpr3
	s_branch .LBB40_2009
.LBB40_2005:
	s_mov_b32 s13, -1
                                        ; implicit-def: $vgpr3
.LBB40_2006:
	s_delay_alu instid0(SALU_CYCLE_1)
	s_and_not1_b32 vcc_lo, exec_lo, s13
	s_cbranch_vccnz .LBB40_2008
; %bb.2007:
	s_wait_loadcnt 0x0
	global_load_b32 v3, v[18:19], off
	s_wait_loadcnt 0x0
	v_cvt_f32_i32_e32 v3, v3
.LBB40_2008:
	s_mov_b32 s13, 0
.LBB40_2009:
	s_delay_alu instid0(SALU_CYCLE_1)
	s_and_not1_b32 vcc_lo, exec_lo, s13
	s_cbranch_vccnz .LBB40_2011
; %bb.2010:
	s_wait_loadcnt 0x0
	global_load_i16 v3, v[18:19], off
	s_wait_loadcnt 0x0
	v_cvt_f32_i32_e32 v3, v3
.LBB40_2011:
	s_mov_b32 s13, 0
.LBB40_2012:
	s_delay_alu instid0(SALU_CYCLE_1)
	s_and_not1_b32 vcc_lo, exec_lo, s13
	s_cbranch_vccnz .LBB40_2018
; %bb.2013:
	s_cmp_gt_i32 s11, 0
	s_mov_b32 s13, 0
	s_cbranch_scc0 .LBB40_2015
; %bb.2014:
	s_wait_loadcnt 0x0
	global_load_i8 v3, v[18:19], off
	s_wait_loadcnt 0x0
	v_cvt_f32_i32_e32 v3, v3
	s_branch .LBB40_2016
.LBB40_2015:
	s_mov_b32 s13, -1
                                        ; implicit-def: $vgpr3
.LBB40_2016:
	s_delay_alu instid0(SALU_CYCLE_1)
	s_and_not1_b32 vcc_lo, exec_lo, s13
	s_cbranch_vccnz .LBB40_2018
; %bb.2017:
	s_wait_loadcnt 0x0
	global_load_u8 v3, v[18:19], off
	s_wait_loadcnt 0x0
	v_cvt_f32_ubyte0_e32 v3, v3
.LBB40_2018:
.LBB40_2019:
	v_mov_b32_e32 v17, 0
	s_and_b32 s12, 0xffff, s12
	s_delay_alu instid0(SALU_CYCLE_1) | instskip(NEXT) | instid1(VALU_DEP_1)
	s_cmp_lt_i32 s12, 11
	v_add_nc_u64_e32 v[16:17], s[0:1], v[16:17]
	s_cbranch_scc1 .LBB40_2026
; %bb.2020:
	s_cmp_gt_i32 s12, 25
	s_mov_b32 s14, 0
	s_cbranch_scc0 .LBB40_2027
; %bb.2021:
	s_cmp_gt_i32 s12, 28
	s_cbranch_scc0 .LBB40_2028
; %bb.2022:
	s_cmp_gt_i32 s12, 43
	s_cbranch_scc0 .LBB40_2029
; %bb.2023:
	s_cmp_gt_i32 s12, 45
	s_cbranch_scc0 .LBB40_2031
; %bb.2024:
	s_cmp_eq_u32 s12, 46
	s_mov_b32 s16, 0
	s_cbranch_scc0 .LBB40_2032
; %bb.2025:
	global_load_b32 v7, v[16:17], off
	s_mov_b32 s13, 0
	s_mov_b32 s15, -1
	s_wait_loadcnt 0x0
	s_wait_xcnt 0x1
	v_lshlrev_b32_e32 v18, 16, v7
	s_branch .LBB40_2034
.LBB40_2026:
	s_mov_b32 s13, -1
	s_mov_b32 s15, 0
                                        ; implicit-def: $vgpr18
	s_branch .LBB40_2100
.LBB40_2027:
	s_mov_b32 s16, -1
	s_mov_b32 s15, 0
	s_mov_b32 s13, 0
                                        ; implicit-def: $vgpr18
	s_branch .LBB40_2063
.LBB40_2028:
	s_mov_b32 s16, -1
	s_mov_b32 s15, 0
	s_mov_b32 s13, 0
                                        ; implicit-def: $vgpr18
	s_branch .LBB40_2044
.LBB40_2029:
	s_mov_b32 s16, -1
	s_mov_b32 s15, 0
	s_mov_b32 s13, 0
                                        ; implicit-def: $vgpr18
	s_branch .LBB40_2039
.LBB40_2030:
	s_or_b32 s10, s10, exec_lo
	s_trap 2
	s_cbranch_execz .LBB40_1969
	s_branch .LBB40_1970
.LBB40_2031:
	s_mov_b32 s16, -1
	s_mov_b32 s15, 0
	s_mov_b32 s13, 0
	s_branch .LBB40_2033
.LBB40_2032:
	s_mov_b32 s13, -1
	s_mov_b32 s15, 0
.LBB40_2033:
                                        ; implicit-def: $vgpr18
.LBB40_2034:
	s_and_b32 vcc_lo, exec_lo, s16
	s_cbranch_vccz .LBB40_2038
; %bb.2035:
	s_cmp_eq_u32 s12, 44
	s_cbranch_scc0 .LBB40_2037
; %bb.2036:
	global_load_u8 v7, v[16:17], off
	s_mov_b32 s13, 0
	s_mov_b32 s15, -1
	s_wait_loadcnt 0x0
	v_lshlrev_b32_e32 v9, 23, v7
	v_cmp_ne_u32_e32 vcc_lo, 0xff, v7
	s_delay_alu instid0(VALU_DEP_2) | instskip(SKIP_2) | instid1(VALU_DEP_2)
	v_cndmask_b32_e32 v9, 0x7f800001, v9, vcc_lo
	v_cmp_ne_u32_e32 vcc_lo, 0, v7
	s_wait_xcnt 0x1
	v_cndmask_b32_e32 v18, 0x400000, v9, vcc_lo
	s_branch .LBB40_2038
.LBB40_2037:
	s_mov_b32 s13, -1
                                        ; implicit-def: $vgpr18
.LBB40_2038:
	s_mov_b32 s16, 0
.LBB40_2039:
	s_delay_alu instid0(SALU_CYCLE_1)
	s_and_b32 vcc_lo, exec_lo, s16
	s_cbranch_vccz .LBB40_2043
; %bb.2040:
	s_cmp_eq_u32 s12, 29
	s_cbranch_scc0 .LBB40_2042
; %bb.2041:
	global_load_b64 v[18:19], v[16:17], off
	s_mov_b32 s13, 0
	s_mov_b32 s15, -1
	s_mov_b32 s16, 0
	s_wait_loadcnt 0x0
	v_clz_i32_u32_e32 v7, v19
	s_delay_alu instid0(VALU_DEP_1) | instskip(NEXT) | instid1(VALU_DEP_1)
	v_min_u32_e32 v7, 32, v7
	v_lshlrev_b64_e32 v[18:19], v7, v[18:19]
	v_sub_nc_u32_e32 v7, 32, v7
	s_delay_alu instid0(VALU_DEP_2) | instskip(NEXT) | instid1(VALU_DEP_1)
	v_min_u32_e32 v9, 1, v18
	v_or_b32_e32 v9, v19, v9
	s_delay_alu instid0(VALU_DEP_1) | instskip(NEXT) | instid1(VALU_DEP_1)
	v_cvt_f32_u32_e32 v9, v9
	v_ldexp_f32 v18, v9, v7
	s_branch .LBB40_2044
.LBB40_2042:
	s_mov_b32 s13, -1
                                        ; implicit-def: $vgpr18
.LBB40_2043:
	s_mov_b32 s16, 0
.LBB40_2044:
	s_delay_alu instid0(SALU_CYCLE_1)
	s_and_b32 vcc_lo, exec_lo, s16
	s_cbranch_vccz .LBB40_2062
; %bb.2045:
	s_cmp_lt_i32 s12, 27
	s_cbranch_scc1 .LBB40_2048
; %bb.2046:
	s_cmp_gt_i32 s12, 27
	s_cbranch_scc0 .LBB40_2049
; %bb.2047:
	global_load_b32 v7, v[16:17], off
	s_mov_b32 s15, 0
	s_wait_loadcnt 0x0
	s_wait_xcnt 0x1
	v_cvt_f32_u32_e32 v18, v7
	s_branch .LBB40_2050
.LBB40_2048:
	s_mov_b32 s15, -1
                                        ; implicit-def: $vgpr18
	s_branch .LBB40_2053
.LBB40_2049:
	s_mov_b32 s15, -1
                                        ; implicit-def: $vgpr18
.LBB40_2050:
	s_delay_alu instid0(SALU_CYCLE_1)
	s_and_not1_b32 vcc_lo, exec_lo, s15
	s_cbranch_vccnz .LBB40_2052
; %bb.2051:
	global_load_u16 v7, v[16:17], off
	s_wait_loadcnt 0x0
	s_wait_xcnt 0x1
	v_cvt_f32_u32_e32 v18, v7
.LBB40_2052:
	s_mov_b32 s15, 0
.LBB40_2053:
	s_delay_alu instid0(SALU_CYCLE_1)
	s_and_not1_b32 vcc_lo, exec_lo, s15
	s_cbranch_vccnz .LBB40_2061
; %bb.2054:
	global_load_u8 v7, v[16:17], off
	s_mov_b32 s15, 0
	s_mov_b32 s16, exec_lo
	s_wait_loadcnt 0x0
	v_cmpx_lt_i16_e32 0x7f, v7
	s_xor_b32 s16, exec_lo, s16
	s_cbranch_execz .LBB40_2075
; %bb.2055:
	s_mov_b32 s15, -1
	s_mov_b32 s17, exec_lo
	v_cmpx_eq_u16_e32 0x80, v7
; %bb.2056:
	s_xor_b32 s15, exec_lo, -1
; %bb.2057:
	s_or_b32 exec_lo, exec_lo, s17
	s_delay_alu instid0(SALU_CYCLE_1)
	s_and_b32 s15, s15, exec_lo
	s_or_saveexec_b32 s16, s16
	v_mov_b32_e32 v18, 0x7f800001
	s_xor_b32 exec_lo, exec_lo, s16
	s_cbranch_execnz .LBB40_2076
.LBB40_2058:
	s_or_b32 exec_lo, exec_lo, s16
	s_and_saveexec_b32 s16, s15
	s_cbranch_execz .LBB40_2060
.LBB40_2059:
	v_and_b32_e32 v9, 0xffff, v7
	s_delay_alu instid0(VALU_DEP_1) | instskip(SKIP_1) | instid1(VALU_DEP_2)
	v_dual_lshlrev_b32 v7, 24, v7 :: v_dual_bitop2_b32 v11, 7, v9 bitop3:0x40
	v_bfe_u32 v18, v9, 3, 4
	v_and_b32_e32 v7, 0x80000000, v7
	s_delay_alu instid0(VALU_DEP_3) | instskip(NEXT) | instid1(VALU_DEP_3)
	v_clz_i32_u32_e32 v13, v11
	v_cmp_eq_u32_e32 vcc_lo, 0, v18
	s_delay_alu instid0(VALU_DEP_2) | instskip(NEXT) | instid1(VALU_DEP_1)
	v_min_u32_e32 v13, 32, v13
	v_subrev_nc_u32_e32 v15, 28, v13
	v_sub_nc_u32_e32 v13, 29, v13
	s_delay_alu instid0(VALU_DEP_2) | instskip(NEXT) | instid1(VALU_DEP_2)
	v_lshlrev_b32_e32 v9, v15, v9
	v_cndmask_b32_e32 v13, v18, v13, vcc_lo
	s_delay_alu instid0(VALU_DEP_2) | instskip(NEXT) | instid1(VALU_DEP_1)
	v_and_b32_e32 v9, 7, v9
	v_cndmask_b32_e32 v9, v11, v9, vcc_lo
	s_delay_alu instid0(VALU_DEP_3) | instskip(NEXT) | instid1(VALU_DEP_2)
	v_lshl_add_u32 v11, v13, 23, 0x3b800000
	v_lshlrev_b32_e32 v9, 20, v9
	s_delay_alu instid0(VALU_DEP_1)
	v_or3_b32 v18, v7, v11, v9
.LBB40_2060:
	s_or_b32 exec_lo, exec_lo, s16
.LBB40_2061:
	s_mov_b32 s15, -1
.LBB40_2062:
	s_mov_b32 s16, 0
.LBB40_2063:
	s_delay_alu instid0(SALU_CYCLE_1)
	s_and_b32 vcc_lo, exec_lo, s16
	s_cbranch_vccz .LBB40_2096
; %bb.2064:
	s_cmp_gt_i32 s12, 22
	s_cbranch_scc0 .LBB40_2074
; %bb.2065:
	s_cmp_lt_i32 s12, 24
	s_cbranch_scc1 .LBB40_2077
; %bb.2066:
	s_cmp_gt_i32 s12, 24
	s_cbranch_scc0 .LBB40_2078
; %bb.2067:
	global_load_u8 v7, v[16:17], off
	s_mov_b32 s15, exec_lo
	s_wait_loadcnt 0x0
	v_cmpx_lt_i16_e32 0x7f, v7
	s_xor_b32 s15, exec_lo, s15
	s_cbranch_execz .LBB40_2090
; %bb.2068:
	s_mov_b32 s14, -1
	s_mov_b32 s16, exec_lo
	v_cmpx_eq_u16_e32 0x80, v7
; %bb.2069:
	s_xor_b32 s14, exec_lo, -1
; %bb.2070:
	s_or_b32 exec_lo, exec_lo, s16
	s_delay_alu instid0(SALU_CYCLE_1)
	s_and_b32 s14, s14, exec_lo
	s_or_saveexec_b32 s15, s15
	v_mov_b32_e32 v18, 0x7f800001
	s_xor_b32 exec_lo, exec_lo, s15
	s_cbranch_execnz .LBB40_2091
.LBB40_2071:
	s_or_b32 exec_lo, exec_lo, s15
	s_and_saveexec_b32 s15, s14
	s_cbranch_execz .LBB40_2073
.LBB40_2072:
	v_and_b32_e32 v9, 0xffff, v7
	s_delay_alu instid0(VALU_DEP_1) | instskip(SKIP_1) | instid1(VALU_DEP_2)
	v_dual_lshlrev_b32 v7, 24, v7 :: v_dual_bitop2_b32 v11, 3, v9 bitop3:0x40
	v_bfe_u32 v18, v9, 2, 5
	v_and_b32_e32 v7, 0x80000000, v7
	s_delay_alu instid0(VALU_DEP_3) | instskip(NEXT) | instid1(VALU_DEP_3)
	v_clz_i32_u32_e32 v13, v11
	v_cmp_eq_u32_e32 vcc_lo, 0, v18
	s_delay_alu instid0(VALU_DEP_2) | instskip(NEXT) | instid1(VALU_DEP_1)
	v_min_u32_e32 v13, 32, v13
	v_subrev_nc_u32_e32 v15, 29, v13
	v_sub_nc_u32_e32 v13, 30, v13
	s_delay_alu instid0(VALU_DEP_2) | instskip(NEXT) | instid1(VALU_DEP_2)
	v_lshlrev_b32_e32 v9, v15, v9
	v_cndmask_b32_e32 v13, v18, v13, vcc_lo
	s_delay_alu instid0(VALU_DEP_2) | instskip(NEXT) | instid1(VALU_DEP_1)
	v_and_b32_e32 v9, 3, v9
	v_cndmask_b32_e32 v9, v11, v9, vcc_lo
	s_delay_alu instid0(VALU_DEP_3) | instskip(NEXT) | instid1(VALU_DEP_2)
	v_lshl_add_u32 v11, v13, 23, 0x37800000
	v_lshlrev_b32_e32 v9, 21, v9
	s_delay_alu instid0(VALU_DEP_1)
	v_or3_b32 v18, v7, v11, v9
.LBB40_2073:
	s_or_b32 exec_lo, exec_lo, s15
	s_mov_b32 s14, 0
	s_branch .LBB40_2079
.LBB40_2074:
	s_mov_b32 s14, -1
                                        ; implicit-def: $vgpr18
	s_branch .LBB40_2085
.LBB40_2075:
	s_or_saveexec_b32 s16, s16
	v_mov_b32_e32 v18, 0x7f800001
	s_xor_b32 exec_lo, exec_lo, s16
	s_cbranch_execz .LBB40_2058
.LBB40_2076:
	v_cmp_ne_u16_e32 vcc_lo, 0, v7
	v_mov_b32_e32 v18, 0
	s_and_not1_b32 s15, s15, exec_lo
	s_and_b32 s17, vcc_lo, exec_lo
	s_delay_alu instid0(SALU_CYCLE_1)
	s_or_b32 s15, s15, s17
	s_or_b32 exec_lo, exec_lo, s16
	s_and_saveexec_b32 s16, s15
	s_cbranch_execnz .LBB40_2059
	s_branch .LBB40_2060
.LBB40_2077:
	s_mov_b32 s14, -1
                                        ; implicit-def: $vgpr18
	s_branch .LBB40_2082
.LBB40_2078:
	s_mov_b32 s14, -1
                                        ; implicit-def: $vgpr18
.LBB40_2079:
	s_delay_alu instid0(SALU_CYCLE_1)
	s_and_b32 vcc_lo, exec_lo, s14
	s_cbranch_vccz .LBB40_2081
; %bb.2080:
	global_load_u8 v7, v[16:17], off
	s_wait_loadcnt 0x0
	v_lshlrev_b32_e32 v7, 24, v7
	s_delay_alu instid0(VALU_DEP_1) | instskip(NEXT) | instid1(VALU_DEP_1)
	v_and_b32_e32 v9, 0x7f000000, v7
	v_clz_i32_u32_e32 v11, v9
	v_add_nc_u32_e32 v15, 0x1000000, v9
	v_cmp_ne_u32_e32 vcc_lo, 0, v9
	s_delay_alu instid0(VALU_DEP_3) | instskip(NEXT) | instid1(VALU_DEP_1)
	v_min_u32_e32 v11, 32, v11
	v_sub_nc_u32_e64 v11, v11, 4 clamp
	s_delay_alu instid0(VALU_DEP_1) | instskip(NEXT) | instid1(VALU_DEP_1)
	v_dual_lshlrev_b32 v13, v11, v9 :: v_dual_lshlrev_b32 v11, 23, v11
	v_lshrrev_b32_e32 v13, 4, v13
	s_delay_alu instid0(VALU_DEP_1) | instskip(SKIP_1) | instid1(VALU_DEP_2)
	v_sub_nc_u32_e32 v11, v13, v11
	v_ashrrev_i32_e32 v13, 8, v15
	v_add_nc_u32_e32 v11, 0x3c000000, v11
	s_delay_alu instid0(VALU_DEP_1) | instskip(NEXT) | instid1(VALU_DEP_1)
	v_and_or_b32 v11, 0x7f800000, v13, v11
	v_cndmask_b32_e32 v9, 0, v11, vcc_lo
	s_wait_xcnt 0x1
	s_delay_alu instid0(VALU_DEP_1)
	v_and_or_b32 v18, 0x80000000, v7, v9
.LBB40_2081:
	s_mov_b32 s14, 0
.LBB40_2082:
	s_delay_alu instid0(SALU_CYCLE_1)
	s_and_not1_b32 vcc_lo, exec_lo, s14
	s_cbranch_vccnz .LBB40_2084
; %bb.2083:
	global_load_u8 v7, v[16:17], off
	s_wait_loadcnt 0x0
	v_lshlrev_b32_e32 v9, 25, v7
	v_lshlrev_b16 v7, 8, v7
	s_delay_alu instid0(VALU_DEP_1) | instskip(SKIP_1) | instid1(VALU_DEP_2)
	v_and_or_b32 v13, 0x7f00, v7, 0.5
	v_bfe_i32 v7, v7, 0, 16
	v_add_f32_e32 v13, -0.5, v13
	v_lshrrev_b32_e32 v11, 4, v9
	v_cmp_gt_u32_e32 vcc_lo, 0x8000000, v9
	s_delay_alu instid0(VALU_DEP_2) | instskip(NEXT) | instid1(VALU_DEP_1)
	v_or_b32_e32 v11, 0x70000000, v11
	v_mul_f32_e32 v11, 0x7800000, v11
	s_delay_alu instid0(VALU_DEP_1) | instskip(SKIP_1) | instid1(VALU_DEP_1)
	v_cndmask_b32_e32 v9, v11, v13, vcc_lo
	s_wait_xcnt 0x1
	v_and_or_b32 v18, 0x80000000, v7, v9
.LBB40_2084:
	s_mov_b32 s14, 0
	s_mov_b32 s15, -1
.LBB40_2085:
	s_and_not1_b32 vcc_lo, exec_lo, s14
	s_mov_b32 s14, 0
	s_cbranch_vccnz .LBB40_2096
; %bb.2086:
	s_cmp_gt_i32 s12, 14
	s_cbranch_scc0 .LBB40_2089
; %bb.2087:
	s_cmp_eq_u32 s12, 15
	s_cbranch_scc0 .LBB40_2092
; %bb.2088:
	global_load_u16 v7, v[16:17], off
	s_mov_b32 s13, 0
	s_mov_b32 s15, -1
	s_wait_loadcnt 0x0
	s_wait_xcnt 0x1
	v_lshlrev_b32_e32 v18, 16, v7
	s_branch .LBB40_2094
.LBB40_2089:
	s_mov_b32 s14, -1
	s_branch .LBB40_2093
.LBB40_2090:
	s_or_saveexec_b32 s15, s15
	v_mov_b32_e32 v18, 0x7f800001
	s_xor_b32 exec_lo, exec_lo, s15
	s_cbranch_execz .LBB40_2071
.LBB40_2091:
	v_cmp_ne_u16_e32 vcc_lo, 0, v7
	v_mov_b32_e32 v18, 0
	s_and_not1_b32 s14, s14, exec_lo
	s_and_b32 s16, vcc_lo, exec_lo
	s_delay_alu instid0(SALU_CYCLE_1)
	s_or_b32 s14, s14, s16
	s_or_b32 exec_lo, exec_lo, s15
	s_and_saveexec_b32 s15, s14
	s_cbranch_execnz .LBB40_2072
	s_branch .LBB40_2073
.LBB40_2092:
	s_mov_b32 s13, -1
.LBB40_2093:
                                        ; implicit-def: $vgpr18
.LBB40_2094:
	s_and_b32 vcc_lo, exec_lo, s14
	s_mov_b32 s14, 0
	s_cbranch_vccz .LBB40_2096
; %bb.2095:
	s_cmp_lg_u32 s12, 11
	s_mov_b32 s14, -1
	s_cselect_b32 s13, -1, 0
.LBB40_2096:
	s_delay_alu instid0(SALU_CYCLE_1)
	s_and_b32 vcc_lo, exec_lo, s13
	s_cbranch_vccnz .LBB40_2161
; %bb.2097:
	s_and_not1_b32 vcc_lo, exec_lo, s14
	s_cbranch_vccnz .LBB40_2099
.LBB40_2098:
	global_load_u8 v7, v[16:17], off
	s_mov_b32 s15, -1
	s_wait_loadcnt 0x0
	v_cmp_ne_u16_e32 vcc_lo, 0, v7
	s_wait_xcnt 0x1
	v_cndmask_b32_e64 v18, 0, 1.0, vcc_lo
.LBB40_2099:
	s_mov_b32 s13, 0
.LBB40_2100:
	s_delay_alu instid0(SALU_CYCLE_1)
	s_and_b32 vcc_lo, exec_lo, s13
	s_cbranch_vccz .LBB40_2149
; %bb.2101:
	s_cmp_lt_i32 s12, 5
	s_cbranch_scc1 .LBB40_2106
; %bb.2102:
	s_cmp_lt_i32 s12, 8
	s_cbranch_scc1 .LBB40_2107
	;; [unrolled: 3-line block ×3, first 2 shown]
; %bb.2104:
	s_cmp_gt_i32 s12, 9
	s_cbranch_scc0 .LBB40_2109
; %bb.2105:
	global_load_b64 v[18:19], v[16:17], off
	s_mov_b32 s13, 0
	s_wait_loadcnt 0x0
	v_cvt_f32_f64_e32 v18, v[18:19]
	s_branch .LBB40_2110
.LBB40_2106:
	s_mov_b32 s13, -1
                                        ; implicit-def: $vgpr18
	s_branch .LBB40_2128
.LBB40_2107:
	s_mov_b32 s13, -1
                                        ; implicit-def: $vgpr18
	s_branch .LBB40_2116
.LBB40_2108:
	s_mov_b32 s13, -1
                                        ; implicit-def: $vgpr18
	s_branch .LBB40_2113
.LBB40_2109:
	s_mov_b32 s13, -1
                                        ; implicit-def: $vgpr18
.LBB40_2110:
	s_delay_alu instid0(SALU_CYCLE_1)
	s_and_not1_b32 vcc_lo, exec_lo, s13
	s_cbranch_vccnz .LBB40_2112
; %bb.2111:
	global_load_b32 v18, v[16:17], off
.LBB40_2112:
	s_mov_b32 s13, 0
.LBB40_2113:
	s_delay_alu instid0(SALU_CYCLE_1)
	s_and_not1_b32 vcc_lo, exec_lo, s13
	s_cbranch_vccnz .LBB40_2115
; %bb.2114:
	global_load_b32 v7, v[16:17], off
	s_wait_loadcnt 0x0
	s_wait_xcnt 0x1
	v_cvt_f32_f16_e32 v18, v7
.LBB40_2115:
	s_mov_b32 s13, 0
.LBB40_2116:
	s_delay_alu instid0(SALU_CYCLE_1)
	s_and_not1_b32 vcc_lo, exec_lo, s13
	s_cbranch_vccnz .LBB40_2127
; %bb.2117:
	s_cmp_lt_i32 s12, 6
	s_cbranch_scc1 .LBB40_2120
; %bb.2118:
	s_cmp_gt_i32 s12, 6
	s_cbranch_scc0 .LBB40_2121
; %bb.2119:
	s_wait_loadcnt 0x0
	global_load_b64 v[18:19], v[16:17], off
	s_mov_b32 s13, 0
	s_wait_loadcnt 0x0
	v_cvt_f32_f64_e32 v18, v[18:19]
	s_branch .LBB40_2122
.LBB40_2120:
	s_mov_b32 s13, -1
                                        ; implicit-def: $vgpr18
	s_branch .LBB40_2125
.LBB40_2121:
	s_mov_b32 s13, -1
                                        ; implicit-def: $vgpr18
.LBB40_2122:
	s_delay_alu instid0(SALU_CYCLE_1)
	s_and_not1_b32 vcc_lo, exec_lo, s13
	s_cbranch_vccnz .LBB40_2124
; %bb.2123:
	s_wait_loadcnt 0x0
	global_load_b32 v18, v[16:17], off
.LBB40_2124:
	s_mov_b32 s13, 0
.LBB40_2125:
	s_delay_alu instid0(SALU_CYCLE_1)
	s_and_not1_b32 vcc_lo, exec_lo, s13
	s_cbranch_vccnz .LBB40_2127
; %bb.2126:
	global_load_u16 v7, v[16:17], off
	s_wait_loadcnt 0x0
	s_wait_xcnt 0x1
	v_cvt_f32_f16_e32 v18, v7
.LBB40_2127:
	s_mov_b32 s13, 0
.LBB40_2128:
	s_delay_alu instid0(SALU_CYCLE_1)
	s_and_not1_b32 vcc_lo, exec_lo, s13
	s_cbranch_vccnz .LBB40_2148
; %bb.2129:
	s_cmp_lt_i32 s12, 2
	s_cbranch_scc1 .LBB40_2133
; %bb.2130:
	s_cmp_lt_i32 s12, 3
	s_cbranch_scc1 .LBB40_2134
; %bb.2131:
	s_cmp_gt_i32 s12, 3
	s_cbranch_scc0 .LBB40_2135
; %bb.2132:
	s_wait_loadcnt 0x0
	global_load_b64 v[18:19], v[16:17], off
	s_mov_b32 s13, 0
	s_wait_loadcnt 0x0
	v_xor_b32_e32 v7, v18, v19
	v_cls_i32_e32 v9, v19
	s_delay_alu instid0(VALU_DEP_2) | instskip(NEXT) | instid1(VALU_DEP_1)
	v_ashrrev_i32_e32 v7, 31, v7
	v_add_nc_u32_e32 v7, 32, v7
	s_delay_alu instid0(VALU_DEP_1) | instskip(NEXT) | instid1(VALU_DEP_1)
	v_add_min_u32_e64 v7, v9, -1, v7
	v_lshlrev_b64_e32 v[18:19], v7, v[18:19]
	v_sub_nc_u32_e32 v7, 32, v7
	s_delay_alu instid0(VALU_DEP_2) | instskip(NEXT) | instid1(VALU_DEP_1)
	v_min_u32_e32 v9, 1, v18
	v_or_b32_e32 v9, v19, v9
	s_delay_alu instid0(VALU_DEP_1) | instskip(NEXT) | instid1(VALU_DEP_1)
	v_cvt_f32_i32_e32 v9, v9
	v_ldexp_f32 v18, v9, v7
	s_branch .LBB40_2136
.LBB40_2133:
	s_mov_b32 s13, -1
                                        ; implicit-def: $vgpr18
	s_branch .LBB40_2142
.LBB40_2134:
	s_mov_b32 s13, -1
                                        ; implicit-def: $vgpr18
	s_branch .LBB40_2139
.LBB40_2135:
	s_mov_b32 s13, -1
                                        ; implicit-def: $vgpr18
.LBB40_2136:
	s_delay_alu instid0(SALU_CYCLE_1)
	s_and_not1_b32 vcc_lo, exec_lo, s13
	s_cbranch_vccnz .LBB40_2138
; %bb.2137:
	global_load_b32 v7, v[16:17], off
	s_wait_loadcnt 0x0
	s_wait_xcnt 0x1
	v_cvt_f32_i32_e32 v18, v7
.LBB40_2138:
	s_mov_b32 s13, 0
.LBB40_2139:
	s_delay_alu instid0(SALU_CYCLE_1)
	s_and_not1_b32 vcc_lo, exec_lo, s13
	s_cbranch_vccnz .LBB40_2141
; %bb.2140:
	global_load_i16 v7, v[16:17], off
	s_wait_loadcnt 0x0
	s_wait_xcnt 0x1
	v_cvt_f32_i32_e32 v18, v7
.LBB40_2141:
	s_mov_b32 s13, 0
.LBB40_2142:
	s_delay_alu instid0(SALU_CYCLE_1)
	s_and_not1_b32 vcc_lo, exec_lo, s13
	s_cbranch_vccnz .LBB40_2148
; %bb.2143:
	s_cmp_gt_i32 s12, 0
	s_mov_b32 s13, 0
	s_cbranch_scc0 .LBB40_2145
; %bb.2144:
	global_load_i8 v7, v[16:17], off
	s_wait_loadcnt 0x0
	s_wait_xcnt 0x1
	v_cvt_f32_i32_e32 v18, v7
	s_branch .LBB40_2146
.LBB40_2145:
	s_mov_b32 s13, -1
                                        ; implicit-def: $vgpr18
.LBB40_2146:
	s_delay_alu instid0(SALU_CYCLE_1)
	s_and_not1_b32 vcc_lo, exec_lo, s13
	s_cbranch_vccnz .LBB40_2148
; %bb.2147:
	global_load_u8 v7, v[16:17], off
	s_wait_loadcnt 0x0
	s_wait_xcnt 0x1
	v_cvt_f32_ubyte0_e32 v18, v7
.LBB40_2148:
	s_mov_b32 s15, -1
.LBB40_2149:
	s_delay_alu instid0(SALU_CYCLE_1)
	s_and_not1_b32 vcc_lo, exec_lo, s15
	s_cbranch_vccnz .LBB40_3106
; %bb.2150:
	v_mov_b32_e32 v15, 0
	s_cmp_lt_i32 s11, 11
	s_delay_alu instid0(VALU_DEP_1)
	v_add_nc_u64_e32 v[14:15], s[6:7], v[14:15]
	s_cbranch_scc1 .LBB40_2157
; %bb.2151:
	s_cmp_gt_i32 s11, 25
	s_mov_b32 s14, 0
	s_cbranch_scc0 .LBB40_2158
; %bb.2152:
	s_cmp_gt_i32 s11, 28
	s_cbranch_scc0 .LBB40_2159
; %bb.2153:
	s_cmp_gt_i32 s11, 43
	;; [unrolled: 3-line block ×3, first 2 shown]
	s_cbranch_scc0 .LBB40_2162
; %bb.2155:
	s_cmp_eq_u32 s11, 46
	s_mov_b32 s16, 0
	s_cbranch_scc0 .LBB40_2163
; %bb.2156:
	global_load_b32 v7, v[14:15], off
	s_mov_b32 s13, 0
	s_mov_b32 s15, -1
	s_wait_loadcnt 0x0
	s_wait_xcnt 0x1
	v_lshlrev_b32_e32 v16, 16, v7
	s_branch .LBB40_2165
.LBB40_2157:
	s_mov_b32 s13, -1
	s_mov_b32 s15, 0
                                        ; implicit-def: $vgpr16
	s_branch .LBB40_2231
.LBB40_2158:
	s_mov_b32 s16, -1
	s_mov_b32 s15, 0
	s_mov_b32 s13, 0
                                        ; implicit-def: $vgpr16
	s_branch .LBB40_2194
.LBB40_2159:
	s_mov_b32 s16, -1
	s_mov_b32 s15, 0
	s_mov_b32 s13, 0
                                        ; implicit-def: $vgpr16
	s_branch .LBB40_2175
.LBB40_2160:
	s_mov_b32 s16, -1
	s_mov_b32 s15, 0
	s_mov_b32 s13, 0
                                        ; implicit-def: $vgpr16
	s_branch .LBB40_2170
.LBB40_2161:
	s_or_b32 s10, s10, exec_lo
	s_trap 2
	s_cbranch_execz .LBB40_2098
	s_branch .LBB40_2099
.LBB40_2162:
	s_mov_b32 s16, -1
	s_mov_b32 s15, 0
	s_mov_b32 s13, 0
	s_branch .LBB40_2164
.LBB40_2163:
	s_mov_b32 s13, -1
	s_mov_b32 s15, 0
.LBB40_2164:
                                        ; implicit-def: $vgpr16
.LBB40_2165:
	s_and_b32 vcc_lo, exec_lo, s16
	s_cbranch_vccz .LBB40_2169
; %bb.2166:
	s_cmp_eq_u32 s11, 44
	s_cbranch_scc0 .LBB40_2168
; %bb.2167:
	global_load_u8 v7, v[14:15], off
	s_mov_b32 s13, 0
	s_mov_b32 s15, -1
	s_wait_loadcnt 0x0
	v_lshlrev_b32_e32 v9, 23, v7
	v_cmp_ne_u32_e32 vcc_lo, 0xff, v7
	s_delay_alu instid0(VALU_DEP_2) | instskip(SKIP_2) | instid1(VALU_DEP_2)
	v_cndmask_b32_e32 v9, 0x7f800001, v9, vcc_lo
	v_cmp_ne_u32_e32 vcc_lo, 0, v7
	s_wait_xcnt 0x1
	v_cndmask_b32_e32 v16, 0x400000, v9, vcc_lo
	s_branch .LBB40_2169
.LBB40_2168:
	s_mov_b32 s13, -1
                                        ; implicit-def: $vgpr16
.LBB40_2169:
	s_mov_b32 s16, 0
.LBB40_2170:
	s_delay_alu instid0(SALU_CYCLE_1)
	s_and_b32 vcc_lo, exec_lo, s16
	s_cbranch_vccz .LBB40_2174
; %bb.2171:
	s_cmp_eq_u32 s11, 29
	s_cbranch_scc0 .LBB40_2173
; %bb.2172:
	global_load_b64 v[16:17], v[14:15], off
	s_mov_b32 s13, 0
	s_mov_b32 s15, -1
	s_mov_b32 s16, 0
	s_wait_loadcnt 0x0
	v_clz_i32_u32_e32 v7, v17
	s_delay_alu instid0(VALU_DEP_1) | instskip(NEXT) | instid1(VALU_DEP_1)
	v_min_u32_e32 v7, 32, v7
	v_lshlrev_b64_e32 v[16:17], v7, v[16:17]
	v_sub_nc_u32_e32 v7, 32, v7
	s_delay_alu instid0(VALU_DEP_2) | instskip(NEXT) | instid1(VALU_DEP_1)
	v_min_u32_e32 v9, 1, v16
	v_or_b32_e32 v9, v17, v9
	s_delay_alu instid0(VALU_DEP_1) | instskip(NEXT) | instid1(VALU_DEP_1)
	v_cvt_f32_u32_e32 v9, v9
	v_ldexp_f32 v16, v9, v7
	s_branch .LBB40_2175
.LBB40_2173:
	s_mov_b32 s13, -1
                                        ; implicit-def: $vgpr16
.LBB40_2174:
	s_mov_b32 s16, 0
.LBB40_2175:
	s_delay_alu instid0(SALU_CYCLE_1)
	s_and_b32 vcc_lo, exec_lo, s16
	s_cbranch_vccz .LBB40_2193
; %bb.2176:
	s_cmp_lt_i32 s11, 27
	s_cbranch_scc1 .LBB40_2179
; %bb.2177:
	s_cmp_gt_i32 s11, 27
	s_cbranch_scc0 .LBB40_2180
; %bb.2178:
	global_load_b32 v7, v[14:15], off
	s_mov_b32 s15, 0
	s_wait_loadcnt 0x0
	s_wait_xcnt 0x1
	v_cvt_f32_u32_e32 v16, v7
	s_branch .LBB40_2181
.LBB40_2179:
	s_mov_b32 s15, -1
                                        ; implicit-def: $vgpr16
	s_branch .LBB40_2184
.LBB40_2180:
	s_mov_b32 s15, -1
                                        ; implicit-def: $vgpr16
.LBB40_2181:
	s_delay_alu instid0(SALU_CYCLE_1)
	s_and_not1_b32 vcc_lo, exec_lo, s15
	s_cbranch_vccnz .LBB40_2183
; %bb.2182:
	global_load_u16 v7, v[14:15], off
	s_wait_loadcnt 0x0
	s_wait_xcnt 0x1
	v_cvt_f32_u32_e32 v16, v7
.LBB40_2183:
	s_mov_b32 s15, 0
.LBB40_2184:
	s_delay_alu instid0(SALU_CYCLE_1)
	s_and_not1_b32 vcc_lo, exec_lo, s15
	s_cbranch_vccnz .LBB40_2192
; %bb.2185:
	global_load_u8 v7, v[14:15], off
	s_mov_b32 s15, 0
	s_mov_b32 s16, exec_lo
	s_wait_loadcnt 0x0
	v_cmpx_lt_i16_e32 0x7f, v7
	s_xor_b32 s16, exec_lo, s16
	s_cbranch_execz .LBB40_2206
; %bb.2186:
	s_mov_b32 s15, -1
	s_mov_b32 s17, exec_lo
	v_cmpx_eq_u16_e32 0x80, v7
; %bb.2187:
	s_xor_b32 s15, exec_lo, -1
; %bb.2188:
	s_or_b32 exec_lo, exec_lo, s17
	s_delay_alu instid0(SALU_CYCLE_1)
	s_and_b32 s15, s15, exec_lo
	s_or_saveexec_b32 s16, s16
	v_mov_b32_e32 v16, 0x7f800001
	s_xor_b32 exec_lo, exec_lo, s16
	s_cbranch_execnz .LBB40_2207
.LBB40_2189:
	s_or_b32 exec_lo, exec_lo, s16
	s_and_saveexec_b32 s16, s15
	s_cbranch_execz .LBB40_2191
.LBB40_2190:
	v_and_b32_e32 v9, 0xffff, v7
	s_delay_alu instid0(VALU_DEP_1) | instskip(SKIP_1) | instid1(VALU_DEP_2)
	v_dual_lshlrev_b32 v7, 24, v7 :: v_dual_bitop2_b32 v11, 7, v9 bitop3:0x40
	v_bfe_u32 v17, v9, 3, 4
	v_and_b32_e32 v7, 0x80000000, v7
	s_delay_alu instid0(VALU_DEP_3) | instskip(NEXT) | instid1(VALU_DEP_3)
	v_clz_i32_u32_e32 v13, v11
	v_cmp_eq_u32_e32 vcc_lo, 0, v17
	s_delay_alu instid0(VALU_DEP_2) | instskip(NEXT) | instid1(VALU_DEP_1)
	v_min_u32_e32 v13, 32, v13
	v_subrev_nc_u32_e32 v16, 28, v13
	v_sub_nc_u32_e32 v13, 29, v13
	s_delay_alu instid0(VALU_DEP_2) | instskip(NEXT) | instid1(VALU_DEP_2)
	v_lshlrev_b32_e32 v9, v16, v9
	v_cndmask_b32_e32 v13, v17, v13, vcc_lo
	s_delay_alu instid0(VALU_DEP_2) | instskip(NEXT) | instid1(VALU_DEP_1)
	v_and_b32_e32 v9, 7, v9
	v_cndmask_b32_e32 v9, v11, v9, vcc_lo
	s_delay_alu instid0(VALU_DEP_3) | instskip(NEXT) | instid1(VALU_DEP_2)
	v_lshl_add_u32 v11, v13, 23, 0x3b800000
	v_lshlrev_b32_e32 v9, 20, v9
	s_delay_alu instid0(VALU_DEP_1)
	v_or3_b32 v16, v7, v11, v9
.LBB40_2191:
	s_or_b32 exec_lo, exec_lo, s16
.LBB40_2192:
	s_mov_b32 s15, -1
.LBB40_2193:
	s_mov_b32 s16, 0
.LBB40_2194:
	s_delay_alu instid0(SALU_CYCLE_1)
	s_and_b32 vcc_lo, exec_lo, s16
	s_cbranch_vccz .LBB40_2227
; %bb.2195:
	s_cmp_gt_i32 s11, 22
	s_cbranch_scc0 .LBB40_2205
; %bb.2196:
	s_cmp_lt_i32 s11, 24
	s_cbranch_scc1 .LBB40_2208
; %bb.2197:
	s_cmp_gt_i32 s11, 24
	s_cbranch_scc0 .LBB40_2209
; %bb.2198:
	global_load_u8 v7, v[14:15], off
	s_mov_b32 s15, exec_lo
	s_wait_loadcnt 0x0
	v_cmpx_lt_i16_e32 0x7f, v7
	s_xor_b32 s15, exec_lo, s15
	s_cbranch_execz .LBB40_2221
; %bb.2199:
	s_mov_b32 s14, -1
	s_mov_b32 s16, exec_lo
	v_cmpx_eq_u16_e32 0x80, v7
; %bb.2200:
	s_xor_b32 s14, exec_lo, -1
; %bb.2201:
	s_or_b32 exec_lo, exec_lo, s16
	s_delay_alu instid0(SALU_CYCLE_1)
	s_and_b32 s14, s14, exec_lo
	s_or_saveexec_b32 s15, s15
	v_mov_b32_e32 v16, 0x7f800001
	s_xor_b32 exec_lo, exec_lo, s15
	s_cbranch_execnz .LBB40_2222
.LBB40_2202:
	s_or_b32 exec_lo, exec_lo, s15
	s_and_saveexec_b32 s15, s14
	s_cbranch_execz .LBB40_2204
.LBB40_2203:
	v_and_b32_e32 v9, 0xffff, v7
	s_delay_alu instid0(VALU_DEP_1) | instskip(SKIP_1) | instid1(VALU_DEP_2)
	v_dual_lshlrev_b32 v7, 24, v7 :: v_dual_bitop2_b32 v11, 3, v9 bitop3:0x40
	v_bfe_u32 v17, v9, 2, 5
	v_and_b32_e32 v7, 0x80000000, v7
	s_delay_alu instid0(VALU_DEP_3) | instskip(NEXT) | instid1(VALU_DEP_3)
	v_clz_i32_u32_e32 v13, v11
	v_cmp_eq_u32_e32 vcc_lo, 0, v17
	s_delay_alu instid0(VALU_DEP_2) | instskip(NEXT) | instid1(VALU_DEP_1)
	v_min_u32_e32 v13, 32, v13
	v_subrev_nc_u32_e32 v16, 29, v13
	v_sub_nc_u32_e32 v13, 30, v13
	s_delay_alu instid0(VALU_DEP_2) | instskip(NEXT) | instid1(VALU_DEP_2)
	v_lshlrev_b32_e32 v9, v16, v9
	v_cndmask_b32_e32 v13, v17, v13, vcc_lo
	s_delay_alu instid0(VALU_DEP_2) | instskip(NEXT) | instid1(VALU_DEP_1)
	v_and_b32_e32 v9, 3, v9
	v_cndmask_b32_e32 v9, v11, v9, vcc_lo
	s_delay_alu instid0(VALU_DEP_3) | instskip(NEXT) | instid1(VALU_DEP_2)
	v_lshl_add_u32 v11, v13, 23, 0x37800000
	v_lshlrev_b32_e32 v9, 21, v9
	s_delay_alu instid0(VALU_DEP_1)
	v_or3_b32 v16, v7, v11, v9
.LBB40_2204:
	s_or_b32 exec_lo, exec_lo, s15
	s_mov_b32 s14, 0
	s_branch .LBB40_2210
.LBB40_2205:
	s_mov_b32 s14, -1
                                        ; implicit-def: $vgpr16
	s_branch .LBB40_2216
.LBB40_2206:
	s_or_saveexec_b32 s16, s16
	v_mov_b32_e32 v16, 0x7f800001
	s_xor_b32 exec_lo, exec_lo, s16
	s_cbranch_execz .LBB40_2189
.LBB40_2207:
	v_cmp_ne_u16_e32 vcc_lo, 0, v7
	v_mov_b32_e32 v16, 0
	s_and_not1_b32 s15, s15, exec_lo
	s_and_b32 s17, vcc_lo, exec_lo
	s_delay_alu instid0(SALU_CYCLE_1)
	s_or_b32 s15, s15, s17
	s_or_b32 exec_lo, exec_lo, s16
	s_and_saveexec_b32 s16, s15
	s_cbranch_execnz .LBB40_2190
	s_branch .LBB40_2191
.LBB40_2208:
	s_mov_b32 s14, -1
                                        ; implicit-def: $vgpr16
	s_branch .LBB40_2213
.LBB40_2209:
	s_mov_b32 s14, -1
                                        ; implicit-def: $vgpr16
.LBB40_2210:
	s_delay_alu instid0(SALU_CYCLE_1)
	s_and_b32 vcc_lo, exec_lo, s14
	s_cbranch_vccz .LBB40_2212
; %bb.2211:
	global_load_u8 v7, v[14:15], off
	s_wait_loadcnt 0x0
	v_lshlrev_b32_e32 v7, 24, v7
	s_delay_alu instid0(VALU_DEP_1) | instskip(NEXT) | instid1(VALU_DEP_1)
	v_and_b32_e32 v9, 0x7f000000, v7
	v_clz_i32_u32_e32 v11, v9
	v_cmp_ne_u32_e32 vcc_lo, 0, v9
	s_wait_xcnt 0x1
	v_add_nc_u32_e32 v16, 0x1000000, v9
	s_delay_alu instid0(VALU_DEP_3) | instskip(NEXT) | instid1(VALU_DEP_1)
	v_min_u32_e32 v11, 32, v11
	v_sub_nc_u32_e64 v11, v11, 4 clamp
	s_delay_alu instid0(VALU_DEP_1) | instskip(NEXT) | instid1(VALU_DEP_1)
	v_dual_lshlrev_b32 v13, v11, v9 :: v_dual_lshlrev_b32 v11, 23, v11
	v_lshrrev_b32_e32 v13, 4, v13
	s_delay_alu instid0(VALU_DEP_1) | instskip(NEXT) | instid1(VALU_DEP_1)
	v_dual_sub_nc_u32 v11, v13, v11 :: v_dual_ashrrev_i32 v13, 8, v16
	v_add_nc_u32_e32 v11, 0x3c000000, v11
	s_delay_alu instid0(VALU_DEP_1) | instskip(NEXT) | instid1(VALU_DEP_1)
	v_and_or_b32 v11, 0x7f800000, v13, v11
	v_cndmask_b32_e32 v9, 0, v11, vcc_lo
	s_delay_alu instid0(VALU_DEP_1)
	v_and_or_b32 v16, 0x80000000, v7, v9
.LBB40_2212:
	s_mov_b32 s14, 0
.LBB40_2213:
	s_delay_alu instid0(SALU_CYCLE_1)
	s_and_not1_b32 vcc_lo, exec_lo, s14
	s_cbranch_vccnz .LBB40_2215
; %bb.2214:
	global_load_u8 v7, v[14:15], off
	s_wait_loadcnt 0x0
	v_lshlrev_b32_e32 v9, 25, v7
	v_lshlrev_b16 v7, 8, v7
	s_delay_alu instid0(VALU_DEP_1) | instskip(SKIP_1) | instid1(VALU_DEP_2)
	v_and_or_b32 v13, 0x7f00, v7, 0.5
	v_bfe_i32 v7, v7, 0, 16
	v_add_f32_e32 v13, -0.5, v13
	v_lshrrev_b32_e32 v11, 4, v9
	v_cmp_gt_u32_e32 vcc_lo, 0x8000000, v9
	s_delay_alu instid0(VALU_DEP_2) | instskip(NEXT) | instid1(VALU_DEP_1)
	v_or_b32_e32 v11, 0x70000000, v11
	v_mul_f32_e32 v11, 0x7800000, v11
	s_delay_alu instid0(VALU_DEP_1) | instskip(SKIP_1) | instid1(VALU_DEP_1)
	v_cndmask_b32_e32 v9, v11, v13, vcc_lo
	s_wait_xcnt 0x1
	v_and_or_b32 v16, 0x80000000, v7, v9
.LBB40_2215:
	s_mov_b32 s14, 0
	s_mov_b32 s15, -1
.LBB40_2216:
	s_and_not1_b32 vcc_lo, exec_lo, s14
	s_mov_b32 s14, 0
	s_cbranch_vccnz .LBB40_2227
; %bb.2217:
	s_cmp_gt_i32 s11, 14
	s_cbranch_scc0 .LBB40_2220
; %bb.2218:
	s_cmp_eq_u32 s11, 15
	s_cbranch_scc0 .LBB40_2223
; %bb.2219:
	global_load_u16 v7, v[14:15], off
	s_mov_b32 s13, 0
	s_mov_b32 s15, -1
	s_wait_loadcnt 0x0
	s_wait_xcnt 0x1
	v_lshlrev_b32_e32 v16, 16, v7
	s_branch .LBB40_2225
.LBB40_2220:
	s_mov_b32 s14, -1
	s_branch .LBB40_2224
.LBB40_2221:
	s_or_saveexec_b32 s15, s15
	v_mov_b32_e32 v16, 0x7f800001
	s_xor_b32 exec_lo, exec_lo, s15
	s_cbranch_execz .LBB40_2202
.LBB40_2222:
	v_cmp_ne_u16_e32 vcc_lo, 0, v7
	v_mov_b32_e32 v16, 0
	s_and_not1_b32 s14, s14, exec_lo
	s_and_b32 s16, vcc_lo, exec_lo
	s_delay_alu instid0(SALU_CYCLE_1)
	s_or_b32 s14, s14, s16
	s_or_b32 exec_lo, exec_lo, s15
	s_and_saveexec_b32 s15, s14
	s_cbranch_execnz .LBB40_2203
	s_branch .LBB40_2204
.LBB40_2223:
	s_mov_b32 s13, -1
.LBB40_2224:
                                        ; implicit-def: $vgpr16
.LBB40_2225:
	s_and_b32 vcc_lo, exec_lo, s14
	s_mov_b32 s14, 0
	s_cbranch_vccz .LBB40_2227
; %bb.2226:
	s_cmp_lg_u32 s11, 11
	s_mov_b32 s14, -1
	s_cselect_b32 s13, -1, 0
.LBB40_2227:
	s_delay_alu instid0(SALU_CYCLE_1)
	s_and_b32 vcc_lo, exec_lo, s13
	s_cbranch_vccnz .LBB40_2292
; %bb.2228:
	s_and_not1_b32 vcc_lo, exec_lo, s14
	s_cbranch_vccnz .LBB40_2230
.LBB40_2229:
	global_load_u8 v7, v[14:15], off
	s_mov_b32 s15, -1
	s_wait_loadcnt 0x0
	v_cmp_ne_u16_e32 vcc_lo, 0, v7
	s_wait_xcnt 0x1
	v_cndmask_b32_e64 v16, 0, 1.0, vcc_lo
.LBB40_2230:
	s_mov_b32 s13, 0
.LBB40_2231:
	s_delay_alu instid0(SALU_CYCLE_1)
	s_and_b32 vcc_lo, exec_lo, s13
	s_cbranch_vccz .LBB40_2280
; %bb.2232:
	s_cmp_lt_i32 s11, 5
	s_cbranch_scc1 .LBB40_2237
; %bb.2233:
	s_cmp_lt_i32 s11, 8
	s_cbranch_scc1 .LBB40_2238
	;; [unrolled: 3-line block ×3, first 2 shown]
; %bb.2235:
	s_cmp_gt_i32 s11, 9
	s_cbranch_scc0 .LBB40_2240
; %bb.2236:
	global_load_b64 v[16:17], v[14:15], off
	s_mov_b32 s13, 0
	s_wait_loadcnt 0x0
	v_cvt_f32_f64_e32 v16, v[16:17]
	s_branch .LBB40_2241
.LBB40_2237:
	s_mov_b32 s13, -1
                                        ; implicit-def: $vgpr16
	s_branch .LBB40_2259
.LBB40_2238:
	s_mov_b32 s13, -1
                                        ; implicit-def: $vgpr16
	s_branch .LBB40_2247
.LBB40_2239:
	s_mov_b32 s13, -1
                                        ; implicit-def: $vgpr16
	s_branch .LBB40_2244
.LBB40_2240:
	s_mov_b32 s13, -1
                                        ; implicit-def: $vgpr16
.LBB40_2241:
	s_delay_alu instid0(SALU_CYCLE_1)
	s_and_not1_b32 vcc_lo, exec_lo, s13
	s_cbranch_vccnz .LBB40_2243
; %bb.2242:
	global_load_b32 v16, v[14:15], off
.LBB40_2243:
	s_mov_b32 s13, 0
.LBB40_2244:
	s_delay_alu instid0(SALU_CYCLE_1)
	s_and_not1_b32 vcc_lo, exec_lo, s13
	s_cbranch_vccnz .LBB40_2246
; %bb.2245:
	global_load_b32 v7, v[14:15], off
	s_wait_loadcnt 0x0
	s_wait_xcnt 0x1
	v_cvt_f32_f16_e32 v16, v7
.LBB40_2246:
	s_mov_b32 s13, 0
.LBB40_2247:
	s_delay_alu instid0(SALU_CYCLE_1)
	s_and_not1_b32 vcc_lo, exec_lo, s13
	s_cbranch_vccnz .LBB40_2258
; %bb.2248:
	s_cmp_lt_i32 s11, 6
	s_cbranch_scc1 .LBB40_2251
; %bb.2249:
	s_cmp_gt_i32 s11, 6
	s_cbranch_scc0 .LBB40_2252
; %bb.2250:
	s_wait_loadcnt 0x0
	global_load_b64 v[16:17], v[14:15], off
	s_mov_b32 s13, 0
	s_wait_loadcnt 0x0
	v_cvt_f32_f64_e32 v16, v[16:17]
	s_branch .LBB40_2253
.LBB40_2251:
	s_mov_b32 s13, -1
                                        ; implicit-def: $vgpr16
	s_branch .LBB40_2256
.LBB40_2252:
	s_mov_b32 s13, -1
                                        ; implicit-def: $vgpr16
.LBB40_2253:
	s_delay_alu instid0(SALU_CYCLE_1)
	s_and_not1_b32 vcc_lo, exec_lo, s13
	s_cbranch_vccnz .LBB40_2255
; %bb.2254:
	s_wait_loadcnt 0x0
	global_load_b32 v16, v[14:15], off
.LBB40_2255:
	s_mov_b32 s13, 0
.LBB40_2256:
	s_delay_alu instid0(SALU_CYCLE_1)
	s_and_not1_b32 vcc_lo, exec_lo, s13
	s_cbranch_vccnz .LBB40_2258
; %bb.2257:
	global_load_u16 v7, v[14:15], off
	s_wait_loadcnt 0x0
	s_wait_xcnt 0x1
	v_cvt_f32_f16_e32 v16, v7
.LBB40_2258:
	s_mov_b32 s13, 0
.LBB40_2259:
	s_delay_alu instid0(SALU_CYCLE_1)
	s_and_not1_b32 vcc_lo, exec_lo, s13
	s_cbranch_vccnz .LBB40_2279
; %bb.2260:
	s_cmp_lt_i32 s11, 2
	s_cbranch_scc1 .LBB40_2264
; %bb.2261:
	s_cmp_lt_i32 s11, 3
	s_cbranch_scc1 .LBB40_2265
; %bb.2262:
	s_cmp_gt_i32 s11, 3
	s_cbranch_scc0 .LBB40_2266
; %bb.2263:
	s_wait_loadcnt 0x0
	global_load_b64 v[16:17], v[14:15], off
	s_mov_b32 s13, 0
	s_wait_loadcnt 0x0
	v_xor_b32_e32 v7, v16, v17
	v_cls_i32_e32 v9, v17
	s_delay_alu instid0(VALU_DEP_2) | instskip(NEXT) | instid1(VALU_DEP_1)
	v_ashrrev_i32_e32 v7, 31, v7
	v_add_nc_u32_e32 v7, 32, v7
	s_delay_alu instid0(VALU_DEP_1) | instskip(NEXT) | instid1(VALU_DEP_1)
	v_add_min_u32_e64 v7, v9, -1, v7
	v_lshlrev_b64_e32 v[16:17], v7, v[16:17]
	v_sub_nc_u32_e32 v7, 32, v7
	s_delay_alu instid0(VALU_DEP_2) | instskip(NEXT) | instid1(VALU_DEP_1)
	v_min_u32_e32 v9, 1, v16
	v_or_b32_e32 v9, v17, v9
	s_delay_alu instid0(VALU_DEP_1) | instskip(NEXT) | instid1(VALU_DEP_1)
	v_cvt_f32_i32_e32 v9, v9
	v_ldexp_f32 v16, v9, v7
	s_branch .LBB40_2267
.LBB40_2264:
	s_mov_b32 s13, -1
                                        ; implicit-def: $vgpr16
	s_branch .LBB40_2273
.LBB40_2265:
	s_mov_b32 s13, -1
                                        ; implicit-def: $vgpr16
	s_branch .LBB40_2270
.LBB40_2266:
	s_mov_b32 s13, -1
                                        ; implicit-def: $vgpr16
.LBB40_2267:
	s_delay_alu instid0(SALU_CYCLE_1)
	s_and_not1_b32 vcc_lo, exec_lo, s13
	s_cbranch_vccnz .LBB40_2269
; %bb.2268:
	global_load_b32 v7, v[14:15], off
	s_wait_loadcnt 0x0
	s_wait_xcnt 0x1
	v_cvt_f32_i32_e32 v16, v7
.LBB40_2269:
	s_mov_b32 s13, 0
.LBB40_2270:
	s_delay_alu instid0(SALU_CYCLE_1)
	s_and_not1_b32 vcc_lo, exec_lo, s13
	s_cbranch_vccnz .LBB40_2272
; %bb.2271:
	global_load_i16 v7, v[14:15], off
	s_wait_loadcnt 0x0
	s_wait_xcnt 0x1
	v_cvt_f32_i32_e32 v16, v7
.LBB40_2272:
	s_mov_b32 s13, 0
.LBB40_2273:
	s_delay_alu instid0(SALU_CYCLE_1)
	s_and_not1_b32 vcc_lo, exec_lo, s13
	s_cbranch_vccnz .LBB40_2279
; %bb.2274:
	s_cmp_gt_i32 s11, 0
	s_mov_b32 s13, 0
	s_cbranch_scc0 .LBB40_2276
; %bb.2275:
	global_load_i8 v7, v[14:15], off
	s_wait_loadcnt 0x0
	s_wait_xcnt 0x1
	v_cvt_f32_i32_e32 v16, v7
	s_branch .LBB40_2277
.LBB40_2276:
	s_mov_b32 s13, -1
                                        ; implicit-def: $vgpr16
.LBB40_2277:
	s_delay_alu instid0(SALU_CYCLE_1)
	s_and_not1_b32 vcc_lo, exec_lo, s13
	s_cbranch_vccnz .LBB40_2279
; %bb.2278:
	global_load_u8 v7, v[14:15], off
	s_wait_loadcnt 0x0
	s_wait_xcnt 0x1
	v_cvt_f32_ubyte0_e32 v16, v7
.LBB40_2279:
	s_mov_b32 s15, -1
.LBB40_2280:
	s_delay_alu instid0(SALU_CYCLE_1)
	s_and_not1_b32 vcc_lo, exec_lo, s15
	s_cbranch_vccnz .LBB40_3106
; %bb.2281:
	v_mov_b32_e32 v13, 0
	s_cmp_lt_i32 s12, 11
	s_delay_alu instid0(VALU_DEP_1)
	v_add_nc_u64_e32 v[12:13], s[0:1], v[12:13]
	s_cbranch_scc1 .LBB40_2288
; %bb.2282:
	s_cmp_gt_i32 s12, 25
	s_mov_b32 s14, 0
	s_cbranch_scc0 .LBB40_2289
; %bb.2283:
	s_cmp_gt_i32 s12, 28
	s_cbranch_scc0 .LBB40_2290
; %bb.2284:
	s_cmp_gt_i32 s12, 43
	;; [unrolled: 3-line block ×3, first 2 shown]
	s_cbranch_scc0 .LBB40_2293
; %bb.2286:
	s_cmp_eq_u32 s12, 46
	s_mov_b32 s16, 0
	s_cbranch_scc0 .LBB40_2296
; %bb.2287:
	global_load_b32 v7, v[12:13], off
	s_mov_b32 s13, 0
	s_mov_b32 s15, -1
	s_wait_loadcnt 0x0
	s_wait_xcnt 0x1
	v_lshlrev_b32_e32 v14, 16, v7
	s_branch .LBB40_2298
.LBB40_2288:
	s_mov_b32 s13, -1
	s_mov_b32 s15, 0
                                        ; implicit-def: $vgpr14
	s_branch .LBB40_2364
.LBB40_2289:
	s_mov_b32 s16, -1
	s_mov_b32 s15, 0
	s_mov_b32 s13, 0
                                        ; implicit-def: $vgpr14
	s_branch .LBB40_2327
.LBB40_2290:
	s_mov_b32 s16, -1
	s_mov_b32 s15, 0
	s_mov_b32 s13, 0
                                        ; implicit-def: $vgpr14
	s_branch .LBB40_2308
.LBB40_2291:
	s_mov_b32 s16, -1
	s_mov_b32 s15, 0
	s_mov_b32 s13, 0
                                        ; implicit-def: $vgpr14
	s_branch .LBB40_2303
.LBB40_2292:
	s_or_b32 s10, s10, exec_lo
	s_trap 2
	s_cbranch_execz .LBB40_2229
	s_branch .LBB40_2230
.LBB40_2293:
	s_mov_b32 s16, -1
	s_mov_b32 s15, 0
	s_mov_b32 s13, 0
	s_branch .LBB40_2297
.LBB40_2294:
	s_and_not1_saveexec_b32 s51, s51
	s_cbranch_execz .LBB40_1186
.LBB40_2295:
	v_add_f32_e64 v1, 0x42800000, |v4|
	s_and_not1_b32 s50, s50, exec_lo
	s_delay_alu instid0(VALU_DEP_1) | instskip(NEXT) | instid1(VALU_DEP_1)
	v_and_b32_e32 v1, 0xff, v1
	v_cmp_ne_u32_e32 vcc_lo, 0, v1
	s_and_b32 s52, vcc_lo, exec_lo
	s_delay_alu instid0(SALU_CYCLE_1)
	s_or_b32 s50, s50, s52
	s_or_b32 exec_lo, exec_lo, s51
	v_mov_b32_e32 v5, 0
	s_and_saveexec_b32 s51, s50
	s_cbranch_execnz .LBB40_1187
	s_branch .LBB40_1188
.LBB40_2296:
	s_mov_b32 s13, -1
	s_mov_b32 s15, 0
.LBB40_2297:
                                        ; implicit-def: $vgpr14
.LBB40_2298:
	s_and_b32 vcc_lo, exec_lo, s16
	s_cbranch_vccz .LBB40_2302
; %bb.2299:
	s_cmp_eq_u32 s12, 44
	s_cbranch_scc0 .LBB40_2301
; %bb.2300:
	global_load_u8 v7, v[12:13], off
	s_mov_b32 s13, 0
	s_mov_b32 s15, -1
	s_wait_loadcnt 0x0
	v_lshlrev_b32_e32 v9, 23, v7
	v_cmp_ne_u32_e32 vcc_lo, 0xff, v7
	s_delay_alu instid0(VALU_DEP_2) | instskip(SKIP_2) | instid1(VALU_DEP_2)
	v_cndmask_b32_e32 v9, 0x7f800001, v9, vcc_lo
	v_cmp_ne_u32_e32 vcc_lo, 0, v7
	s_wait_xcnt 0x1
	v_cndmask_b32_e32 v14, 0x400000, v9, vcc_lo
	s_branch .LBB40_2302
.LBB40_2301:
	s_mov_b32 s13, -1
                                        ; implicit-def: $vgpr14
.LBB40_2302:
	s_mov_b32 s16, 0
.LBB40_2303:
	s_delay_alu instid0(SALU_CYCLE_1)
	s_and_b32 vcc_lo, exec_lo, s16
	s_cbranch_vccz .LBB40_2307
; %bb.2304:
	s_cmp_eq_u32 s12, 29
	s_cbranch_scc0 .LBB40_2306
; %bb.2305:
	global_load_b64 v[14:15], v[12:13], off
	s_mov_b32 s13, 0
	s_mov_b32 s15, -1
	s_mov_b32 s16, 0
	s_wait_loadcnt 0x0
	v_clz_i32_u32_e32 v7, v15
	s_delay_alu instid0(VALU_DEP_1) | instskip(NEXT) | instid1(VALU_DEP_1)
	v_min_u32_e32 v7, 32, v7
	v_lshlrev_b64_e32 v[14:15], v7, v[14:15]
	v_sub_nc_u32_e32 v7, 32, v7
	s_delay_alu instid0(VALU_DEP_2) | instskip(NEXT) | instid1(VALU_DEP_1)
	v_min_u32_e32 v9, 1, v14
	v_or_b32_e32 v9, v15, v9
	s_delay_alu instid0(VALU_DEP_1) | instskip(NEXT) | instid1(VALU_DEP_1)
	v_cvt_f32_u32_e32 v9, v9
	v_ldexp_f32 v14, v9, v7
	s_branch .LBB40_2308
.LBB40_2306:
	s_mov_b32 s13, -1
                                        ; implicit-def: $vgpr14
.LBB40_2307:
	s_mov_b32 s16, 0
.LBB40_2308:
	s_delay_alu instid0(SALU_CYCLE_1)
	s_and_b32 vcc_lo, exec_lo, s16
	s_cbranch_vccz .LBB40_2326
; %bb.2309:
	s_cmp_lt_i32 s12, 27
	s_cbranch_scc1 .LBB40_2312
; %bb.2310:
	s_cmp_gt_i32 s12, 27
	s_cbranch_scc0 .LBB40_2313
; %bb.2311:
	global_load_b32 v7, v[12:13], off
	s_mov_b32 s15, 0
	s_wait_loadcnt 0x0
	s_wait_xcnt 0x1
	v_cvt_f32_u32_e32 v14, v7
	s_branch .LBB40_2314
.LBB40_2312:
	s_mov_b32 s15, -1
                                        ; implicit-def: $vgpr14
	s_branch .LBB40_2317
.LBB40_2313:
	s_mov_b32 s15, -1
                                        ; implicit-def: $vgpr14
.LBB40_2314:
	s_delay_alu instid0(SALU_CYCLE_1)
	s_and_not1_b32 vcc_lo, exec_lo, s15
	s_cbranch_vccnz .LBB40_2316
; %bb.2315:
	global_load_u16 v7, v[12:13], off
	s_wait_loadcnt 0x0
	s_wait_xcnt 0x1
	v_cvt_f32_u32_e32 v14, v7
.LBB40_2316:
	s_mov_b32 s15, 0
.LBB40_2317:
	s_delay_alu instid0(SALU_CYCLE_1)
	s_and_not1_b32 vcc_lo, exec_lo, s15
	s_cbranch_vccnz .LBB40_2325
; %bb.2318:
	global_load_u8 v7, v[12:13], off
	s_mov_b32 s15, 0
	s_mov_b32 s16, exec_lo
	s_wait_loadcnt 0x0
	v_cmpx_lt_i16_e32 0x7f, v7
	s_xor_b32 s16, exec_lo, s16
	s_cbranch_execz .LBB40_2339
; %bb.2319:
	s_mov_b32 s15, -1
	s_mov_b32 s17, exec_lo
	v_cmpx_eq_u16_e32 0x80, v7
; %bb.2320:
	s_xor_b32 s15, exec_lo, -1
; %bb.2321:
	s_or_b32 exec_lo, exec_lo, s17
	s_delay_alu instid0(SALU_CYCLE_1)
	s_and_b32 s15, s15, exec_lo
	s_or_saveexec_b32 s16, s16
	v_mov_b32_e32 v14, 0x7f800001
	s_xor_b32 exec_lo, exec_lo, s16
	s_cbranch_execnz .LBB40_2340
.LBB40_2322:
	s_or_b32 exec_lo, exec_lo, s16
	s_and_saveexec_b32 s16, s15
	s_cbranch_execz .LBB40_2324
.LBB40_2323:
	v_and_b32_e32 v9, 0xffff, v7
	s_delay_alu instid0(VALU_DEP_1) | instskip(SKIP_1) | instid1(VALU_DEP_2)
	v_and_b32_e32 v11, 7, v9
	v_bfe_u32 v17, v9, 3, 4
	v_clz_i32_u32_e32 v14, v11
	s_delay_alu instid0(VALU_DEP_2) | instskip(NEXT) | instid1(VALU_DEP_2)
	v_cmp_eq_u32_e32 vcc_lo, 0, v17
	v_min_u32_e32 v14, 32, v14
	s_delay_alu instid0(VALU_DEP_1) | instskip(NEXT) | instid1(VALU_DEP_1)
	v_subrev_nc_u32_e32 v15, 28, v14
	v_dual_lshlrev_b32 v9, v15, v9 :: v_dual_sub_nc_u32 v14, 29, v14
	s_delay_alu instid0(VALU_DEP_1) | instskip(NEXT) | instid1(VALU_DEP_1)
	v_dual_lshlrev_b32 v7, 24, v7 :: v_dual_bitop2_b32 v9, 7, v9 bitop3:0x40
	v_dual_cndmask_b32 v14, v17, v14 :: v_dual_cndmask_b32 v9, v11, v9
	s_delay_alu instid0(VALU_DEP_2) | instskip(NEXT) | instid1(VALU_DEP_2)
	v_and_b32_e32 v7, 0x80000000, v7
	v_lshl_add_u32 v11, v14, 23, 0x3b800000
	s_delay_alu instid0(VALU_DEP_3) | instskip(NEXT) | instid1(VALU_DEP_1)
	v_lshlrev_b32_e32 v9, 20, v9
	v_or3_b32 v14, v7, v11, v9
.LBB40_2324:
	s_or_b32 exec_lo, exec_lo, s16
.LBB40_2325:
	s_mov_b32 s15, -1
.LBB40_2326:
	s_mov_b32 s16, 0
.LBB40_2327:
	s_delay_alu instid0(SALU_CYCLE_1)
	s_and_b32 vcc_lo, exec_lo, s16
	s_cbranch_vccz .LBB40_2360
; %bb.2328:
	s_cmp_gt_i32 s12, 22
	s_cbranch_scc0 .LBB40_2338
; %bb.2329:
	s_cmp_lt_i32 s12, 24
	s_cbranch_scc1 .LBB40_2341
; %bb.2330:
	s_cmp_gt_i32 s12, 24
	s_cbranch_scc0 .LBB40_2342
; %bb.2331:
	global_load_u8 v7, v[12:13], off
	s_mov_b32 s15, exec_lo
	s_wait_loadcnt 0x0
	v_cmpx_lt_i16_e32 0x7f, v7
	s_xor_b32 s15, exec_lo, s15
	s_cbranch_execz .LBB40_2354
; %bb.2332:
	s_mov_b32 s14, -1
	s_mov_b32 s16, exec_lo
	v_cmpx_eq_u16_e32 0x80, v7
; %bb.2333:
	s_xor_b32 s14, exec_lo, -1
; %bb.2334:
	s_or_b32 exec_lo, exec_lo, s16
	s_delay_alu instid0(SALU_CYCLE_1)
	s_and_b32 s14, s14, exec_lo
	s_or_saveexec_b32 s15, s15
	v_mov_b32_e32 v14, 0x7f800001
	s_xor_b32 exec_lo, exec_lo, s15
	s_cbranch_execnz .LBB40_2355
.LBB40_2335:
	s_or_b32 exec_lo, exec_lo, s15
	s_and_saveexec_b32 s15, s14
	s_cbranch_execz .LBB40_2337
.LBB40_2336:
	v_and_b32_e32 v9, 0xffff, v7
	s_delay_alu instid0(VALU_DEP_1) | instskip(SKIP_1) | instid1(VALU_DEP_2)
	v_and_b32_e32 v11, 3, v9
	v_bfe_u32 v17, v9, 2, 5
	v_clz_i32_u32_e32 v14, v11
	s_delay_alu instid0(VALU_DEP_2) | instskip(NEXT) | instid1(VALU_DEP_2)
	v_cmp_eq_u32_e32 vcc_lo, 0, v17
	v_min_u32_e32 v14, 32, v14
	s_delay_alu instid0(VALU_DEP_1) | instskip(NEXT) | instid1(VALU_DEP_1)
	v_subrev_nc_u32_e32 v15, 29, v14
	v_dual_lshlrev_b32 v9, v15, v9 :: v_dual_sub_nc_u32 v14, 30, v14
	s_delay_alu instid0(VALU_DEP_1) | instskip(NEXT) | instid1(VALU_DEP_1)
	v_dual_lshlrev_b32 v7, 24, v7 :: v_dual_bitop2_b32 v9, 3, v9 bitop3:0x40
	v_dual_cndmask_b32 v14, v17, v14 :: v_dual_cndmask_b32 v9, v11, v9
	s_delay_alu instid0(VALU_DEP_2) | instskip(NEXT) | instid1(VALU_DEP_2)
	v_and_b32_e32 v7, 0x80000000, v7
	v_lshl_add_u32 v11, v14, 23, 0x37800000
	s_delay_alu instid0(VALU_DEP_3) | instskip(NEXT) | instid1(VALU_DEP_1)
	v_lshlrev_b32_e32 v9, 21, v9
	v_or3_b32 v14, v7, v11, v9
.LBB40_2337:
	s_or_b32 exec_lo, exec_lo, s15
	s_mov_b32 s14, 0
	s_branch .LBB40_2343
.LBB40_2338:
	s_mov_b32 s14, -1
                                        ; implicit-def: $vgpr14
	s_branch .LBB40_2349
.LBB40_2339:
	s_or_saveexec_b32 s16, s16
	v_mov_b32_e32 v14, 0x7f800001
	s_xor_b32 exec_lo, exec_lo, s16
	s_cbranch_execz .LBB40_2322
.LBB40_2340:
	v_cmp_ne_u16_e32 vcc_lo, 0, v7
	v_mov_b32_e32 v14, 0
	s_and_not1_b32 s15, s15, exec_lo
	s_and_b32 s17, vcc_lo, exec_lo
	s_delay_alu instid0(SALU_CYCLE_1)
	s_or_b32 s15, s15, s17
	s_or_b32 exec_lo, exec_lo, s16
	s_and_saveexec_b32 s16, s15
	s_cbranch_execnz .LBB40_2323
	s_branch .LBB40_2324
.LBB40_2341:
	s_mov_b32 s14, -1
                                        ; implicit-def: $vgpr14
	s_branch .LBB40_2346
.LBB40_2342:
	s_mov_b32 s14, -1
                                        ; implicit-def: $vgpr14
.LBB40_2343:
	s_delay_alu instid0(SALU_CYCLE_1)
	s_and_b32 vcc_lo, exec_lo, s14
	s_cbranch_vccz .LBB40_2345
; %bb.2344:
	global_load_u8 v7, v[12:13], off
	s_wait_loadcnt 0x0
	v_lshlrev_b32_e32 v7, 24, v7
	s_delay_alu instid0(VALU_DEP_1) | instskip(NEXT) | instid1(VALU_DEP_1)
	v_and_b32_e32 v9, 0x7f000000, v7
	v_clz_i32_u32_e32 v11, v9
	s_wait_xcnt 0x1
	v_add_nc_u32_e32 v15, 0x1000000, v9
	v_cmp_ne_u32_e32 vcc_lo, 0, v9
	s_delay_alu instid0(VALU_DEP_3) | instskip(NEXT) | instid1(VALU_DEP_1)
	v_min_u32_e32 v11, 32, v11
	v_sub_nc_u32_e64 v11, v11, 4 clamp
	s_delay_alu instid0(VALU_DEP_1) | instskip(NEXT) | instid1(VALU_DEP_1)
	v_dual_lshlrev_b32 v14, v11, v9 :: v_dual_lshlrev_b32 v11, 23, v11
	v_lshrrev_b32_e32 v14, 4, v14
	s_delay_alu instid0(VALU_DEP_1) | instskip(SKIP_1) | instid1(VALU_DEP_2)
	v_sub_nc_u32_e32 v11, v14, v11
	v_ashrrev_i32_e32 v14, 8, v15
	v_add_nc_u32_e32 v11, 0x3c000000, v11
	s_delay_alu instid0(VALU_DEP_1) | instskip(NEXT) | instid1(VALU_DEP_1)
	v_and_or_b32 v11, 0x7f800000, v14, v11
	v_cndmask_b32_e32 v9, 0, v11, vcc_lo
	s_delay_alu instid0(VALU_DEP_1)
	v_and_or_b32 v14, 0x80000000, v7, v9
.LBB40_2345:
	s_mov_b32 s14, 0
.LBB40_2346:
	s_delay_alu instid0(SALU_CYCLE_1)
	s_and_not1_b32 vcc_lo, exec_lo, s14
	s_cbranch_vccnz .LBB40_2348
; %bb.2347:
	global_load_u8 v7, v[12:13], off
	s_wait_loadcnt 0x0
	v_lshlrev_b32_e32 v9, 25, v7
	v_lshlrev_b16 v7, 8, v7
	s_wait_xcnt 0x1
	s_delay_alu instid0(VALU_DEP_1) | instskip(SKIP_1) | instid1(VALU_DEP_2)
	v_and_or_b32 v14, 0x7f00, v7, 0.5
	v_bfe_i32 v7, v7, 0, 16
	v_dual_add_f32 v14, -0.5, v14 :: v_dual_lshrrev_b32 v11, 4, v9
	v_cmp_gt_u32_e32 vcc_lo, 0x8000000, v9
	s_delay_alu instid0(VALU_DEP_2) | instskip(NEXT) | instid1(VALU_DEP_1)
	v_or_b32_e32 v11, 0x70000000, v11
	v_mul_f32_e32 v11, 0x7800000, v11
	s_delay_alu instid0(VALU_DEP_1) | instskip(NEXT) | instid1(VALU_DEP_1)
	v_cndmask_b32_e32 v9, v11, v14, vcc_lo
	v_and_or_b32 v14, 0x80000000, v7, v9
.LBB40_2348:
	s_mov_b32 s14, 0
	s_mov_b32 s15, -1
.LBB40_2349:
	s_and_not1_b32 vcc_lo, exec_lo, s14
	s_mov_b32 s14, 0
	s_cbranch_vccnz .LBB40_2360
; %bb.2350:
	s_cmp_gt_i32 s12, 14
	s_cbranch_scc0 .LBB40_2353
; %bb.2351:
	s_cmp_eq_u32 s12, 15
	s_cbranch_scc0 .LBB40_2356
; %bb.2352:
	global_load_u16 v7, v[12:13], off
	s_mov_b32 s13, 0
	s_mov_b32 s15, -1
	s_wait_loadcnt 0x0
	s_wait_xcnt 0x1
	v_lshlrev_b32_e32 v14, 16, v7
	s_branch .LBB40_2358
.LBB40_2353:
	s_mov_b32 s14, -1
	s_branch .LBB40_2357
.LBB40_2354:
	s_or_saveexec_b32 s15, s15
	v_mov_b32_e32 v14, 0x7f800001
	s_xor_b32 exec_lo, exec_lo, s15
	s_cbranch_execz .LBB40_2335
.LBB40_2355:
	v_cmp_ne_u16_e32 vcc_lo, 0, v7
	v_mov_b32_e32 v14, 0
	s_and_not1_b32 s14, s14, exec_lo
	s_and_b32 s16, vcc_lo, exec_lo
	s_delay_alu instid0(SALU_CYCLE_1)
	s_or_b32 s14, s14, s16
	s_or_b32 exec_lo, exec_lo, s15
	s_and_saveexec_b32 s15, s14
	s_cbranch_execnz .LBB40_2336
	s_branch .LBB40_2337
.LBB40_2356:
	s_mov_b32 s13, -1
.LBB40_2357:
                                        ; implicit-def: $vgpr14
.LBB40_2358:
	s_and_b32 vcc_lo, exec_lo, s14
	s_mov_b32 s14, 0
	s_cbranch_vccz .LBB40_2360
; %bb.2359:
	s_cmp_lg_u32 s12, 11
	s_mov_b32 s14, -1
	s_cselect_b32 s13, -1, 0
.LBB40_2360:
	s_delay_alu instid0(SALU_CYCLE_1)
	s_and_b32 vcc_lo, exec_lo, s13
	s_cbranch_vccnz .LBB40_2425
; %bb.2361:
	s_and_not1_b32 vcc_lo, exec_lo, s14
	s_cbranch_vccnz .LBB40_2363
.LBB40_2362:
	global_load_u8 v7, v[12:13], off
	s_mov_b32 s15, -1
	s_wait_loadcnt 0x0
	v_cmp_ne_u16_e32 vcc_lo, 0, v7
	s_wait_xcnt 0x1
	v_cndmask_b32_e64 v14, 0, 1.0, vcc_lo
.LBB40_2363:
	s_mov_b32 s13, 0
.LBB40_2364:
	s_delay_alu instid0(SALU_CYCLE_1)
	s_and_b32 vcc_lo, exec_lo, s13
	s_cbranch_vccz .LBB40_2413
; %bb.2365:
	s_cmp_lt_i32 s12, 5
	s_cbranch_scc1 .LBB40_2370
; %bb.2366:
	s_cmp_lt_i32 s12, 8
	s_cbranch_scc1 .LBB40_2371
	;; [unrolled: 3-line block ×3, first 2 shown]
; %bb.2368:
	s_cmp_gt_i32 s12, 9
	s_cbranch_scc0 .LBB40_2373
; %bb.2369:
	global_load_b64 v[14:15], v[12:13], off
	s_mov_b32 s13, 0
	s_wait_loadcnt 0x0
	v_cvt_f32_f64_e32 v14, v[14:15]
	s_branch .LBB40_2374
.LBB40_2370:
	s_mov_b32 s13, -1
                                        ; implicit-def: $vgpr14
	s_branch .LBB40_2392
.LBB40_2371:
	s_mov_b32 s13, -1
                                        ; implicit-def: $vgpr14
	s_branch .LBB40_2380
.LBB40_2372:
	s_mov_b32 s13, -1
                                        ; implicit-def: $vgpr14
	s_branch .LBB40_2377
.LBB40_2373:
	s_mov_b32 s13, -1
                                        ; implicit-def: $vgpr14
.LBB40_2374:
	s_delay_alu instid0(SALU_CYCLE_1)
	s_and_not1_b32 vcc_lo, exec_lo, s13
	s_cbranch_vccnz .LBB40_2376
; %bb.2375:
	global_load_b32 v14, v[12:13], off
.LBB40_2376:
	s_mov_b32 s13, 0
.LBB40_2377:
	s_delay_alu instid0(SALU_CYCLE_1)
	s_and_not1_b32 vcc_lo, exec_lo, s13
	s_cbranch_vccnz .LBB40_2379
; %bb.2378:
	global_load_b32 v7, v[12:13], off
	s_wait_loadcnt 0x0
	s_wait_xcnt 0x1
	v_cvt_f32_f16_e32 v14, v7
.LBB40_2379:
	s_mov_b32 s13, 0
.LBB40_2380:
	s_delay_alu instid0(SALU_CYCLE_1)
	s_and_not1_b32 vcc_lo, exec_lo, s13
	s_cbranch_vccnz .LBB40_2391
; %bb.2381:
	s_cmp_lt_i32 s12, 6
	s_cbranch_scc1 .LBB40_2384
; %bb.2382:
	s_cmp_gt_i32 s12, 6
	s_cbranch_scc0 .LBB40_2385
; %bb.2383:
	s_wait_loadcnt 0x0
	global_load_b64 v[14:15], v[12:13], off
	s_mov_b32 s13, 0
	s_wait_loadcnt 0x0
	v_cvt_f32_f64_e32 v14, v[14:15]
	s_branch .LBB40_2386
.LBB40_2384:
	s_mov_b32 s13, -1
                                        ; implicit-def: $vgpr14
	s_branch .LBB40_2389
.LBB40_2385:
	s_mov_b32 s13, -1
                                        ; implicit-def: $vgpr14
.LBB40_2386:
	s_delay_alu instid0(SALU_CYCLE_1)
	s_and_not1_b32 vcc_lo, exec_lo, s13
	s_cbranch_vccnz .LBB40_2388
; %bb.2387:
	s_wait_loadcnt 0x0
	global_load_b32 v14, v[12:13], off
.LBB40_2388:
	s_mov_b32 s13, 0
.LBB40_2389:
	s_delay_alu instid0(SALU_CYCLE_1)
	s_and_not1_b32 vcc_lo, exec_lo, s13
	s_cbranch_vccnz .LBB40_2391
; %bb.2390:
	global_load_u16 v7, v[12:13], off
	s_wait_loadcnt 0x0
	s_wait_xcnt 0x1
	v_cvt_f32_f16_e32 v14, v7
.LBB40_2391:
	s_mov_b32 s13, 0
.LBB40_2392:
	s_delay_alu instid0(SALU_CYCLE_1)
	s_and_not1_b32 vcc_lo, exec_lo, s13
	s_cbranch_vccnz .LBB40_2412
; %bb.2393:
	s_cmp_lt_i32 s12, 2
	s_cbranch_scc1 .LBB40_2397
; %bb.2394:
	s_cmp_lt_i32 s12, 3
	s_cbranch_scc1 .LBB40_2398
; %bb.2395:
	s_cmp_gt_i32 s12, 3
	s_cbranch_scc0 .LBB40_2399
; %bb.2396:
	s_wait_loadcnt 0x0
	global_load_b64 v[14:15], v[12:13], off
	s_mov_b32 s13, 0
	s_wait_loadcnt 0x0
	v_xor_b32_e32 v7, v14, v15
	v_cls_i32_e32 v9, v15
	s_delay_alu instid0(VALU_DEP_2) | instskip(NEXT) | instid1(VALU_DEP_1)
	v_ashrrev_i32_e32 v7, 31, v7
	v_add_nc_u32_e32 v7, 32, v7
	s_delay_alu instid0(VALU_DEP_1) | instskip(NEXT) | instid1(VALU_DEP_1)
	v_add_min_u32_e64 v7, v9, -1, v7
	v_lshlrev_b64_e32 v[14:15], v7, v[14:15]
	v_sub_nc_u32_e32 v7, 32, v7
	s_delay_alu instid0(VALU_DEP_2) | instskip(NEXT) | instid1(VALU_DEP_1)
	v_min_u32_e32 v9, 1, v14
	v_or_b32_e32 v9, v15, v9
	s_delay_alu instid0(VALU_DEP_1) | instskip(NEXT) | instid1(VALU_DEP_1)
	v_cvt_f32_i32_e32 v9, v9
	v_ldexp_f32 v14, v9, v7
	s_branch .LBB40_2400
.LBB40_2397:
	s_mov_b32 s13, -1
                                        ; implicit-def: $vgpr14
	s_branch .LBB40_2406
.LBB40_2398:
	s_mov_b32 s13, -1
                                        ; implicit-def: $vgpr14
	s_branch .LBB40_2403
.LBB40_2399:
	s_mov_b32 s13, -1
                                        ; implicit-def: $vgpr14
.LBB40_2400:
	s_delay_alu instid0(SALU_CYCLE_1)
	s_and_not1_b32 vcc_lo, exec_lo, s13
	s_cbranch_vccnz .LBB40_2402
; %bb.2401:
	global_load_b32 v7, v[12:13], off
	s_wait_loadcnt 0x0
	s_wait_xcnt 0x1
	v_cvt_f32_i32_e32 v14, v7
.LBB40_2402:
	s_mov_b32 s13, 0
.LBB40_2403:
	s_delay_alu instid0(SALU_CYCLE_1)
	s_and_not1_b32 vcc_lo, exec_lo, s13
	s_cbranch_vccnz .LBB40_2405
; %bb.2404:
	global_load_i16 v7, v[12:13], off
	s_wait_loadcnt 0x0
	s_wait_xcnt 0x1
	v_cvt_f32_i32_e32 v14, v7
.LBB40_2405:
	s_mov_b32 s13, 0
.LBB40_2406:
	s_delay_alu instid0(SALU_CYCLE_1)
	s_and_not1_b32 vcc_lo, exec_lo, s13
	s_cbranch_vccnz .LBB40_2412
; %bb.2407:
	s_cmp_gt_i32 s12, 0
	s_mov_b32 s13, 0
	s_cbranch_scc0 .LBB40_2409
; %bb.2408:
	global_load_i8 v7, v[12:13], off
	s_wait_loadcnt 0x0
	s_wait_xcnt 0x1
	v_cvt_f32_i32_e32 v14, v7
	s_branch .LBB40_2410
.LBB40_2409:
	s_mov_b32 s13, -1
                                        ; implicit-def: $vgpr14
.LBB40_2410:
	s_delay_alu instid0(SALU_CYCLE_1)
	s_and_not1_b32 vcc_lo, exec_lo, s13
	s_cbranch_vccnz .LBB40_2412
; %bb.2411:
	global_load_u8 v7, v[12:13], off
	s_wait_loadcnt 0x0
	s_wait_xcnt 0x1
	v_cvt_f32_ubyte0_e32 v14, v7
.LBB40_2412:
	s_mov_b32 s15, -1
.LBB40_2413:
	s_delay_alu instid0(SALU_CYCLE_1)
	s_and_not1_b32 vcc_lo, exec_lo, s15
	s_cbranch_vccnz .LBB40_3106
; %bb.2414:
	v_mov_b32_e32 v11, 0
	s_cmp_lt_i32 s11, 11
	s_delay_alu instid0(VALU_DEP_1)
	v_add_nc_u64_e32 v[10:11], s[6:7], v[10:11]
	s_cbranch_scc1 .LBB40_2421
; %bb.2415:
	s_cmp_gt_i32 s11, 25
	s_mov_b32 s7, 0
	s_cbranch_scc0 .LBB40_2422
; %bb.2416:
	s_cmp_gt_i32 s11, 28
	s_cbranch_scc0 .LBB40_2423
; %bb.2417:
	s_cmp_gt_i32 s11, 43
	;; [unrolled: 3-line block ×3, first 2 shown]
	s_cbranch_scc0 .LBB40_2426
; %bb.2419:
	s_cmp_eq_u32 s11, 46
	s_mov_b32 s14, 0
	s_cbranch_scc0 .LBB40_2427
; %bb.2420:
	global_load_b32 v7, v[10:11], off
	s_mov_b32 s6, 0
	s_mov_b32 s13, -1
	s_wait_loadcnt 0x0
	s_wait_xcnt 0x1
	v_lshlrev_b32_e32 v12, 16, v7
	s_branch .LBB40_2429
.LBB40_2421:
	s_mov_b32 s6, -1
	s_mov_b32 s13, 0
                                        ; implicit-def: $vgpr12
	s_branch .LBB40_2495
.LBB40_2422:
	s_mov_b32 s14, -1
	s_mov_b32 s13, 0
	s_mov_b32 s6, 0
                                        ; implicit-def: $vgpr12
	s_branch .LBB40_2458
.LBB40_2423:
	s_mov_b32 s14, -1
	s_mov_b32 s13, 0
	s_mov_b32 s6, 0
                                        ; implicit-def: $vgpr12
	s_branch .LBB40_2439
.LBB40_2424:
	s_mov_b32 s14, -1
	s_mov_b32 s13, 0
	s_mov_b32 s6, 0
                                        ; implicit-def: $vgpr12
	s_branch .LBB40_2434
.LBB40_2425:
	s_or_b32 s10, s10, exec_lo
	s_trap 2
	s_cbranch_execz .LBB40_2362
	s_branch .LBB40_2363
.LBB40_2426:
	s_mov_b32 s14, -1
	s_mov_b32 s13, 0
	s_mov_b32 s6, 0
	s_branch .LBB40_2428
.LBB40_2427:
	s_mov_b32 s6, -1
	s_mov_b32 s13, 0
.LBB40_2428:
                                        ; implicit-def: $vgpr12
.LBB40_2429:
	s_and_b32 vcc_lo, exec_lo, s14
	s_cbranch_vccz .LBB40_2433
; %bb.2430:
	s_cmp_eq_u32 s11, 44
	s_cbranch_scc0 .LBB40_2432
; %bb.2431:
	global_load_u8 v7, v[10:11], off
	s_mov_b32 s6, 0
	s_mov_b32 s13, -1
	s_wait_loadcnt 0x0
	v_lshlrev_b32_e32 v9, 23, v7
	v_cmp_ne_u32_e32 vcc_lo, 0xff, v7
	s_delay_alu instid0(VALU_DEP_2) | instskip(SKIP_2) | instid1(VALU_DEP_2)
	v_cndmask_b32_e32 v9, 0x7f800001, v9, vcc_lo
	v_cmp_ne_u32_e32 vcc_lo, 0, v7
	s_wait_xcnt 0x1
	v_cndmask_b32_e32 v12, 0x400000, v9, vcc_lo
	s_branch .LBB40_2433
.LBB40_2432:
	s_mov_b32 s6, -1
                                        ; implicit-def: $vgpr12
.LBB40_2433:
	s_mov_b32 s14, 0
.LBB40_2434:
	s_delay_alu instid0(SALU_CYCLE_1)
	s_and_b32 vcc_lo, exec_lo, s14
	s_cbranch_vccz .LBB40_2438
; %bb.2435:
	s_cmp_eq_u32 s11, 29
	s_cbranch_scc0 .LBB40_2437
; %bb.2436:
	global_load_b64 v[12:13], v[10:11], off
	s_mov_b32 s6, 0
	s_mov_b32 s13, -1
	s_mov_b32 s14, 0
	s_wait_loadcnt 0x0
	v_clz_i32_u32_e32 v7, v13
	s_delay_alu instid0(VALU_DEP_1) | instskip(NEXT) | instid1(VALU_DEP_1)
	v_min_u32_e32 v7, 32, v7
	v_lshlrev_b64_e32 v[12:13], v7, v[12:13]
	v_sub_nc_u32_e32 v7, 32, v7
	s_delay_alu instid0(VALU_DEP_2) | instskip(NEXT) | instid1(VALU_DEP_1)
	v_min_u32_e32 v9, 1, v12
	v_or_b32_e32 v9, v13, v9
	s_delay_alu instid0(VALU_DEP_1) | instskip(NEXT) | instid1(VALU_DEP_1)
	v_cvt_f32_u32_e32 v9, v9
	v_ldexp_f32 v12, v9, v7
	s_branch .LBB40_2439
.LBB40_2437:
	s_mov_b32 s6, -1
                                        ; implicit-def: $vgpr12
.LBB40_2438:
	s_mov_b32 s14, 0
.LBB40_2439:
	s_delay_alu instid0(SALU_CYCLE_1)
	s_and_b32 vcc_lo, exec_lo, s14
	s_cbranch_vccz .LBB40_2457
; %bb.2440:
	s_cmp_lt_i32 s11, 27
	s_cbranch_scc1 .LBB40_2443
; %bb.2441:
	s_cmp_gt_i32 s11, 27
	s_cbranch_scc0 .LBB40_2444
; %bb.2442:
	global_load_b32 v7, v[10:11], off
	s_mov_b32 s13, 0
	s_wait_loadcnt 0x0
	s_wait_xcnt 0x1
	v_cvt_f32_u32_e32 v12, v7
	s_branch .LBB40_2445
.LBB40_2443:
	s_mov_b32 s13, -1
                                        ; implicit-def: $vgpr12
	s_branch .LBB40_2448
.LBB40_2444:
	s_mov_b32 s13, -1
                                        ; implicit-def: $vgpr12
.LBB40_2445:
	s_delay_alu instid0(SALU_CYCLE_1)
	s_and_not1_b32 vcc_lo, exec_lo, s13
	s_cbranch_vccnz .LBB40_2447
; %bb.2446:
	global_load_u16 v7, v[10:11], off
	s_wait_loadcnt 0x0
	s_wait_xcnt 0x1
	v_cvt_f32_u32_e32 v12, v7
.LBB40_2447:
	s_mov_b32 s13, 0
.LBB40_2448:
	s_delay_alu instid0(SALU_CYCLE_1)
	s_and_not1_b32 vcc_lo, exec_lo, s13
	s_cbranch_vccnz .LBB40_2456
; %bb.2449:
	global_load_u8 v7, v[10:11], off
	s_mov_b32 s13, 0
	s_mov_b32 s14, exec_lo
	s_wait_loadcnt 0x0
	v_cmpx_lt_i16_e32 0x7f, v7
	s_xor_b32 s14, exec_lo, s14
	s_cbranch_execz .LBB40_2470
; %bb.2450:
	s_mov_b32 s13, -1
	s_mov_b32 s15, exec_lo
	v_cmpx_eq_u16_e32 0x80, v7
; %bb.2451:
	s_xor_b32 s13, exec_lo, -1
; %bb.2452:
	s_or_b32 exec_lo, exec_lo, s15
	s_delay_alu instid0(SALU_CYCLE_1)
	s_and_b32 s13, s13, exec_lo
	s_or_saveexec_b32 s14, s14
	v_mov_b32_e32 v12, 0x7f800001
	s_xor_b32 exec_lo, exec_lo, s14
	s_cbranch_execnz .LBB40_2471
.LBB40_2453:
	s_or_b32 exec_lo, exec_lo, s14
	s_and_saveexec_b32 s14, s13
	s_cbranch_execz .LBB40_2455
.LBB40_2454:
	v_and_b32_e32 v9, 0xffff, v7
	s_delay_alu instid0(VALU_DEP_1) | instskip(SKIP_1) | instid1(VALU_DEP_2)
	v_dual_lshlrev_b32 v7, 24, v7 :: v_dual_bitop2_b32 v12, 7, v9 bitop3:0x40
	v_bfe_u32 v17, v9, 3, 4
	v_and_b32_e32 v7, 0x80000000, v7
	s_delay_alu instid0(VALU_DEP_3) | instskip(NEXT) | instid1(VALU_DEP_3)
	v_clz_i32_u32_e32 v13, v12
	v_cmp_eq_u32_e32 vcc_lo, 0, v17
	s_delay_alu instid0(VALU_DEP_2) | instskip(NEXT) | instid1(VALU_DEP_1)
	v_min_u32_e32 v13, 32, v13
	v_subrev_nc_u32_e32 v15, 28, v13
	v_sub_nc_u32_e32 v13, 29, v13
	s_delay_alu instid0(VALU_DEP_2) | instskip(NEXT) | instid1(VALU_DEP_2)
	v_lshlrev_b32_e32 v9, v15, v9
	v_cndmask_b32_e32 v13, v17, v13, vcc_lo
	s_delay_alu instid0(VALU_DEP_2) | instskip(NEXT) | instid1(VALU_DEP_1)
	v_and_b32_e32 v9, 7, v9
	v_cndmask_b32_e32 v9, v12, v9, vcc_lo
	s_delay_alu instid0(VALU_DEP_3) | instskip(NEXT) | instid1(VALU_DEP_2)
	v_lshl_add_u32 v12, v13, 23, 0x3b800000
	v_lshlrev_b32_e32 v9, 20, v9
	s_delay_alu instid0(VALU_DEP_1)
	v_or3_b32 v12, v7, v12, v9
.LBB40_2455:
	s_or_b32 exec_lo, exec_lo, s14
.LBB40_2456:
	s_mov_b32 s13, -1
.LBB40_2457:
	s_mov_b32 s14, 0
.LBB40_2458:
	s_delay_alu instid0(SALU_CYCLE_1)
	s_and_b32 vcc_lo, exec_lo, s14
	s_cbranch_vccz .LBB40_2491
; %bb.2459:
	s_cmp_gt_i32 s11, 22
	s_cbranch_scc0 .LBB40_2469
; %bb.2460:
	s_cmp_lt_i32 s11, 24
	s_cbranch_scc1 .LBB40_2472
; %bb.2461:
	s_cmp_gt_i32 s11, 24
	s_cbranch_scc0 .LBB40_2473
; %bb.2462:
	global_load_u8 v7, v[10:11], off
	s_mov_b32 s13, exec_lo
	s_wait_loadcnt 0x0
	v_cmpx_lt_i16_e32 0x7f, v7
	s_xor_b32 s13, exec_lo, s13
	s_cbranch_execz .LBB40_2485
; %bb.2463:
	s_mov_b32 s7, -1
	s_mov_b32 s14, exec_lo
	v_cmpx_eq_u16_e32 0x80, v7
; %bb.2464:
	s_xor_b32 s7, exec_lo, -1
; %bb.2465:
	s_or_b32 exec_lo, exec_lo, s14
	s_delay_alu instid0(SALU_CYCLE_1)
	s_and_b32 s7, s7, exec_lo
	s_or_saveexec_b32 s13, s13
	v_mov_b32_e32 v12, 0x7f800001
	s_xor_b32 exec_lo, exec_lo, s13
	s_cbranch_execnz .LBB40_2486
.LBB40_2466:
	s_or_b32 exec_lo, exec_lo, s13
	s_and_saveexec_b32 s13, s7
	s_cbranch_execz .LBB40_2468
.LBB40_2467:
	v_and_b32_e32 v9, 0xffff, v7
	s_delay_alu instid0(VALU_DEP_1) | instskip(SKIP_1) | instid1(VALU_DEP_2)
	v_dual_lshlrev_b32 v7, 24, v7 :: v_dual_bitop2_b32 v12, 3, v9 bitop3:0x40
	v_bfe_u32 v17, v9, 2, 5
	v_and_b32_e32 v7, 0x80000000, v7
	s_delay_alu instid0(VALU_DEP_3) | instskip(NEXT) | instid1(VALU_DEP_3)
	v_clz_i32_u32_e32 v13, v12
	v_cmp_eq_u32_e32 vcc_lo, 0, v17
	s_delay_alu instid0(VALU_DEP_2) | instskip(NEXT) | instid1(VALU_DEP_1)
	v_min_u32_e32 v13, 32, v13
	v_subrev_nc_u32_e32 v15, 29, v13
	v_sub_nc_u32_e32 v13, 30, v13
	s_delay_alu instid0(VALU_DEP_2) | instskip(NEXT) | instid1(VALU_DEP_2)
	v_lshlrev_b32_e32 v9, v15, v9
	v_cndmask_b32_e32 v13, v17, v13, vcc_lo
	s_delay_alu instid0(VALU_DEP_2) | instskip(NEXT) | instid1(VALU_DEP_1)
	v_and_b32_e32 v9, 3, v9
	v_cndmask_b32_e32 v9, v12, v9, vcc_lo
	s_delay_alu instid0(VALU_DEP_3) | instskip(NEXT) | instid1(VALU_DEP_2)
	v_lshl_add_u32 v12, v13, 23, 0x37800000
	v_lshlrev_b32_e32 v9, 21, v9
	s_delay_alu instid0(VALU_DEP_1)
	v_or3_b32 v12, v7, v12, v9
.LBB40_2468:
	s_or_b32 exec_lo, exec_lo, s13
	s_mov_b32 s7, 0
	s_branch .LBB40_2474
.LBB40_2469:
	s_mov_b32 s7, -1
                                        ; implicit-def: $vgpr12
	s_branch .LBB40_2480
.LBB40_2470:
	s_or_saveexec_b32 s14, s14
	v_mov_b32_e32 v12, 0x7f800001
	s_xor_b32 exec_lo, exec_lo, s14
	s_cbranch_execz .LBB40_2453
.LBB40_2471:
	v_cmp_ne_u16_e32 vcc_lo, 0, v7
	v_mov_b32_e32 v12, 0
	s_and_not1_b32 s13, s13, exec_lo
	s_and_b32 s15, vcc_lo, exec_lo
	s_delay_alu instid0(SALU_CYCLE_1)
	s_or_b32 s13, s13, s15
	s_or_b32 exec_lo, exec_lo, s14
	s_and_saveexec_b32 s14, s13
	s_cbranch_execnz .LBB40_2454
	s_branch .LBB40_2455
.LBB40_2472:
	s_mov_b32 s7, -1
                                        ; implicit-def: $vgpr12
	s_branch .LBB40_2477
.LBB40_2473:
	s_mov_b32 s7, -1
                                        ; implicit-def: $vgpr12
.LBB40_2474:
	s_delay_alu instid0(SALU_CYCLE_1)
	s_and_b32 vcc_lo, exec_lo, s7
	s_cbranch_vccz .LBB40_2476
; %bb.2475:
	global_load_u8 v7, v[10:11], off
	s_wait_loadcnt 0x0
	v_lshlrev_b32_e32 v7, 24, v7
	s_delay_alu instid0(VALU_DEP_1) | instskip(SKIP_1) | instid1(VALU_DEP_1)
	v_and_b32_e32 v9, 0x7f000000, v7
	s_wait_xcnt 0x1
	v_clz_i32_u32_e32 v12, v9
	v_add_nc_u32_e32 v15, 0x1000000, v9
	v_cmp_ne_u32_e32 vcc_lo, 0, v9
	s_delay_alu instid0(VALU_DEP_3) | instskip(NEXT) | instid1(VALU_DEP_1)
	v_min_u32_e32 v12, 32, v12
	v_sub_nc_u32_e64 v12, v12, 4 clamp
	s_delay_alu instid0(VALU_DEP_1) | instskip(NEXT) | instid1(VALU_DEP_1)
	v_dual_lshlrev_b32 v13, v12, v9 :: v_dual_lshlrev_b32 v12, 23, v12
	v_lshrrev_b32_e32 v13, 4, v13
	s_delay_alu instid0(VALU_DEP_1) | instskip(NEXT) | instid1(VALU_DEP_1)
	v_dual_sub_nc_u32 v12, v13, v12 :: v_dual_ashrrev_i32 v13, 8, v15
	v_add_nc_u32_e32 v12, 0x3c000000, v12
	s_delay_alu instid0(VALU_DEP_1) | instskip(NEXT) | instid1(VALU_DEP_1)
	v_and_or_b32 v12, 0x7f800000, v13, v12
	v_cndmask_b32_e32 v9, 0, v12, vcc_lo
	s_delay_alu instid0(VALU_DEP_1)
	v_and_or_b32 v12, 0x80000000, v7, v9
.LBB40_2476:
	s_mov_b32 s7, 0
.LBB40_2477:
	s_delay_alu instid0(SALU_CYCLE_1)
	s_and_not1_b32 vcc_lo, exec_lo, s7
	s_cbranch_vccnz .LBB40_2479
; %bb.2478:
	global_load_u8 v7, v[10:11], off
	s_wait_loadcnt 0x0
	v_lshlrev_b32_e32 v9, 25, v7
	v_lshlrev_b16 v7, 8, v7
	s_wait_xcnt 0x1
	s_delay_alu instid0(VALU_DEP_1) | instskip(SKIP_1) | instid1(VALU_DEP_2)
	v_and_or_b32 v13, 0x7f00, v7, 0.5
	v_bfe_i32 v7, v7, 0, 16
	v_add_f32_e32 v13, -0.5, v13
	v_lshrrev_b32_e32 v12, 4, v9
	v_cmp_gt_u32_e32 vcc_lo, 0x8000000, v9
	s_delay_alu instid0(VALU_DEP_2) | instskip(NEXT) | instid1(VALU_DEP_1)
	v_or_b32_e32 v12, 0x70000000, v12
	v_mul_f32_e32 v12, 0x7800000, v12
	s_delay_alu instid0(VALU_DEP_1) | instskip(NEXT) | instid1(VALU_DEP_1)
	v_cndmask_b32_e32 v9, v12, v13, vcc_lo
	v_and_or_b32 v12, 0x80000000, v7, v9
.LBB40_2479:
	s_mov_b32 s7, 0
	s_mov_b32 s13, -1
.LBB40_2480:
	s_and_not1_b32 vcc_lo, exec_lo, s7
	s_mov_b32 s7, 0
	s_cbranch_vccnz .LBB40_2491
; %bb.2481:
	s_cmp_gt_i32 s11, 14
	s_cbranch_scc0 .LBB40_2484
; %bb.2482:
	s_cmp_eq_u32 s11, 15
	s_cbranch_scc0 .LBB40_2487
; %bb.2483:
	global_load_u16 v7, v[10:11], off
	s_mov_b32 s6, 0
	s_mov_b32 s13, -1
	s_wait_loadcnt 0x0
	s_wait_xcnt 0x1
	v_lshlrev_b32_e32 v12, 16, v7
	s_branch .LBB40_2489
.LBB40_2484:
	s_mov_b32 s7, -1
	s_branch .LBB40_2488
.LBB40_2485:
	s_or_saveexec_b32 s13, s13
	v_mov_b32_e32 v12, 0x7f800001
	s_xor_b32 exec_lo, exec_lo, s13
	s_cbranch_execz .LBB40_2466
.LBB40_2486:
	v_cmp_ne_u16_e32 vcc_lo, 0, v7
	v_mov_b32_e32 v12, 0
	s_and_not1_b32 s7, s7, exec_lo
	s_and_b32 s14, vcc_lo, exec_lo
	s_delay_alu instid0(SALU_CYCLE_1)
	s_or_b32 s7, s7, s14
	s_or_b32 exec_lo, exec_lo, s13
	s_and_saveexec_b32 s13, s7
	s_cbranch_execnz .LBB40_2467
	s_branch .LBB40_2468
.LBB40_2487:
	s_mov_b32 s6, -1
.LBB40_2488:
                                        ; implicit-def: $vgpr12
.LBB40_2489:
	s_and_b32 vcc_lo, exec_lo, s7
	s_mov_b32 s7, 0
	s_cbranch_vccz .LBB40_2491
; %bb.2490:
	s_cmp_lg_u32 s11, 11
	s_mov_b32 s7, -1
	s_cselect_b32 s6, -1, 0
.LBB40_2491:
	s_delay_alu instid0(SALU_CYCLE_1)
	s_and_b32 vcc_lo, exec_lo, s6
	s_cbranch_vccnz .LBB40_2556
; %bb.2492:
	s_and_not1_b32 vcc_lo, exec_lo, s7
	s_cbranch_vccnz .LBB40_2494
.LBB40_2493:
	global_load_u8 v7, v[10:11], off
	s_mov_b32 s13, -1
	s_wait_loadcnt 0x0
	v_cmp_ne_u16_e32 vcc_lo, 0, v7
	s_wait_xcnt 0x1
	v_cndmask_b32_e64 v12, 0, 1.0, vcc_lo
.LBB40_2494:
	s_mov_b32 s6, 0
.LBB40_2495:
	s_delay_alu instid0(SALU_CYCLE_1)
	s_and_b32 vcc_lo, exec_lo, s6
	s_cbranch_vccz .LBB40_2544
; %bb.2496:
	s_cmp_lt_i32 s11, 5
	s_cbranch_scc1 .LBB40_2501
; %bb.2497:
	s_cmp_lt_i32 s11, 8
	s_cbranch_scc1 .LBB40_2502
	;; [unrolled: 3-line block ×3, first 2 shown]
; %bb.2499:
	s_cmp_gt_i32 s11, 9
	s_cbranch_scc0 .LBB40_2504
; %bb.2500:
	global_load_b64 v[12:13], v[10:11], off
	s_mov_b32 s6, 0
	s_wait_loadcnt 0x0
	v_cvt_f32_f64_e32 v12, v[12:13]
	s_branch .LBB40_2505
.LBB40_2501:
	s_mov_b32 s6, -1
                                        ; implicit-def: $vgpr12
	s_branch .LBB40_2523
.LBB40_2502:
	s_mov_b32 s6, -1
                                        ; implicit-def: $vgpr12
	s_branch .LBB40_2511
.LBB40_2503:
	s_mov_b32 s6, -1
                                        ; implicit-def: $vgpr12
	s_branch .LBB40_2508
.LBB40_2504:
	s_mov_b32 s6, -1
                                        ; implicit-def: $vgpr12
.LBB40_2505:
	s_delay_alu instid0(SALU_CYCLE_1)
	s_and_not1_b32 vcc_lo, exec_lo, s6
	s_cbranch_vccnz .LBB40_2507
; %bb.2506:
	global_load_b32 v12, v[10:11], off
.LBB40_2507:
	s_mov_b32 s6, 0
.LBB40_2508:
	s_delay_alu instid0(SALU_CYCLE_1)
	s_and_not1_b32 vcc_lo, exec_lo, s6
	s_cbranch_vccnz .LBB40_2510
; %bb.2509:
	global_load_b32 v7, v[10:11], off
	s_wait_loadcnt 0x0
	s_wait_xcnt 0x1
	v_cvt_f32_f16_e32 v12, v7
.LBB40_2510:
	s_mov_b32 s6, 0
.LBB40_2511:
	s_delay_alu instid0(SALU_CYCLE_1)
	s_and_not1_b32 vcc_lo, exec_lo, s6
	s_cbranch_vccnz .LBB40_2522
; %bb.2512:
	s_cmp_lt_i32 s11, 6
	s_cbranch_scc1 .LBB40_2515
; %bb.2513:
	s_cmp_gt_i32 s11, 6
	s_cbranch_scc0 .LBB40_2516
; %bb.2514:
	s_wait_loadcnt 0x0
	global_load_b64 v[12:13], v[10:11], off
	s_mov_b32 s6, 0
	s_wait_loadcnt 0x0
	v_cvt_f32_f64_e32 v12, v[12:13]
	s_branch .LBB40_2517
.LBB40_2515:
	s_mov_b32 s6, -1
                                        ; implicit-def: $vgpr12
	s_branch .LBB40_2520
.LBB40_2516:
	s_mov_b32 s6, -1
                                        ; implicit-def: $vgpr12
.LBB40_2517:
	s_delay_alu instid0(SALU_CYCLE_1)
	s_and_not1_b32 vcc_lo, exec_lo, s6
	s_cbranch_vccnz .LBB40_2519
; %bb.2518:
	s_wait_loadcnt 0x0
	global_load_b32 v12, v[10:11], off
.LBB40_2519:
	s_mov_b32 s6, 0
.LBB40_2520:
	s_delay_alu instid0(SALU_CYCLE_1)
	s_and_not1_b32 vcc_lo, exec_lo, s6
	s_cbranch_vccnz .LBB40_2522
; %bb.2521:
	global_load_u16 v7, v[10:11], off
	s_wait_loadcnt 0x0
	s_wait_xcnt 0x1
	v_cvt_f32_f16_e32 v12, v7
.LBB40_2522:
	s_mov_b32 s6, 0
.LBB40_2523:
	s_delay_alu instid0(SALU_CYCLE_1)
	s_and_not1_b32 vcc_lo, exec_lo, s6
	s_cbranch_vccnz .LBB40_2543
; %bb.2524:
	s_cmp_lt_i32 s11, 2
	s_cbranch_scc1 .LBB40_2528
; %bb.2525:
	s_cmp_lt_i32 s11, 3
	s_cbranch_scc1 .LBB40_2529
; %bb.2526:
	s_cmp_gt_i32 s11, 3
	s_cbranch_scc0 .LBB40_2530
; %bb.2527:
	s_wait_loadcnt 0x0
	global_load_b64 v[12:13], v[10:11], off
	s_mov_b32 s6, 0
	s_wait_loadcnt 0x0
	v_xor_b32_e32 v7, v12, v13
	v_cls_i32_e32 v9, v13
	s_delay_alu instid0(VALU_DEP_2) | instskip(NEXT) | instid1(VALU_DEP_1)
	v_ashrrev_i32_e32 v7, 31, v7
	v_add_nc_u32_e32 v7, 32, v7
	s_delay_alu instid0(VALU_DEP_1) | instskip(NEXT) | instid1(VALU_DEP_1)
	v_add_min_u32_e64 v7, v9, -1, v7
	v_lshlrev_b64_e32 v[12:13], v7, v[12:13]
	v_sub_nc_u32_e32 v7, 32, v7
	s_delay_alu instid0(VALU_DEP_2) | instskip(NEXT) | instid1(VALU_DEP_1)
	v_min_u32_e32 v9, 1, v12
	v_or_b32_e32 v9, v13, v9
	s_delay_alu instid0(VALU_DEP_1) | instskip(NEXT) | instid1(VALU_DEP_1)
	v_cvt_f32_i32_e32 v9, v9
	v_ldexp_f32 v12, v9, v7
	s_branch .LBB40_2531
.LBB40_2528:
	s_mov_b32 s6, -1
                                        ; implicit-def: $vgpr12
	s_branch .LBB40_2537
.LBB40_2529:
	s_mov_b32 s6, -1
                                        ; implicit-def: $vgpr12
	s_branch .LBB40_2534
.LBB40_2530:
	s_mov_b32 s6, -1
                                        ; implicit-def: $vgpr12
.LBB40_2531:
	s_delay_alu instid0(SALU_CYCLE_1)
	s_and_not1_b32 vcc_lo, exec_lo, s6
	s_cbranch_vccnz .LBB40_2533
; %bb.2532:
	global_load_b32 v7, v[10:11], off
	s_wait_loadcnt 0x0
	s_wait_xcnt 0x1
	v_cvt_f32_i32_e32 v12, v7
.LBB40_2533:
	s_mov_b32 s6, 0
.LBB40_2534:
	s_delay_alu instid0(SALU_CYCLE_1)
	s_and_not1_b32 vcc_lo, exec_lo, s6
	s_cbranch_vccnz .LBB40_2536
; %bb.2535:
	global_load_i16 v7, v[10:11], off
	s_wait_loadcnt 0x0
	s_wait_xcnt 0x1
	v_cvt_f32_i32_e32 v12, v7
.LBB40_2536:
	s_mov_b32 s6, 0
.LBB40_2537:
	s_delay_alu instid0(SALU_CYCLE_1)
	s_and_not1_b32 vcc_lo, exec_lo, s6
	s_cbranch_vccnz .LBB40_2543
; %bb.2538:
	s_cmp_gt_i32 s11, 0
	s_mov_b32 s6, 0
	s_cbranch_scc0 .LBB40_2540
; %bb.2539:
	global_load_i8 v7, v[10:11], off
	s_wait_loadcnt 0x0
	s_wait_xcnt 0x1
	v_cvt_f32_i32_e32 v12, v7
	s_branch .LBB40_2541
.LBB40_2540:
	s_mov_b32 s6, -1
                                        ; implicit-def: $vgpr12
.LBB40_2541:
	s_delay_alu instid0(SALU_CYCLE_1)
	s_and_not1_b32 vcc_lo, exec_lo, s6
	s_cbranch_vccnz .LBB40_2543
; %bb.2542:
	global_load_u8 v7, v[10:11], off
	s_wait_loadcnt 0x0
	s_wait_xcnt 0x1
	v_cvt_f32_ubyte0_e32 v12, v7
.LBB40_2543:
	s_mov_b32 s13, -1
.LBB40_2544:
	s_delay_alu instid0(SALU_CYCLE_1)
	s_and_not1_b32 vcc_lo, exec_lo, s13
	s_cbranch_vccnz .LBB40_3106
; %bb.2545:
	v_mov_b32_e32 v9, 0
	s_cmp_lt_i32 s12, 11
	s_delay_alu instid0(VALU_DEP_1)
	v_add_nc_u64_e32 v[8:9], s[0:1], v[8:9]
	s_cbranch_scc1 .LBB40_2552
; %bb.2546:
	s_cmp_gt_i32 s12, 25
	s_mov_b32 s1, 0
	s_cbranch_scc0 .LBB40_2553
; %bb.2547:
	s_cmp_gt_i32 s12, 28
	s_cbranch_scc0 .LBB40_2554
; %bb.2548:
	s_cmp_gt_i32 s12, 43
	;; [unrolled: 3-line block ×3, first 2 shown]
	s_cbranch_scc0 .LBB40_2557
; %bb.2550:
	s_cmp_eq_u32 s12, 46
	s_mov_b32 s7, 0
	s_cbranch_scc0 .LBB40_2558
; %bb.2551:
	global_load_b32 v7, v[8:9], off
	s_mov_b32 s0, 0
	s_mov_b32 s6, -1
	s_wait_loadcnt 0x0
	s_wait_xcnt 0x1
	v_lshlrev_b32_e32 v10, 16, v7
	s_branch .LBB40_2560
.LBB40_2552:
	s_mov_b32 s0, -1
	s_mov_b32 s6, 0
                                        ; implicit-def: $vgpr10
	s_branch .LBB40_2626
.LBB40_2553:
	s_mov_b32 s7, -1
	s_mov_b32 s6, 0
	s_mov_b32 s0, 0
                                        ; implicit-def: $vgpr10
	s_branch .LBB40_2589
.LBB40_2554:
	s_mov_b32 s7, -1
	s_mov_b32 s6, 0
	s_mov_b32 s0, 0
                                        ; implicit-def: $vgpr10
	s_branch .LBB40_2570
.LBB40_2555:
	s_mov_b32 s7, -1
	s_mov_b32 s6, 0
	s_mov_b32 s0, 0
                                        ; implicit-def: $vgpr10
	s_branch .LBB40_2565
.LBB40_2556:
	s_or_b32 s10, s10, exec_lo
	s_trap 2
	s_cbranch_execz .LBB40_2493
	s_branch .LBB40_2494
.LBB40_2557:
	s_mov_b32 s7, -1
	s_mov_b32 s6, 0
	s_mov_b32 s0, 0
	s_branch .LBB40_2559
.LBB40_2558:
	s_mov_b32 s0, -1
	s_mov_b32 s6, 0
.LBB40_2559:
                                        ; implicit-def: $vgpr10
.LBB40_2560:
	s_and_b32 vcc_lo, exec_lo, s7
	s_cbranch_vccz .LBB40_2564
; %bb.2561:
	s_cmp_eq_u32 s12, 44
	s_cbranch_scc0 .LBB40_2563
; %bb.2562:
	global_load_u8 v7, v[8:9], off
	s_mov_b32 s0, 0
	s_mov_b32 s6, -1
	s_wait_loadcnt 0x0
	s_wait_xcnt 0x1
	v_lshlrev_b32_e32 v10, 23, v7
	v_cmp_ne_u32_e32 vcc_lo, 0xff, v7
	s_delay_alu instid0(VALU_DEP_2) | instskip(SKIP_1) | instid1(VALU_DEP_2)
	v_cndmask_b32_e32 v10, 0x7f800001, v10, vcc_lo
	v_cmp_ne_u32_e32 vcc_lo, 0, v7
	v_cndmask_b32_e32 v10, 0x400000, v10, vcc_lo
	s_branch .LBB40_2564
.LBB40_2563:
	s_mov_b32 s0, -1
                                        ; implicit-def: $vgpr10
.LBB40_2564:
	s_mov_b32 s7, 0
.LBB40_2565:
	s_delay_alu instid0(SALU_CYCLE_1)
	s_and_b32 vcc_lo, exec_lo, s7
	s_cbranch_vccz .LBB40_2569
; %bb.2566:
	s_cmp_eq_u32 s12, 29
	s_cbranch_scc0 .LBB40_2568
; %bb.2567:
	global_load_b64 v[10:11], v[8:9], off
	s_mov_b32 s0, 0
	s_mov_b32 s6, -1
	s_mov_b32 s7, 0
	s_wait_loadcnt 0x0
	v_clz_i32_u32_e32 v7, v11
	s_delay_alu instid0(VALU_DEP_1) | instskip(NEXT) | instid1(VALU_DEP_1)
	v_min_u32_e32 v7, 32, v7
	v_lshlrev_b64_e32 v[10:11], v7, v[10:11]
	v_sub_nc_u32_e32 v7, 32, v7
	s_delay_alu instid0(VALU_DEP_2) | instskip(NEXT) | instid1(VALU_DEP_1)
	v_min_u32_e32 v10, 1, v10
	v_or_b32_e32 v10, v11, v10
	s_delay_alu instid0(VALU_DEP_1) | instskip(NEXT) | instid1(VALU_DEP_1)
	v_cvt_f32_u32_e32 v10, v10
	v_ldexp_f32 v10, v10, v7
	s_branch .LBB40_2570
.LBB40_2568:
	s_mov_b32 s0, -1
                                        ; implicit-def: $vgpr10
.LBB40_2569:
	s_mov_b32 s7, 0
.LBB40_2570:
	s_delay_alu instid0(SALU_CYCLE_1)
	s_and_b32 vcc_lo, exec_lo, s7
	s_cbranch_vccz .LBB40_2588
; %bb.2571:
	s_cmp_lt_i32 s12, 27
	s_cbranch_scc1 .LBB40_2574
; %bb.2572:
	s_cmp_gt_i32 s12, 27
	s_cbranch_scc0 .LBB40_2575
; %bb.2573:
	global_load_b32 v7, v[8:9], off
	s_mov_b32 s6, 0
	s_wait_loadcnt 0x0
	s_wait_xcnt 0x1
	v_cvt_f32_u32_e32 v10, v7
	s_branch .LBB40_2576
.LBB40_2574:
	s_mov_b32 s6, -1
                                        ; implicit-def: $vgpr10
	s_branch .LBB40_2579
.LBB40_2575:
	s_mov_b32 s6, -1
                                        ; implicit-def: $vgpr10
.LBB40_2576:
	s_delay_alu instid0(SALU_CYCLE_1)
	s_and_not1_b32 vcc_lo, exec_lo, s6
	s_cbranch_vccnz .LBB40_2578
; %bb.2577:
	global_load_u16 v7, v[8:9], off
	s_wait_loadcnt 0x0
	s_wait_xcnt 0x1
	v_cvt_f32_u32_e32 v10, v7
.LBB40_2578:
	s_mov_b32 s6, 0
.LBB40_2579:
	s_delay_alu instid0(SALU_CYCLE_1)
	s_and_not1_b32 vcc_lo, exec_lo, s6
	s_cbranch_vccnz .LBB40_2587
; %bb.2580:
	global_load_u8 v7, v[8:9], off
	s_mov_b32 s6, 0
	s_mov_b32 s7, exec_lo
	s_wait_loadcnt 0x0
	v_cmpx_lt_i16_e32 0x7f, v7
	s_xor_b32 s7, exec_lo, s7
	s_cbranch_execz .LBB40_2601
; %bb.2581:
	s_mov_b32 s6, -1
	s_mov_b32 s11, exec_lo
	v_cmpx_eq_u16_e32 0x80, v7
; %bb.2582:
	s_xor_b32 s6, exec_lo, -1
; %bb.2583:
	s_or_b32 exec_lo, exec_lo, s11
	s_delay_alu instid0(SALU_CYCLE_1)
	s_and_b32 s6, s6, exec_lo
	s_or_saveexec_b32 s7, s7
	v_mov_b32_e32 v10, 0x7f800001
	s_xor_b32 exec_lo, exec_lo, s7
	s_cbranch_execnz .LBB40_2602
.LBB40_2584:
	s_or_b32 exec_lo, exec_lo, s7
	s_and_saveexec_b32 s7, s6
	s_cbranch_execz .LBB40_2586
.LBB40_2585:
	v_and_b32_e32 v10, 0xffff, v7
	s_delay_alu instid0(VALU_DEP_1) | instskip(SKIP_1) | instid1(VALU_DEP_2)
	v_and_b32_e32 v11, 7, v10
	v_bfe_u32 v17, v10, 3, 4
	v_clz_i32_u32_e32 v13, v11
	s_delay_alu instid0(VALU_DEP_2) | instskip(NEXT) | instid1(VALU_DEP_2)
	v_cmp_eq_u32_e32 vcc_lo, 0, v17
	v_min_u32_e32 v13, 32, v13
	s_delay_alu instid0(VALU_DEP_1) | instskip(NEXT) | instid1(VALU_DEP_1)
	v_subrev_nc_u32_e32 v15, 28, v13
	v_dual_lshlrev_b32 v10, v15, v10 :: v_dual_sub_nc_u32 v13, 29, v13
	s_delay_alu instid0(VALU_DEP_1) | instskip(NEXT) | instid1(VALU_DEP_1)
	v_dual_lshlrev_b32 v7, 24, v7 :: v_dual_bitop2_b32 v10, 7, v10 bitop3:0x40
	v_dual_cndmask_b32 v13, v17, v13 :: v_dual_cndmask_b32 v10, v11, v10
	s_delay_alu instid0(VALU_DEP_2) | instskip(NEXT) | instid1(VALU_DEP_2)
	v_and_b32_e32 v7, 0x80000000, v7
	v_lshl_add_u32 v11, v13, 23, 0x3b800000
	s_delay_alu instid0(VALU_DEP_3) | instskip(NEXT) | instid1(VALU_DEP_1)
	v_lshlrev_b32_e32 v10, 20, v10
	v_or3_b32 v10, v7, v11, v10
.LBB40_2586:
	s_or_b32 exec_lo, exec_lo, s7
.LBB40_2587:
	s_mov_b32 s6, -1
.LBB40_2588:
	s_mov_b32 s7, 0
.LBB40_2589:
	s_delay_alu instid0(SALU_CYCLE_1)
	s_and_b32 vcc_lo, exec_lo, s7
	s_cbranch_vccz .LBB40_2622
; %bb.2590:
	s_cmp_gt_i32 s12, 22
	s_cbranch_scc0 .LBB40_2600
; %bb.2591:
	s_cmp_lt_i32 s12, 24
	s_cbranch_scc1 .LBB40_2603
; %bb.2592:
	s_cmp_gt_i32 s12, 24
	s_cbranch_scc0 .LBB40_2604
; %bb.2593:
	global_load_u8 v7, v[8:9], off
	s_mov_b32 s6, exec_lo
	s_wait_loadcnt 0x0
	v_cmpx_lt_i16_e32 0x7f, v7
	s_xor_b32 s6, exec_lo, s6
	s_cbranch_execz .LBB40_2616
; %bb.2594:
	s_mov_b32 s1, -1
	s_mov_b32 s7, exec_lo
	v_cmpx_eq_u16_e32 0x80, v7
; %bb.2595:
	s_xor_b32 s1, exec_lo, -1
; %bb.2596:
	s_or_b32 exec_lo, exec_lo, s7
	s_delay_alu instid0(SALU_CYCLE_1)
	s_and_b32 s1, s1, exec_lo
	s_or_saveexec_b32 s6, s6
	v_mov_b32_e32 v10, 0x7f800001
	s_xor_b32 exec_lo, exec_lo, s6
	s_cbranch_execnz .LBB40_2617
.LBB40_2597:
	s_or_b32 exec_lo, exec_lo, s6
	s_and_saveexec_b32 s6, s1
	s_cbranch_execz .LBB40_2599
.LBB40_2598:
	v_and_b32_e32 v10, 0xffff, v7
	s_delay_alu instid0(VALU_DEP_1) | instskip(SKIP_1) | instid1(VALU_DEP_2)
	v_and_b32_e32 v11, 3, v10
	v_bfe_u32 v17, v10, 2, 5
	v_clz_i32_u32_e32 v13, v11
	s_delay_alu instid0(VALU_DEP_2) | instskip(NEXT) | instid1(VALU_DEP_2)
	v_cmp_eq_u32_e32 vcc_lo, 0, v17
	v_min_u32_e32 v13, 32, v13
	s_delay_alu instid0(VALU_DEP_1) | instskip(NEXT) | instid1(VALU_DEP_1)
	v_subrev_nc_u32_e32 v15, 29, v13
	v_dual_lshlrev_b32 v10, v15, v10 :: v_dual_sub_nc_u32 v13, 30, v13
	s_delay_alu instid0(VALU_DEP_1) | instskip(NEXT) | instid1(VALU_DEP_1)
	v_dual_lshlrev_b32 v7, 24, v7 :: v_dual_bitop2_b32 v10, 3, v10 bitop3:0x40
	v_dual_cndmask_b32 v13, v17, v13 :: v_dual_cndmask_b32 v10, v11, v10
	s_delay_alu instid0(VALU_DEP_2) | instskip(NEXT) | instid1(VALU_DEP_2)
	v_and_b32_e32 v7, 0x80000000, v7
	v_lshl_add_u32 v11, v13, 23, 0x37800000
	s_delay_alu instid0(VALU_DEP_3) | instskip(NEXT) | instid1(VALU_DEP_1)
	v_lshlrev_b32_e32 v10, 21, v10
	v_or3_b32 v10, v7, v11, v10
.LBB40_2599:
	s_or_b32 exec_lo, exec_lo, s6
	s_mov_b32 s1, 0
	s_branch .LBB40_2605
.LBB40_2600:
	s_mov_b32 s1, -1
                                        ; implicit-def: $vgpr10
	s_branch .LBB40_2611
.LBB40_2601:
	s_or_saveexec_b32 s7, s7
	v_mov_b32_e32 v10, 0x7f800001
	s_xor_b32 exec_lo, exec_lo, s7
	s_cbranch_execz .LBB40_2584
.LBB40_2602:
	v_cmp_ne_u16_e32 vcc_lo, 0, v7
	v_mov_b32_e32 v10, 0
	s_and_not1_b32 s6, s6, exec_lo
	s_and_b32 s11, vcc_lo, exec_lo
	s_delay_alu instid0(SALU_CYCLE_1)
	s_or_b32 s6, s6, s11
	s_or_b32 exec_lo, exec_lo, s7
	s_and_saveexec_b32 s7, s6
	s_cbranch_execnz .LBB40_2585
	s_branch .LBB40_2586
.LBB40_2603:
	s_mov_b32 s1, -1
                                        ; implicit-def: $vgpr10
	s_branch .LBB40_2608
.LBB40_2604:
	s_mov_b32 s1, -1
                                        ; implicit-def: $vgpr10
.LBB40_2605:
	s_delay_alu instid0(SALU_CYCLE_1)
	s_and_b32 vcc_lo, exec_lo, s1
	s_cbranch_vccz .LBB40_2607
; %bb.2606:
	global_load_u8 v7, v[8:9], off
	s_wait_loadcnt 0x0
	v_lshlrev_b32_e32 v7, 24, v7
	s_wait_xcnt 0x1
	s_delay_alu instid0(VALU_DEP_1) | instskip(NEXT) | instid1(VALU_DEP_1)
	v_and_b32_e32 v10, 0x7f000000, v7
	v_clz_i32_u32_e32 v11, v10
	v_cmp_ne_u32_e32 vcc_lo, 0, v10
	v_add_nc_u32_e32 v15, 0x1000000, v10
	s_delay_alu instid0(VALU_DEP_3) | instskip(NEXT) | instid1(VALU_DEP_1)
	v_min_u32_e32 v11, 32, v11
	v_sub_nc_u32_e64 v11, v11, 4 clamp
	s_delay_alu instid0(VALU_DEP_1) | instskip(NEXT) | instid1(VALU_DEP_1)
	v_dual_lshlrev_b32 v13, v11, v10 :: v_dual_lshlrev_b32 v11, 23, v11
	v_lshrrev_b32_e32 v13, 4, v13
	s_delay_alu instid0(VALU_DEP_1) | instskip(SKIP_1) | instid1(VALU_DEP_2)
	v_sub_nc_u32_e32 v11, v13, v11
	v_ashrrev_i32_e32 v13, 8, v15
	v_add_nc_u32_e32 v11, 0x3c000000, v11
	s_delay_alu instid0(VALU_DEP_1) | instskip(NEXT) | instid1(VALU_DEP_1)
	v_and_or_b32 v11, 0x7f800000, v13, v11
	v_cndmask_b32_e32 v10, 0, v11, vcc_lo
	s_delay_alu instid0(VALU_DEP_1)
	v_and_or_b32 v10, 0x80000000, v7, v10
.LBB40_2607:
	s_mov_b32 s1, 0
.LBB40_2608:
	s_delay_alu instid0(SALU_CYCLE_1)
	s_and_not1_b32 vcc_lo, exec_lo, s1
	s_cbranch_vccnz .LBB40_2610
; %bb.2609:
	global_load_u8 v7, v[8:9], off
	s_wait_loadcnt 0x0
	s_wait_xcnt 0x1
	v_lshlrev_b32_e32 v10, 25, v7
	v_lshlrev_b16 v7, 8, v7
	s_delay_alu instid0(VALU_DEP_1) | instskip(SKIP_1) | instid1(VALU_DEP_2)
	v_and_or_b32 v13, 0x7f00, v7, 0.5
	v_bfe_i32 v7, v7, 0, 16
	v_dual_add_f32 v13, -0.5, v13 :: v_dual_lshrrev_b32 v11, 4, v10
	v_cmp_gt_u32_e32 vcc_lo, 0x8000000, v10
	s_delay_alu instid0(VALU_DEP_2) | instskip(NEXT) | instid1(VALU_DEP_1)
	v_or_b32_e32 v11, 0x70000000, v11
	v_mul_f32_e32 v11, 0x7800000, v11
	s_delay_alu instid0(VALU_DEP_1) | instskip(NEXT) | instid1(VALU_DEP_1)
	v_cndmask_b32_e32 v10, v11, v13, vcc_lo
	v_and_or_b32 v10, 0x80000000, v7, v10
.LBB40_2610:
	s_mov_b32 s1, 0
	s_mov_b32 s6, -1
.LBB40_2611:
	s_and_not1_b32 vcc_lo, exec_lo, s1
	s_mov_b32 s1, 0
	s_cbranch_vccnz .LBB40_2622
; %bb.2612:
	s_cmp_gt_i32 s12, 14
	s_cbranch_scc0 .LBB40_2615
; %bb.2613:
	s_cmp_eq_u32 s12, 15
	s_cbranch_scc0 .LBB40_2618
; %bb.2614:
	global_load_u16 v7, v[8:9], off
	s_mov_b32 s0, 0
	s_mov_b32 s6, -1
	s_wait_loadcnt 0x0
	s_wait_xcnt 0x1
	v_lshlrev_b32_e32 v10, 16, v7
	s_branch .LBB40_2620
.LBB40_2615:
	s_mov_b32 s1, -1
	s_branch .LBB40_2619
.LBB40_2616:
	s_or_saveexec_b32 s6, s6
	v_mov_b32_e32 v10, 0x7f800001
	s_xor_b32 exec_lo, exec_lo, s6
	s_cbranch_execz .LBB40_2597
.LBB40_2617:
	v_cmp_ne_u16_e32 vcc_lo, 0, v7
	v_mov_b32_e32 v10, 0
	s_and_not1_b32 s1, s1, exec_lo
	s_and_b32 s7, vcc_lo, exec_lo
	s_delay_alu instid0(SALU_CYCLE_1)
	s_or_b32 s1, s1, s7
	s_or_b32 exec_lo, exec_lo, s6
	s_and_saveexec_b32 s6, s1
	s_cbranch_execnz .LBB40_2598
	s_branch .LBB40_2599
.LBB40_2618:
	s_mov_b32 s0, -1
.LBB40_2619:
                                        ; implicit-def: $vgpr10
.LBB40_2620:
	s_and_b32 vcc_lo, exec_lo, s1
	s_mov_b32 s1, 0
	s_cbranch_vccz .LBB40_2622
; %bb.2621:
	s_cmp_lg_u32 s12, 11
	s_mov_b32 s1, -1
	s_cselect_b32 s0, -1, 0
.LBB40_2622:
	s_delay_alu instid0(SALU_CYCLE_1)
	s_and_b32 vcc_lo, exec_lo, s0
	s_cbranch_vccnz .LBB40_3151
; %bb.2623:
	s_and_not1_b32 vcc_lo, exec_lo, s1
	s_cbranch_vccnz .LBB40_2625
.LBB40_2624:
	global_load_u8 v7, v[8:9], off
	s_mov_b32 s6, -1
	s_wait_loadcnt 0x0
	v_cmp_ne_u16_e32 vcc_lo, 0, v7
	s_wait_xcnt 0x1
	v_cndmask_b32_e64 v10, 0, 1.0, vcc_lo
.LBB40_2625:
	s_mov_b32 s0, 0
.LBB40_2626:
	s_delay_alu instid0(SALU_CYCLE_1)
	s_and_b32 vcc_lo, exec_lo, s0
	s_cbranch_vccz .LBB40_2675
; %bb.2627:
	s_cmp_lt_i32 s12, 5
	s_cbranch_scc1 .LBB40_2632
; %bb.2628:
	s_cmp_lt_i32 s12, 8
	s_cbranch_scc1 .LBB40_2633
	;; [unrolled: 3-line block ×3, first 2 shown]
; %bb.2630:
	s_cmp_gt_i32 s12, 9
	s_cbranch_scc0 .LBB40_2635
; %bb.2631:
	global_load_b64 v[10:11], v[8:9], off
	s_mov_b32 s0, 0
	s_wait_loadcnt 0x0
	v_cvt_f32_f64_e32 v10, v[10:11]
	s_branch .LBB40_2636
.LBB40_2632:
	s_mov_b32 s0, -1
                                        ; implicit-def: $vgpr10
	s_branch .LBB40_2654
.LBB40_2633:
	s_mov_b32 s0, -1
                                        ; implicit-def: $vgpr10
	s_branch .LBB40_2642
.LBB40_2634:
	s_mov_b32 s0, -1
                                        ; implicit-def: $vgpr10
	s_branch .LBB40_2639
.LBB40_2635:
	s_mov_b32 s0, -1
                                        ; implicit-def: $vgpr10
.LBB40_2636:
	s_delay_alu instid0(SALU_CYCLE_1)
	s_and_not1_b32 vcc_lo, exec_lo, s0
	s_cbranch_vccnz .LBB40_2638
; %bb.2637:
	global_load_b32 v10, v[8:9], off
.LBB40_2638:
	s_mov_b32 s0, 0
.LBB40_2639:
	s_delay_alu instid0(SALU_CYCLE_1)
	s_and_not1_b32 vcc_lo, exec_lo, s0
	s_cbranch_vccnz .LBB40_2641
; %bb.2640:
	global_load_b32 v7, v[8:9], off
	s_wait_loadcnt 0x0
	s_wait_xcnt 0x1
	v_cvt_f32_f16_e32 v10, v7
.LBB40_2641:
	s_mov_b32 s0, 0
.LBB40_2642:
	s_delay_alu instid0(SALU_CYCLE_1)
	s_and_not1_b32 vcc_lo, exec_lo, s0
	s_cbranch_vccnz .LBB40_2653
; %bb.2643:
	s_cmp_lt_i32 s12, 6
	s_cbranch_scc1 .LBB40_2646
; %bb.2644:
	s_cmp_gt_i32 s12, 6
	s_cbranch_scc0 .LBB40_2647
; %bb.2645:
	s_wait_loadcnt 0x0
	global_load_b64 v[10:11], v[8:9], off
	s_mov_b32 s0, 0
	s_wait_loadcnt 0x0
	v_cvt_f32_f64_e32 v10, v[10:11]
	s_branch .LBB40_2648
.LBB40_2646:
	s_mov_b32 s0, -1
                                        ; implicit-def: $vgpr10
	s_branch .LBB40_2651
.LBB40_2647:
	s_mov_b32 s0, -1
                                        ; implicit-def: $vgpr10
.LBB40_2648:
	s_delay_alu instid0(SALU_CYCLE_1)
	s_and_not1_b32 vcc_lo, exec_lo, s0
	s_cbranch_vccnz .LBB40_2650
; %bb.2649:
	s_wait_loadcnt 0x0
	global_load_b32 v10, v[8:9], off
.LBB40_2650:
	s_mov_b32 s0, 0
.LBB40_2651:
	s_delay_alu instid0(SALU_CYCLE_1)
	s_and_not1_b32 vcc_lo, exec_lo, s0
	s_cbranch_vccnz .LBB40_2653
; %bb.2652:
	global_load_u16 v7, v[8:9], off
	s_wait_loadcnt 0x0
	s_wait_xcnt 0x1
	v_cvt_f32_f16_e32 v10, v7
.LBB40_2653:
	s_mov_b32 s0, 0
.LBB40_2654:
	s_delay_alu instid0(SALU_CYCLE_1)
	s_and_not1_b32 vcc_lo, exec_lo, s0
	s_cbranch_vccnz .LBB40_2674
; %bb.2655:
	s_cmp_lt_i32 s12, 2
	s_cbranch_scc1 .LBB40_2659
; %bb.2656:
	s_cmp_lt_i32 s12, 3
	s_cbranch_scc1 .LBB40_2660
; %bb.2657:
	s_cmp_gt_i32 s12, 3
	s_cbranch_scc0 .LBB40_2661
; %bb.2658:
	s_wait_loadcnt 0x0
	global_load_b64 v[10:11], v[8:9], off
	s_mov_b32 s0, 0
	s_wait_loadcnt 0x0
	v_xor_b32_e32 v7, v10, v11
	v_cls_i32_e32 v13, v11
	s_delay_alu instid0(VALU_DEP_2) | instskip(NEXT) | instid1(VALU_DEP_1)
	v_ashrrev_i32_e32 v7, 31, v7
	v_add_nc_u32_e32 v7, 32, v7
	s_delay_alu instid0(VALU_DEP_1) | instskip(NEXT) | instid1(VALU_DEP_1)
	v_add_min_u32_e64 v7, v13, -1, v7
	v_lshlrev_b64_e32 v[10:11], v7, v[10:11]
	v_sub_nc_u32_e32 v7, 32, v7
	s_delay_alu instid0(VALU_DEP_2) | instskip(NEXT) | instid1(VALU_DEP_1)
	v_min_u32_e32 v10, 1, v10
	v_or_b32_e32 v10, v11, v10
	s_delay_alu instid0(VALU_DEP_1) | instskip(NEXT) | instid1(VALU_DEP_1)
	v_cvt_f32_i32_e32 v10, v10
	v_ldexp_f32 v10, v10, v7
	s_branch .LBB40_2662
.LBB40_2659:
	s_mov_b32 s0, -1
                                        ; implicit-def: $vgpr10
	s_branch .LBB40_2668
.LBB40_2660:
	s_mov_b32 s0, -1
                                        ; implicit-def: $vgpr10
	s_branch .LBB40_2665
.LBB40_2661:
	s_mov_b32 s0, -1
                                        ; implicit-def: $vgpr10
.LBB40_2662:
	s_delay_alu instid0(SALU_CYCLE_1)
	s_and_not1_b32 vcc_lo, exec_lo, s0
	s_cbranch_vccnz .LBB40_2664
; %bb.2663:
	global_load_b32 v7, v[8:9], off
	s_wait_loadcnt 0x0
	s_wait_xcnt 0x1
	v_cvt_f32_i32_e32 v10, v7
.LBB40_2664:
	s_mov_b32 s0, 0
.LBB40_2665:
	s_delay_alu instid0(SALU_CYCLE_1)
	s_and_not1_b32 vcc_lo, exec_lo, s0
	s_cbranch_vccnz .LBB40_2667
; %bb.2666:
	global_load_i16 v7, v[8:9], off
	s_wait_loadcnt 0x0
	s_wait_xcnt 0x1
	v_cvt_f32_i32_e32 v10, v7
.LBB40_2667:
	s_mov_b32 s0, 0
.LBB40_2668:
	s_delay_alu instid0(SALU_CYCLE_1)
	s_and_not1_b32 vcc_lo, exec_lo, s0
	s_cbranch_vccnz .LBB40_2674
; %bb.2669:
	s_cmp_gt_i32 s12, 0
	s_mov_b32 s0, 0
	s_cbranch_scc0 .LBB40_2671
; %bb.2670:
	global_load_i8 v7, v[8:9], off
	s_wait_loadcnt 0x0
	s_wait_xcnt 0x1
	v_cvt_f32_i32_e32 v10, v7
	s_branch .LBB40_2672
.LBB40_2671:
	s_mov_b32 s0, -1
                                        ; implicit-def: $vgpr10
.LBB40_2672:
	s_delay_alu instid0(SALU_CYCLE_1)
	s_and_not1_b32 vcc_lo, exec_lo, s0
	s_cbranch_vccnz .LBB40_2674
; %bb.2673:
	global_load_u8 v7, v[8:9], off
	s_wait_loadcnt 0x0
	s_wait_xcnt 0x1
	v_cvt_f32_ubyte0_e32 v10, v7
.LBB40_2674:
	s_mov_b32 s6, -1
.LBB40_2675:
	s_delay_alu instid0(SALU_CYCLE_1)
	s_and_not1_b32 vcc_lo, exec_lo, s6
	s_cbranch_vccnz .LBB40_3106
; %bb.2676:
	s_wait_loadcnt 0x0
	v_dual_mov_b32 v7, 0 :: v_dual_mul_f32 v5, v1, v5
	v_cmp_lt_f32_e64 s0, 0, v1
	s_mov_b32 s6, 0
	global_load_u8 v8, v7, s[2:3] offset:417
	s_wait_xcnt 0x0
	v_add_nc_u64_e32 v[6:7], s[4:5], v[6:7]
	s_wait_loadcnt 0x0
	v_and_b32_e32 v9, 0xffff, v8
	v_readfirstlane_b32 s1, v8
	v_cndmask_b32_e64 v8, v5, v1, s0
	s_mov_b32 s0, -1
	v_cmp_gt_i32_e32 vcc_lo, 11, v9
	s_cbranch_vccnz .LBB40_2755
; %bb.2677:
	s_and_b32 s2, 0xffff, s1
	s_mov_b32 s7, -1
	s_mov_b32 s3, 0
	s_cmp_gt_i32 s2, 25
	s_mov_b32 s0, 0
	s_cbranch_scc0 .LBB40_2710
; %bb.2678:
	s_cmp_gt_i32 s2, 28
	s_cbranch_scc0 .LBB40_2693
; %bb.2679:
	s_cmp_gt_i32 s2, 43
	;; [unrolled: 3-line block ×3, first 2 shown]
	s_cbranch_scc0 .LBB40_2683
; %bb.2681:
	s_mov_b32 s0, -1
	s_mov_b32 s7, 0
	s_cmp_eq_u32 s2, 46
	s_cbranch_scc0 .LBB40_2683
; %bb.2682:
	v_bfe_u32 v1, v8, 16, 1
	v_cmp_o_f32_e32 vcc_lo, v8, v8
	s_mov_b32 s0, 0
	s_mov_b32 s6, -1
	s_delay_alu instid0(VALU_DEP_2) | instskip(NEXT) | instid1(VALU_DEP_1)
	v_add3_u32 v1, v8, v1, 0x7fff
	v_lshrrev_b32_e32 v1, 16, v1
	s_delay_alu instid0(VALU_DEP_1)
	v_cndmask_b32_e32 v1, 0x7fc0, v1, vcc_lo
	global_store_b32 v[6:7], v1, off
.LBB40_2683:
	s_and_b32 vcc_lo, exec_lo, s7
	s_cbranch_vccz .LBB40_2688
; %bb.2684:
	s_cmp_eq_u32 s2, 44
	s_mov_b32 s0, -1
	s_cbranch_scc0 .LBB40_2688
; %bb.2685:
	v_bfe_u32 v5, v8, 23, 8
	s_wait_xcnt 0x0
	v_mov_b32_e32 v1, 0xff
	s_mov_b32 s6, exec_lo
	s_delay_alu instid0(VALU_DEP_2)
	v_cmpx_ne_u32_e32 0xff, v5
	s_cbranch_execz .LBB40_2687
; %bb.2686:
	v_and_b32_e32 v1, 0x400000, v8
	v_and_or_b32 v5, 0x3fffff, v8, v5
	s_delay_alu instid0(VALU_DEP_2) | instskip(NEXT) | instid1(VALU_DEP_2)
	v_cmp_ne_u32_e32 vcc_lo, 0, v1
	v_cmp_ne_u32_e64 s0, 0, v5
	v_lshrrev_b32_e32 v1, 23, v8
	s_and_b32 s0, vcc_lo, s0
	s_delay_alu instid0(SALU_CYCLE_1) | instskip(NEXT) | instid1(VALU_DEP_1)
	v_cndmask_b32_e64 v5, 0, 1, s0
	v_add_nc_u32_e32 v1, v1, v5
.LBB40_2687:
	s_or_b32 exec_lo, exec_lo, s6
	s_mov_b32 s0, 0
	s_mov_b32 s6, -1
	global_store_b8 v[6:7], v1, off
.LBB40_2688:
	s_mov_b32 s7, 0
.LBB40_2689:
	s_delay_alu instid0(SALU_CYCLE_1)
	s_and_b32 vcc_lo, exec_lo, s7
	s_cbranch_vccz .LBB40_2692
; %bb.2690:
	s_cmp_eq_u32 s2, 29
	s_mov_b32 s0, -1
	s_cbranch_scc0 .LBB40_2692
; %bb.2691:
	s_wait_xcnt 0x0
	v_trunc_f32_e32 v1, v8
	s_mov_b32 s0, 0
	s_mov_b32 s6, -1
	s_delay_alu instid0(VALU_DEP_1) | instskip(NEXT) | instid1(VALU_DEP_1)
	v_mul_f32_e32 v5, 0x2f800000, v1
	v_floor_f32_e32 v5, v5
	s_delay_alu instid0(VALU_DEP_1) | instskip(SKIP_1) | instid1(VALU_DEP_2)
	v_fmamk_f32 v1, v5, 0xcf800000, v1
	v_cvt_u32_f32_e32 v21, v5
	v_cvt_u32_f32_e32 v20, v1
	global_store_b64 v[6:7], v[20:21], off
.LBB40_2692:
	s_mov_b32 s7, 0
.LBB40_2693:
	s_delay_alu instid0(SALU_CYCLE_1)
	s_and_b32 vcc_lo, exec_lo, s7
	s_cbranch_vccz .LBB40_2709
; %bb.2694:
	s_cmp_lt_i32 s2, 27
	s_mov_b32 s6, -1
	s_cbranch_scc1 .LBB40_2700
; %bb.2695:
	s_wait_xcnt 0x0
	v_cvt_u32_f32_e32 v1, v8
	s_cmp_gt_i32 s2, 27
	s_cbranch_scc0 .LBB40_2697
; %bb.2696:
	s_mov_b32 s6, 0
	global_store_b32 v[6:7], v1, off
.LBB40_2697:
	s_and_not1_b32 vcc_lo, exec_lo, s6
	s_cbranch_vccnz .LBB40_2699
; %bb.2698:
	global_store_b16 v[6:7], v1, off
.LBB40_2699:
	s_mov_b32 s6, 0
.LBB40_2700:
	s_delay_alu instid0(SALU_CYCLE_1)
	s_and_not1_b32 vcc_lo, exec_lo, s6
	s_cbranch_vccnz .LBB40_2708
; %bb.2701:
	s_wait_xcnt 0x0
	v_and_b32_e32 v1, 0x7fffffff, v8
	v_mov_b32_e32 v5, 0x80
	s_mov_b32 s6, exec_lo
	s_delay_alu instid0(VALU_DEP_2)
	v_cmpx_gt_u32_e32 0x43800000, v1
	s_cbranch_execz .LBB40_2707
; %bb.2702:
	v_cmp_lt_u32_e32 vcc_lo, 0x3bffffff, v1
	s_mov_b32 s7, 0
                                        ; implicit-def: $vgpr1
	s_and_saveexec_b32 s11, vcc_lo
	s_delay_alu instid0(SALU_CYCLE_1)
	s_xor_b32 s11, exec_lo, s11
	s_cbranch_execz .LBB40_3152
; %bb.2703:
	v_bfe_u32 v1, v8, 20, 1
	s_mov_b32 s7, exec_lo
	s_delay_alu instid0(VALU_DEP_1) | instskip(NEXT) | instid1(VALU_DEP_1)
	v_add3_u32 v1, v8, v1, 0x487ffff
	v_lshrrev_b32_e32 v1, 20, v1
	s_and_not1_saveexec_b32 s11, s11
	s_cbranch_execnz .LBB40_3153
.LBB40_2704:
	s_or_b32 exec_lo, exec_lo, s11
	v_mov_b32_e32 v5, 0
	s_and_saveexec_b32 s11, s7
.LBB40_2705:
	v_lshrrev_b32_e32 v5, 24, v8
	s_delay_alu instid0(VALU_DEP_1)
	v_and_or_b32 v5, 0x80, v5, v1
.LBB40_2706:
	s_or_b32 exec_lo, exec_lo, s11
.LBB40_2707:
	s_delay_alu instid0(SALU_CYCLE_1)
	s_or_b32 exec_lo, exec_lo, s6
	global_store_b8 v[6:7], v5, off
.LBB40_2708:
	s_mov_b32 s6, -1
.LBB40_2709:
	s_mov_b32 s7, 0
.LBB40_2710:
	s_delay_alu instid0(SALU_CYCLE_1)
	s_and_b32 vcc_lo, exec_lo, s7
	s_cbranch_vccz .LBB40_2750
; %bb.2711:
	s_cmp_gt_i32 s2, 22
	s_mov_b32 s3, -1
	s_cbranch_scc0 .LBB40_2743
; %bb.2712:
	s_cmp_lt_i32 s2, 24
	s_cbranch_scc1 .LBB40_2732
; %bb.2713:
	s_cmp_gt_i32 s2, 24
	s_cbranch_scc0 .LBB40_2721
; %bb.2714:
	s_wait_xcnt 0x0
	v_and_b32_e32 v1, 0x7fffffff, v8
	v_mov_b32_e32 v5, 0x80
	s_mov_b32 s3, exec_lo
	s_delay_alu instid0(VALU_DEP_2)
	v_cmpx_gt_u32_e32 0x47800000, v1
	s_cbranch_execz .LBB40_2720
; %bb.2715:
	v_cmp_lt_u32_e32 vcc_lo, 0x37ffffff, v1
	s_mov_b32 s6, 0
                                        ; implicit-def: $vgpr1
	s_and_saveexec_b32 s7, vcc_lo
	s_delay_alu instid0(SALU_CYCLE_1)
	s_xor_b32 s7, exec_lo, s7
	s_cbranch_execz .LBB40_3155
; %bb.2716:
	v_bfe_u32 v1, v8, 21, 1
	s_mov_b32 s6, exec_lo
	s_delay_alu instid0(VALU_DEP_1) | instskip(NEXT) | instid1(VALU_DEP_1)
	v_add3_u32 v1, v8, v1, 0x88fffff
	v_lshrrev_b32_e32 v1, 21, v1
	s_and_not1_saveexec_b32 s7, s7
	s_cbranch_execnz .LBB40_3156
.LBB40_2717:
	s_or_b32 exec_lo, exec_lo, s7
	v_mov_b32_e32 v5, 0
	s_and_saveexec_b32 s7, s6
.LBB40_2718:
	v_lshrrev_b32_e32 v5, 24, v8
	s_delay_alu instid0(VALU_DEP_1)
	v_and_or_b32 v5, 0x80, v5, v1
.LBB40_2719:
	s_or_b32 exec_lo, exec_lo, s7
.LBB40_2720:
	s_delay_alu instid0(SALU_CYCLE_1)
	s_or_b32 exec_lo, exec_lo, s3
	s_mov_b32 s3, 0
	global_store_b8 v[6:7], v5, off
.LBB40_2721:
	s_and_b32 vcc_lo, exec_lo, s3
	s_cbranch_vccz .LBB40_2731
; %bb.2722:
	s_wait_xcnt 0x0
	v_and_b32_e32 v5, 0x7fffffff, v8
	s_mov_b32 s3, exec_lo
                                        ; implicit-def: $vgpr1
	s_delay_alu instid0(VALU_DEP_1)
	v_cmpx_gt_u32_e32 0x43f00000, v5
	s_xor_b32 s3, exec_lo, s3
	s_cbranch_execz .LBB40_2728
; %bb.2723:
	s_mov_b32 s6, exec_lo
                                        ; implicit-def: $vgpr1
	v_cmpx_lt_u32_e32 0x3c7fffff, v5
	s_xor_b32 s6, exec_lo, s6
; %bb.2724:
	v_bfe_u32 v1, v8, 20, 1
	s_delay_alu instid0(VALU_DEP_1) | instskip(NEXT) | instid1(VALU_DEP_1)
	v_add3_u32 v1, v8, v1, 0x407ffff
	v_and_b32_e32 v5, 0xff00000, v1
	v_lshrrev_b32_e32 v1, 20, v1
	s_delay_alu instid0(VALU_DEP_2) | instskip(NEXT) | instid1(VALU_DEP_2)
	v_cmp_ne_u32_e32 vcc_lo, 0x7f00000, v5
	v_cndmask_b32_e32 v1, 0x7e, v1, vcc_lo
; %bb.2725:
	s_and_not1_saveexec_b32 s6, s6
; %bb.2726:
	v_add_f32_e64 v1, 0x46800000, |v8|
; %bb.2727:
	s_or_b32 exec_lo, exec_lo, s6
                                        ; implicit-def: $vgpr5
.LBB40_2728:
	s_and_not1_saveexec_b32 s3, s3
; %bb.2729:
	v_mov_b32_e32 v1, 0x7f
	v_cmp_lt_u32_e32 vcc_lo, 0x7f800000, v5
	s_delay_alu instid0(VALU_DEP_2)
	v_cndmask_b32_e32 v1, 0x7e, v1, vcc_lo
; %bb.2730:
	s_or_b32 exec_lo, exec_lo, s3
	v_lshrrev_b32_e32 v5, 24, v8
	s_delay_alu instid0(VALU_DEP_1)
	v_and_or_b32 v1, 0x80, v5, v1
	global_store_b8 v[6:7], v1, off
.LBB40_2731:
	s_mov_b32 s3, 0
.LBB40_2732:
	s_delay_alu instid0(SALU_CYCLE_1)
	s_and_not1_b32 vcc_lo, exec_lo, s3
	s_cbranch_vccnz .LBB40_2742
; %bb.2733:
	s_wait_xcnt 0x0
	v_and_b32_e32 v5, 0x7fffffff, v8
	s_mov_b32 s3, exec_lo
                                        ; implicit-def: $vgpr1
	s_delay_alu instid0(VALU_DEP_1)
	v_cmpx_gt_u32_e32 0x47800000, v5
	s_xor_b32 s3, exec_lo, s3
	s_cbranch_execz .LBB40_2739
; %bb.2734:
	s_mov_b32 s6, exec_lo
                                        ; implicit-def: $vgpr1
	v_cmpx_lt_u32_e32 0x387fffff, v5
	s_xor_b32 s6, exec_lo, s6
; %bb.2735:
	v_bfe_u32 v1, v8, 21, 1
	s_delay_alu instid0(VALU_DEP_1) | instskip(NEXT) | instid1(VALU_DEP_1)
	v_add3_u32 v1, v8, v1, 0x80fffff
	v_lshrrev_b32_e32 v1, 21, v1
; %bb.2736:
	s_and_not1_saveexec_b32 s6, s6
; %bb.2737:
	v_add_f32_e64 v1, 0x43000000, |v8|
; %bb.2738:
	s_or_b32 exec_lo, exec_lo, s6
                                        ; implicit-def: $vgpr5
.LBB40_2739:
	s_and_not1_saveexec_b32 s3, s3
; %bb.2740:
	v_mov_b32_e32 v1, 0x7f
	v_cmp_lt_u32_e32 vcc_lo, 0x7f800000, v5
	s_delay_alu instid0(VALU_DEP_2)
	v_cndmask_b32_e32 v1, 0x7c, v1, vcc_lo
; %bb.2741:
	s_or_b32 exec_lo, exec_lo, s3
	v_lshrrev_b32_e32 v5, 24, v8
	s_delay_alu instid0(VALU_DEP_1)
	v_and_or_b32 v1, 0x80, v5, v1
	global_store_b8 v[6:7], v1, off
.LBB40_2742:
	s_mov_b32 s3, 0
	s_mov_b32 s6, -1
.LBB40_2743:
	s_and_not1_b32 vcc_lo, exec_lo, s3
	s_mov_b32 s3, 0
	s_cbranch_vccnz .LBB40_2750
; %bb.2744:
	s_cmp_gt_i32 s2, 14
	s_mov_b32 s3, -1
	s_cbranch_scc0 .LBB40_2748
; %bb.2745:
	s_cmp_eq_u32 s2, 15
	s_mov_b32 s0, -1
	s_cbranch_scc0 .LBB40_2747
; %bb.2746:
	s_wait_xcnt 0x0
	v_bfe_u32 v1, v8, 16, 1
	v_cmp_o_f32_e32 vcc_lo, v8, v8
	s_mov_b32 s0, 0
	s_mov_b32 s6, -1
	s_delay_alu instid0(VALU_DEP_2) | instskip(NEXT) | instid1(VALU_DEP_1)
	v_add3_u32 v1, v8, v1, 0x7fff
	v_lshrrev_b32_e32 v1, 16, v1
	s_delay_alu instid0(VALU_DEP_1)
	v_cndmask_b32_e32 v1, 0x7fc0, v1, vcc_lo
	global_store_b16 v[6:7], v1, off
.LBB40_2747:
	s_mov_b32 s3, 0
.LBB40_2748:
	s_delay_alu instid0(SALU_CYCLE_1)
	s_and_b32 vcc_lo, exec_lo, s3
	s_mov_b32 s3, 0
	s_cbranch_vccz .LBB40_2750
; %bb.2749:
	s_cmp_lg_u32 s2, 11
	s_mov_b32 s3, -1
	s_cselect_b32 s0, -1, 0
.LBB40_2750:
	s_delay_alu instid0(SALU_CYCLE_1)
	s_and_b32 vcc_lo, exec_lo, s0
	s_cbranch_vccnz .LBB40_3154
; %bb.2751:
	s_and_not1_b32 vcc_lo, exec_lo, s3
	s_cbranch_vccnz .LBB40_2753
.LBB40_2752:
	v_cmp_neq_f32_e32 vcc_lo, 0, v8
	s_mov_b32 s6, -1
	s_wait_xcnt 0x0
	v_cndmask_b32_e64 v1, 0, 1, vcc_lo
	global_store_b8 v[6:7], v1, off
.LBB40_2753:
.LBB40_2754:
	s_and_not1_b32 vcc_lo, exec_lo, s6
	s_cbranch_vccz .LBB40_2794
	s_branch .LBB40_3106
.LBB40_2755:
	s_and_b32 vcc_lo, exec_lo, s0
	s_cbranch_vccz .LBB40_2754
; %bb.2756:
	s_and_b32 s0, 0xffff, s1
	s_mov_b32 s2, -1
	s_cmp_lt_i32 s0, 5
	s_cbranch_scc1 .LBB40_2777
; %bb.2757:
	s_cmp_lt_i32 s0, 8
	s_cbranch_scc1 .LBB40_2767
; %bb.2758:
	;; [unrolled: 3-line block ×3, first 2 shown]
	s_cmp_gt_i32 s0, 9
	s_cbranch_scc0 .LBB40_2761
; %bb.2760:
	s_wait_xcnt 0x0
	v_cvt_f64_f32_e32 v[20:21], v8
	v_mov_b32_e32 v22, 0
	s_mov_b32 s2, 0
	s_delay_alu instid0(VALU_DEP_1)
	v_mov_b32_e32 v23, v22
	global_store_b128 v[6:7], v[20:23], off
.LBB40_2761:
	s_and_not1_b32 vcc_lo, exec_lo, s2
	s_cbranch_vccnz .LBB40_2763
; %bb.2762:
	v_mov_b32_e32 v9, 0
	global_store_b64 v[6:7], v[8:9], off
.LBB40_2763:
	s_mov_b32 s2, 0
.LBB40_2764:
	s_delay_alu instid0(SALU_CYCLE_1)
	s_and_not1_b32 vcc_lo, exec_lo, s2
	s_cbranch_vccnz .LBB40_2766
; %bb.2765:
	s_wait_xcnt 0x0
	v_cvt_f16_f32_e32 v1, v8
	s_delay_alu instid0(VALU_DEP_1)
	v_and_b32_e32 v1, 0xffff, v1
	global_store_b32 v[6:7], v1, off
.LBB40_2766:
	s_mov_b32 s2, 0
.LBB40_2767:
	s_delay_alu instid0(SALU_CYCLE_1)
	s_and_not1_b32 vcc_lo, exec_lo, s2
	s_cbranch_vccnz .LBB40_2776
; %bb.2768:
	s_cmp_lt_i32 s0, 6
	s_mov_b32 s2, -1
	s_cbranch_scc1 .LBB40_2774
; %bb.2769:
	s_cmp_gt_i32 s0, 6
	s_cbranch_scc0 .LBB40_2771
; %bb.2770:
	s_wait_xcnt 0x0
	v_cvt_f64_f32_e32 v[20:21], v8
	s_mov_b32 s2, 0
	global_store_b64 v[6:7], v[20:21], off
.LBB40_2771:
	s_and_not1_b32 vcc_lo, exec_lo, s2
	s_cbranch_vccnz .LBB40_2773
; %bb.2772:
	global_store_b32 v[6:7], v8, off
.LBB40_2773:
	s_mov_b32 s2, 0
.LBB40_2774:
	s_delay_alu instid0(SALU_CYCLE_1)
	s_and_not1_b32 vcc_lo, exec_lo, s2
	s_cbranch_vccnz .LBB40_2776
; %bb.2775:
	s_wait_xcnt 0x0
	v_cvt_f16_f32_e32 v1, v8
	global_store_b16 v[6:7], v1, off
.LBB40_2776:
	s_mov_b32 s2, 0
.LBB40_2777:
	s_delay_alu instid0(SALU_CYCLE_1)
	s_and_not1_b32 vcc_lo, exec_lo, s2
	s_cbranch_vccnz .LBB40_2793
; %bb.2778:
	s_cmp_lt_i32 s0, 2
	s_mov_b32 s2, -1
	s_cbranch_scc1 .LBB40_2788
; %bb.2779:
	s_cmp_lt_i32 s0, 3
	s_cbranch_scc1 .LBB40_2785
; %bb.2780:
	s_cmp_gt_i32 s0, 3
	s_cbranch_scc0 .LBB40_2782
; %bb.2781:
	s_wait_xcnt 0x0
	v_trunc_f32_e32 v1, v8
	s_mov_b32 s2, 0
	s_delay_alu instid0(VALU_DEP_1) | instskip(SKIP_1) | instid1(VALU_DEP_2)
	v_mul_f32_e64 v5, 0x2f800000, |v1|
	v_ashrrev_i32_e32 v20, 31, v1
	v_floor_f32_e32 v5, v5
	s_delay_alu instid0(VALU_DEP_1) | instskip(SKIP_1) | instid1(VALU_DEP_4)
	v_fma_f32 v9, 0xcf800000, v5, |v1|
	v_cvt_u32_f32_e32 v1, v5
	v_mov_b32_e32 v21, v20
	s_delay_alu instid0(VALU_DEP_3) | instskip(NEXT) | instid1(VALU_DEP_3)
	v_cvt_u32_f32_e32 v5, v9
	v_xor_b32_e32 v23, v1, v20
	s_delay_alu instid0(VALU_DEP_2) | instskip(NEXT) | instid1(VALU_DEP_1)
	v_xor_b32_e32 v22, v5, v20
	v_sub_nc_u64_e32 v[20:21], v[22:23], v[20:21]
	global_store_b64 v[6:7], v[20:21], off
.LBB40_2782:
	s_and_not1_b32 vcc_lo, exec_lo, s2
	s_cbranch_vccnz .LBB40_2784
; %bb.2783:
	s_wait_xcnt 0x0
	v_cvt_i32_f32_e32 v1, v8
	global_store_b32 v[6:7], v1, off
.LBB40_2784:
	s_mov_b32 s2, 0
.LBB40_2785:
	s_delay_alu instid0(SALU_CYCLE_1)
	s_and_not1_b32 vcc_lo, exec_lo, s2
	s_cbranch_vccnz .LBB40_2787
; %bb.2786:
	s_wait_xcnt 0x0
	v_cvt_i32_f32_e32 v1, v8
	global_store_b16 v[6:7], v1, off
.LBB40_2787:
	s_mov_b32 s2, 0
.LBB40_2788:
	s_delay_alu instid0(SALU_CYCLE_1)
	s_and_not1_b32 vcc_lo, exec_lo, s2
	s_cbranch_vccnz .LBB40_2793
; %bb.2789:
	s_cmp_gt_i32 s0, 0
	s_mov_b32 s0, -1
	s_cbranch_scc0 .LBB40_2791
; %bb.2790:
	s_wait_xcnt 0x0
	v_cvt_i32_f32_e32 v1, v8
	s_mov_b32 s0, 0
	global_store_b8 v[6:7], v1, off
.LBB40_2791:
	s_and_not1_b32 vcc_lo, exec_lo, s0
	s_cbranch_vccnz .LBB40_2793
; %bb.2792:
	s_wait_xcnt 0x0
	v_trunc_f32_e32 v1, v8
	s_delay_alu instid0(VALU_DEP_1) | instskip(NEXT) | instid1(VALU_DEP_1)
	v_mul_f32_e64 v5, 0x2f800000, |v1|
	v_floor_f32_e32 v5, v5
	s_delay_alu instid0(VALU_DEP_1) | instskip(SKIP_1) | instid1(VALU_DEP_2)
	v_fma_f32 v5, 0xcf800000, v5, |v1|
	v_ashrrev_i32_e32 v1, 31, v1
	v_cvt_u32_f32_e32 v5, v5
	s_delay_alu instid0(VALU_DEP_1) | instskip(NEXT) | instid1(VALU_DEP_1)
	v_xor_b32_e32 v5, v5, v1
	v_sub_nc_u32_e32 v1, v5, v1
	global_store_b8 v[6:7], v1, off
.LBB40_2793:
.LBB40_2794:
	s_wait_xcnt 0x0
	v_dual_mov_b32 v5, 0 :: v_dual_mul_f32 v1, v3, v18
	v_cmp_lt_f32_e32 vcc_lo, 0, v3
	s_and_b32 s2, 0xffff, s1
	s_mov_b32 s6, 0
	s_delay_alu instid0(VALU_DEP_2)
	v_add_nc_u64_e32 v[4:5], s[4:5], v[4:5]
	s_cmp_lt_i32 s2, 11
	v_cndmask_b32_e32 v6, v1, v3, vcc_lo
	s_mov_b32 s0, -1
	s_cbranch_scc1 .LBB40_2873
; %bb.2795:
	s_mov_b32 s7, -1
	s_mov_b32 s3, 0
	s_cmp_gt_i32 s2, 25
	s_mov_b32 s0, 0
	s_cbranch_scc0 .LBB40_2828
; %bb.2796:
	s_cmp_gt_i32 s2, 28
	s_cbranch_scc0 .LBB40_2811
; %bb.2797:
	s_cmp_gt_i32 s2, 43
	s_cbranch_scc0 .LBB40_2807
; %bb.2798:
	s_cmp_gt_i32 s2, 45
	s_cbranch_scc0 .LBB40_2801
; %bb.2799:
	s_mov_b32 s0, -1
	s_mov_b32 s7, 0
	s_cmp_eq_u32 s2, 46
	s_cbranch_scc0 .LBB40_2801
; %bb.2800:
	v_bfe_u32 v1, v6, 16, 1
	v_cmp_o_f32_e32 vcc_lo, v6, v6
	s_mov_b32 s0, 0
	s_mov_b32 s6, -1
	s_delay_alu instid0(VALU_DEP_2) | instskip(NEXT) | instid1(VALU_DEP_1)
	v_add3_u32 v1, v6, v1, 0x7fff
	v_lshrrev_b32_e32 v1, 16, v1
	s_delay_alu instid0(VALU_DEP_1)
	v_cndmask_b32_e32 v1, 0x7fc0, v1, vcc_lo
	global_store_b32 v[4:5], v1, off
.LBB40_2801:
	s_and_b32 vcc_lo, exec_lo, s7
	s_cbranch_vccz .LBB40_2806
; %bb.2802:
	s_cmp_eq_u32 s2, 44
	s_mov_b32 s0, -1
	s_cbranch_scc0 .LBB40_2806
; %bb.2803:
	v_bfe_u32 v3, v6, 23, 8
	s_wait_xcnt 0x0
	v_mov_b32_e32 v1, 0xff
	s_mov_b32 s6, exec_lo
	s_delay_alu instid0(VALU_DEP_2)
	v_cmpx_ne_u32_e32 0xff, v3
	s_cbranch_execz .LBB40_2805
; %bb.2804:
	v_and_b32_e32 v1, 0x400000, v6
	v_and_or_b32 v3, 0x3fffff, v6, v3
	s_delay_alu instid0(VALU_DEP_2) | instskip(NEXT) | instid1(VALU_DEP_2)
	v_cmp_ne_u32_e32 vcc_lo, 0, v1
	v_cmp_ne_u32_e64 s0, 0, v3
	v_lshrrev_b32_e32 v1, 23, v6
	s_and_b32 s0, vcc_lo, s0
	s_delay_alu instid0(SALU_CYCLE_1) | instskip(NEXT) | instid1(VALU_DEP_1)
	v_cndmask_b32_e64 v3, 0, 1, s0
	v_add_nc_u32_e32 v1, v1, v3
.LBB40_2805:
	s_or_b32 exec_lo, exec_lo, s6
	s_mov_b32 s0, 0
	s_mov_b32 s6, -1
	global_store_b8 v[4:5], v1, off
.LBB40_2806:
	s_mov_b32 s7, 0
.LBB40_2807:
	s_delay_alu instid0(SALU_CYCLE_1)
	s_and_b32 vcc_lo, exec_lo, s7
	s_cbranch_vccz .LBB40_2810
; %bb.2808:
	s_cmp_eq_u32 s2, 29
	s_mov_b32 s0, -1
	s_cbranch_scc0 .LBB40_2810
; %bb.2809:
	s_wait_xcnt 0x0
	v_trunc_f32_e32 v1, v6
	s_mov_b32 s0, 0
	s_mov_b32 s6, -1
	s_delay_alu instid0(VALU_DEP_1) | instskip(NEXT) | instid1(VALU_DEP_1)
	v_mul_f32_e32 v3, 0x2f800000, v1
	v_floor_f32_e32 v3, v3
	s_delay_alu instid0(VALU_DEP_1) | instskip(SKIP_1) | instid1(VALU_DEP_2)
	v_fmamk_f32 v1, v3, 0xcf800000, v1
	v_cvt_u32_f32_e32 v9, v3
	v_cvt_u32_f32_e32 v8, v1
	global_store_b64 v[4:5], v[8:9], off
.LBB40_2810:
	s_mov_b32 s7, 0
.LBB40_2811:
	s_delay_alu instid0(SALU_CYCLE_1)
	s_and_b32 vcc_lo, exec_lo, s7
	s_cbranch_vccz .LBB40_2827
; %bb.2812:
	s_cmp_lt_i32 s2, 27
	s_mov_b32 s6, -1
	s_cbranch_scc1 .LBB40_2818
; %bb.2813:
	s_cmp_gt_i32 s2, 27
	s_cbranch_scc0 .LBB40_2815
; %bb.2814:
	s_wait_xcnt 0x0
	v_cvt_u32_f32_e32 v1, v6
	s_mov_b32 s6, 0
	global_store_b32 v[4:5], v1, off
.LBB40_2815:
	s_and_not1_b32 vcc_lo, exec_lo, s6
	s_cbranch_vccnz .LBB40_2817
; %bb.2816:
	s_wait_xcnt 0x0
	v_cvt_u32_f32_e32 v1, v6
	global_store_b16 v[4:5], v1, off
.LBB40_2817:
	s_mov_b32 s6, 0
.LBB40_2818:
	s_delay_alu instid0(SALU_CYCLE_1)
	s_and_not1_b32 vcc_lo, exec_lo, s6
	s_cbranch_vccnz .LBB40_2826
; %bb.2819:
	s_wait_xcnt 0x0
	v_and_b32_e32 v1, 0x7fffffff, v6
	v_mov_b32_e32 v3, 0x80
	s_mov_b32 s6, exec_lo
	s_delay_alu instid0(VALU_DEP_2)
	v_cmpx_gt_u32_e32 0x43800000, v1
	s_cbranch_execz .LBB40_2825
; %bb.2820:
	v_cmp_lt_u32_e32 vcc_lo, 0x3bffffff, v1
	s_mov_b32 s7, 0
                                        ; implicit-def: $vgpr1
	s_and_saveexec_b32 s11, vcc_lo
	s_delay_alu instid0(SALU_CYCLE_1)
	s_xor_b32 s11, exec_lo, s11
	s_cbranch_execz .LBB40_3157
; %bb.2821:
	v_bfe_u32 v1, v6, 20, 1
	s_mov_b32 s7, exec_lo
	s_delay_alu instid0(VALU_DEP_1) | instskip(NEXT) | instid1(VALU_DEP_1)
	v_add3_u32 v1, v6, v1, 0x487ffff
	v_lshrrev_b32_e32 v1, 20, v1
	s_and_not1_saveexec_b32 s11, s11
	s_cbranch_execnz .LBB40_3158
.LBB40_2822:
	s_or_b32 exec_lo, exec_lo, s11
	v_mov_b32_e32 v3, 0
	s_and_saveexec_b32 s11, s7
.LBB40_2823:
	v_lshrrev_b32_e32 v3, 24, v6
	s_delay_alu instid0(VALU_DEP_1)
	v_and_or_b32 v3, 0x80, v3, v1
.LBB40_2824:
	s_or_b32 exec_lo, exec_lo, s11
.LBB40_2825:
	s_delay_alu instid0(SALU_CYCLE_1)
	s_or_b32 exec_lo, exec_lo, s6
	global_store_b8 v[4:5], v3, off
.LBB40_2826:
	s_mov_b32 s6, -1
.LBB40_2827:
	s_mov_b32 s7, 0
.LBB40_2828:
	s_delay_alu instid0(SALU_CYCLE_1)
	s_and_b32 vcc_lo, exec_lo, s7
	s_cbranch_vccz .LBB40_2868
; %bb.2829:
	s_cmp_gt_i32 s2, 22
	s_mov_b32 s3, -1
	s_cbranch_scc0 .LBB40_2861
; %bb.2830:
	s_cmp_lt_i32 s2, 24
	s_cbranch_scc1 .LBB40_2850
; %bb.2831:
	s_cmp_gt_i32 s2, 24
	s_cbranch_scc0 .LBB40_2839
; %bb.2832:
	s_wait_xcnt 0x0
	v_and_b32_e32 v1, 0x7fffffff, v6
	v_mov_b32_e32 v3, 0x80
	s_mov_b32 s3, exec_lo
	s_delay_alu instid0(VALU_DEP_2)
	v_cmpx_gt_u32_e32 0x47800000, v1
	s_cbranch_execz .LBB40_2838
; %bb.2833:
	v_cmp_lt_u32_e32 vcc_lo, 0x37ffffff, v1
	s_mov_b32 s6, 0
                                        ; implicit-def: $vgpr1
	s_and_saveexec_b32 s7, vcc_lo
	s_delay_alu instid0(SALU_CYCLE_1)
	s_xor_b32 s7, exec_lo, s7
	s_cbranch_execz .LBB40_3160
; %bb.2834:
	v_bfe_u32 v1, v6, 21, 1
	s_mov_b32 s6, exec_lo
	s_delay_alu instid0(VALU_DEP_1) | instskip(NEXT) | instid1(VALU_DEP_1)
	v_add3_u32 v1, v6, v1, 0x88fffff
	v_lshrrev_b32_e32 v1, 21, v1
	s_and_not1_saveexec_b32 s7, s7
	s_cbranch_execnz .LBB40_3161
.LBB40_2835:
	s_or_b32 exec_lo, exec_lo, s7
	v_mov_b32_e32 v3, 0
	s_and_saveexec_b32 s7, s6
.LBB40_2836:
	v_lshrrev_b32_e32 v3, 24, v6
	s_delay_alu instid0(VALU_DEP_1)
	v_and_or_b32 v3, 0x80, v3, v1
.LBB40_2837:
	s_or_b32 exec_lo, exec_lo, s7
.LBB40_2838:
	s_delay_alu instid0(SALU_CYCLE_1)
	s_or_b32 exec_lo, exec_lo, s3
	s_mov_b32 s3, 0
	global_store_b8 v[4:5], v3, off
.LBB40_2839:
	s_and_b32 vcc_lo, exec_lo, s3
	s_cbranch_vccz .LBB40_2849
; %bb.2840:
	s_wait_xcnt 0x0
	v_and_b32_e32 v3, 0x7fffffff, v6
	s_mov_b32 s3, exec_lo
                                        ; implicit-def: $vgpr1
	s_delay_alu instid0(VALU_DEP_1)
	v_cmpx_gt_u32_e32 0x43f00000, v3
	s_xor_b32 s3, exec_lo, s3
	s_cbranch_execz .LBB40_2846
; %bb.2841:
	s_mov_b32 s6, exec_lo
                                        ; implicit-def: $vgpr1
	v_cmpx_lt_u32_e32 0x3c7fffff, v3
	s_xor_b32 s6, exec_lo, s6
; %bb.2842:
	v_bfe_u32 v1, v6, 20, 1
	s_delay_alu instid0(VALU_DEP_1) | instskip(NEXT) | instid1(VALU_DEP_1)
	v_add3_u32 v1, v6, v1, 0x407ffff
	v_and_b32_e32 v3, 0xff00000, v1
	v_lshrrev_b32_e32 v1, 20, v1
	s_delay_alu instid0(VALU_DEP_2) | instskip(NEXT) | instid1(VALU_DEP_2)
	v_cmp_ne_u32_e32 vcc_lo, 0x7f00000, v3
	v_cndmask_b32_e32 v1, 0x7e, v1, vcc_lo
; %bb.2843:
	s_and_not1_saveexec_b32 s6, s6
; %bb.2844:
	v_add_f32_e64 v1, 0x46800000, |v6|
; %bb.2845:
	s_or_b32 exec_lo, exec_lo, s6
                                        ; implicit-def: $vgpr3
.LBB40_2846:
	s_and_not1_saveexec_b32 s3, s3
; %bb.2847:
	v_mov_b32_e32 v1, 0x7f
	v_cmp_lt_u32_e32 vcc_lo, 0x7f800000, v3
	s_delay_alu instid0(VALU_DEP_2)
	v_cndmask_b32_e32 v1, 0x7e, v1, vcc_lo
; %bb.2848:
	s_or_b32 exec_lo, exec_lo, s3
	v_lshrrev_b32_e32 v3, 24, v6
	s_delay_alu instid0(VALU_DEP_1)
	v_and_or_b32 v1, 0x80, v3, v1
	global_store_b8 v[4:5], v1, off
.LBB40_2849:
	s_mov_b32 s3, 0
.LBB40_2850:
	s_delay_alu instid0(SALU_CYCLE_1)
	s_and_not1_b32 vcc_lo, exec_lo, s3
	s_cbranch_vccnz .LBB40_2860
; %bb.2851:
	s_wait_xcnt 0x0
	v_and_b32_e32 v3, 0x7fffffff, v6
	s_mov_b32 s3, exec_lo
                                        ; implicit-def: $vgpr1
	s_delay_alu instid0(VALU_DEP_1)
	v_cmpx_gt_u32_e32 0x47800000, v3
	s_xor_b32 s3, exec_lo, s3
	s_cbranch_execz .LBB40_2857
; %bb.2852:
	s_mov_b32 s6, exec_lo
                                        ; implicit-def: $vgpr1
	v_cmpx_lt_u32_e32 0x387fffff, v3
	s_xor_b32 s6, exec_lo, s6
; %bb.2853:
	v_bfe_u32 v1, v6, 21, 1
	s_delay_alu instid0(VALU_DEP_1) | instskip(NEXT) | instid1(VALU_DEP_1)
	v_add3_u32 v1, v6, v1, 0x80fffff
	v_lshrrev_b32_e32 v1, 21, v1
; %bb.2854:
	s_and_not1_saveexec_b32 s6, s6
; %bb.2855:
	v_add_f32_e64 v1, 0x43000000, |v6|
; %bb.2856:
	s_or_b32 exec_lo, exec_lo, s6
                                        ; implicit-def: $vgpr3
.LBB40_2857:
	s_and_not1_saveexec_b32 s3, s3
; %bb.2858:
	v_mov_b32_e32 v1, 0x7f
	v_cmp_lt_u32_e32 vcc_lo, 0x7f800000, v3
	s_delay_alu instid0(VALU_DEP_2)
	v_cndmask_b32_e32 v1, 0x7c, v1, vcc_lo
; %bb.2859:
	s_or_b32 exec_lo, exec_lo, s3
	v_lshrrev_b32_e32 v3, 24, v6
	s_delay_alu instid0(VALU_DEP_1)
	v_and_or_b32 v1, 0x80, v3, v1
	global_store_b8 v[4:5], v1, off
.LBB40_2860:
	s_mov_b32 s3, 0
	s_mov_b32 s6, -1
.LBB40_2861:
	s_and_not1_b32 vcc_lo, exec_lo, s3
	s_mov_b32 s3, 0
	s_cbranch_vccnz .LBB40_2868
; %bb.2862:
	s_cmp_gt_i32 s2, 14
	s_mov_b32 s3, -1
	s_cbranch_scc0 .LBB40_2866
; %bb.2863:
	s_cmp_eq_u32 s2, 15
	s_mov_b32 s0, -1
	s_cbranch_scc0 .LBB40_2865
; %bb.2864:
	s_wait_xcnt 0x0
	v_bfe_u32 v1, v6, 16, 1
	v_cmp_o_f32_e32 vcc_lo, v6, v6
	s_mov_b32 s0, 0
	s_mov_b32 s6, -1
	s_delay_alu instid0(VALU_DEP_2) | instskip(NEXT) | instid1(VALU_DEP_1)
	v_add3_u32 v1, v6, v1, 0x7fff
	v_lshrrev_b32_e32 v1, 16, v1
	s_delay_alu instid0(VALU_DEP_1)
	v_cndmask_b32_e32 v1, 0x7fc0, v1, vcc_lo
	global_store_b16 v[4:5], v1, off
.LBB40_2865:
	s_mov_b32 s3, 0
.LBB40_2866:
	s_delay_alu instid0(SALU_CYCLE_1)
	s_and_b32 vcc_lo, exec_lo, s3
	s_mov_b32 s3, 0
	s_cbranch_vccz .LBB40_2868
; %bb.2867:
	s_cmp_lg_u32 s2, 11
	s_mov_b32 s3, -1
	s_cselect_b32 s0, -1, 0
.LBB40_2868:
	s_delay_alu instid0(SALU_CYCLE_1)
	s_and_b32 vcc_lo, exec_lo, s0
	s_cbranch_vccnz .LBB40_3159
; %bb.2869:
	s_and_not1_b32 vcc_lo, exec_lo, s3
	s_cbranch_vccnz .LBB40_2871
.LBB40_2870:
	v_cmp_neq_f32_e32 vcc_lo, 0, v6
	s_mov_b32 s6, -1
	s_wait_xcnt 0x0
	v_cndmask_b32_e64 v1, 0, 1, vcc_lo
	global_store_b8 v[4:5], v1, off
.LBB40_2871:
.LBB40_2872:
	s_and_not1_b32 vcc_lo, exec_lo, s6
	s_cbranch_vccz .LBB40_2912
	s_branch .LBB40_3106
.LBB40_2873:
	s_and_b32 vcc_lo, exec_lo, s0
	s_cbranch_vccz .LBB40_2872
; %bb.2874:
	s_cmp_lt_i32 s2, 5
	s_mov_b32 s0, -1
	s_cbranch_scc1 .LBB40_2895
; %bb.2875:
	s_cmp_lt_i32 s2, 8
	s_cbranch_scc1 .LBB40_2885
; %bb.2876:
	s_cmp_lt_i32 s2, 9
	s_cbranch_scc1 .LBB40_2882
; %bb.2877:
	s_cmp_gt_i32 s2, 9
	s_cbranch_scc0 .LBB40_2879
; %bb.2878:
	v_cvt_f64_f32_e32 v[18:19], v6
	v_mov_b32_e32 v20, 0
	s_mov_b32 s0, 0
	s_delay_alu instid0(VALU_DEP_1)
	v_mov_b32_e32 v21, v20
	global_store_b128 v[4:5], v[18:21], off
.LBB40_2879:
	s_and_not1_b32 vcc_lo, exec_lo, s0
	s_cbranch_vccnz .LBB40_2881
; %bb.2880:
	v_mov_b32_e32 v7, 0
	global_store_b64 v[4:5], v[6:7], off
.LBB40_2881:
	s_mov_b32 s0, 0
.LBB40_2882:
	s_delay_alu instid0(SALU_CYCLE_1)
	s_and_not1_b32 vcc_lo, exec_lo, s0
	s_cbranch_vccnz .LBB40_2884
; %bb.2883:
	s_wait_xcnt 0x0
	v_cvt_f16_f32_e32 v1, v6
	s_delay_alu instid0(VALU_DEP_1)
	v_and_b32_e32 v1, 0xffff, v1
	global_store_b32 v[4:5], v1, off
.LBB40_2884:
	s_mov_b32 s0, 0
.LBB40_2885:
	s_delay_alu instid0(SALU_CYCLE_1)
	s_and_not1_b32 vcc_lo, exec_lo, s0
	s_cbranch_vccnz .LBB40_2894
; %bb.2886:
	s_cmp_lt_i32 s2, 6
	s_mov_b32 s0, -1
	s_cbranch_scc1 .LBB40_2892
; %bb.2887:
	s_cmp_gt_i32 s2, 6
	s_cbranch_scc0 .LBB40_2889
; %bb.2888:
	s_wait_xcnt 0x0
	v_cvt_f64_f32_e32 v[8:9], v6
	s_mov_b32 s0, 0
	global_store_b64 v[4:5], v[8:9], off
.LBB40_2889:
	s_and_not1_b32 vcc_lo, exec_lo, s0
	s_cbranch_vccnz .LBB40_2891
; %bb.2890:
	global_store_b32 v[4:5], v6, off
.LBB40_2891:
	s_mov_b32 s0, 0
.LBB40_2892:
	s_delay_alu instid0(SALU_CYCLE_1)
	s_and_not1_b32 vcc_lo, exec_lo, s0
	s_cbranch_vccnz .LBB40_2894
; %bb.2893:
	s_wait_xcnt 0x0
	v_cvt_f16_f32_e32 v1, v6
	global_store_b16 v[4:5], v1, off
.LBB40_2894:
	s_mov_b32 s0, 0
.LBB40_2895:
	s_delay_alu instid0(SALU_CYCLE_1)
	s_and_not1_b32 vcc_lo, exec_lo, s0
	s_cbranch_vccnz .LBB40_2911
; %bb.2896:
	s_cmp_lt_i32 s2, 2
	s_mov_b32 s0, -1
	s_cbranch_scc1 .LBB40_2906
; %bb.2897:
	s_cmp_lt_i32 s2, 3
	s_cbranch_scc1 .LBB40_2903
; %bb.2898:
	s_cmp_gt_i32 s2, 3
	s_cbranch_scc0 .LBB40_2900
; %bb.2899:
	s_wait_xcnt 0x0
	v_trunc_f32_e32 v1, v6
	s_mov_b32 s0, 0
	s_delay_alu instid0(VALU_DEP_1) | instskip(SKIP_1) | instid1(VALU_DEP_2)
	v_mul_f32_e64 v3, 0x2f800000, |v1|
	v_ashrrev_i32_e32 v8, 31, v1
	v_floor_f32_e32 v3, v3
	s_delay_alu instid0(VALU_DEP_1) | instskip(SKIP_1) | instid1(VALU_DEP_4)
	v_fma_f32 v7, 0xcf800000, v3, |v1|
	v_cvt_u32_f32_e32 v1, v3
	v_mov_b32_e32 v9, v8
	s_delay_alu instid0(VALU_DEP_3) | instskip(NEXT) | instid1(VALU_DEP_3)
	v_cvt_u32_f32_e32 v3, v7
	v_xor_b32_e32 v19, v1, v8
	s_delay_alu instid0(VALU_DEP_2) | instskip(NEXT) | instid1(VALU_DEP_1)
	v_xor_b32_e32 v18, v3, v8
	v_sub_nc_u64_e32 v[8:9], v[18:19], v[8:9]
	global_store_b64 v[4:5], v[8:9], off
.LBB40_2900:
	s_and_not1_b32 vcc_lo, exec_lo, s0
	s_cbranch_vccnz .LBB40_2902
; %bb.2901:
	s_wait_xcnt 0x0
	v_cvt_i32_f32_e32 v1, v6
	global_store_b32 v[4:5], v1, off
.LBB40_2902:
	s_mov_b32 s0, 0
.LBB40_2903:
	s_delay_alu instid0(SALU_CYCLE_1)
	s_and_not1_b32 vcc_lo, exec_lo, s0
	s_cbranch_vccnz .LBB40_2905
; %bb.2904:
	s_wait_xcnt 0x0
	v_cvt_i32_f32_e32 v1, v6
	global_store_b16 v[4:5], v1, off
.LBB40_2905:
	s_mov_b32 s0, 0
.LBB40_2906:
	s_delay_alu instid0(SALU_CYCLE_1)
	s_and_not1_b32 vcc_lo, exec_lo, s0
	s_cbranch_vccnz .LBB40_2911
; %bb.2907:
	s_cmp_gt_i32 s2, 0
	s_mov_b32 s0, -1
	s_cbranch_scc0 .LBB40_2909
; %bb.2908:
	s_wait_xcnt 0x0
	v_cvt_i32_f32_e32 v1, v6
	s_mov_b32 s0, 0
	global_store_b8 v[4:5], v1, off
.LBB40_2909:
	s_and_not1_b32 vcc_lo, exec_lo, s0
	s_cbranch_vccnz .LBB40_2911
; %bb.2910:
	s_wait_xcnt 0x0
	v_trunc_f32_e32 v1, v6
	s_delay_alu instid0(VALU_DEP_1) | instskip(NEXT) | instid1(VALU_DEP_1)
	v_mul_f32_e64 v3, 0x2f800000, |v1|
	v_floor_f32_e32 v3, v3
	s_delay_alu instid0(VALU_DEP_1) | instskip(SKIP_1) | instid1(VALU_DEP_2)
	v_fma_f32 v3, 0xcf800000, v3, |v1|
	v_ashrrev_i32_e32 v1, 31, v1
	v_cvt_u32_f32_e32 v3, v3
	s_delay_alu instid0(VALU_DEP_1) | instskip(NEXT) | instid1(VALU_DEP_1)
	v_xor_b32_e32 v3, v3, v1
	v_sub_nc_u32_e32 v1, v3, v1
	global_store_b8 v[4:5], v1, off
.LBB40_2911:
.LBB40_2912:
	s_wait_xcnt 0x0
	v_dual_mov_b32 v3, 0 :: v_dual_mul_f32 v1, v16, v14
	v_cmp_lt_f32_e32 vcc_lo, 0, v16
	s_mov_b32 s6, 0
	s_cmp_lt_i32 s2, 11
	s_delay_alu instid0(VALU_DEP_2)
	v_add_nc_u64_e32 v[2:3], s[4:5], v[2:3]
	s_mov_b32 s0, -1
	v_cndmask_b32_e32 v4, v1, v16, vcc_lo
	s_cbranch_scc1 .LBB40_3067
; %bb.2913:
	s_mov_b32 s7, -1
	s_mov_b32 s3, 0
	s_cmp_gt_i32 s2, 25
	s_mov_b32 s0, 0
	s_cbranch_scc0 .LBB40_2946
; %bb.2914:
	s_cmp_gt_i32 s2, 28
	s_cbranch_scc0 .LBB40_2929
; %bb.2915:
	s_cmp_gt_i32 s2, 43
	;; [unrolled: 3-line block ×3, first 2 shown]
	s_cbranch_scc0 .LBB40_2919
; %bb.2917:
	s_mov_b32 s0, -1
	s_mov_b32 s7, 0
	s_cmp_eq_u32 s2, 46
	s_cbranch_scc0 .LBB40_2919
; %bb.2918:
	v_bfe_u32 v1, v4, 16, 1
	v_cmp_o_f32_e32 vcc_lo, v4, v4
	s_mov_b32 s0, 0
	s_mov_b32 s6, -1
	s_delay_alu instid0(VALU_DEP_2) | instskip(NEXT) | instid1(VALU_DEP_1)
	v_add3_u32 v1, v4, v1, 0x7fff
	v_lshrrev_b32_e32 v1, 16, v1
	s_delay_alu instid0(VALU_DEP_1)
	v_cndmask_b32_e32 v1, 0x7fc0, v1, vcc_lo
	global_store_b32 v[2:3], v1, off
.LBB40_2919:
	s_and_b32 vcc_lo, exec_lo, s7
	s_cbranch_vccz .LBB40_2924
; %bb.2920:
	s_cmp_eq_u32 s2, 44
	s_mov_b32 s0, -1
	s_cbranch_scc0 .LBB40_2924
; %bb.2921:
	v_bfe_u32 v5, v4, 23, 8
	s_wait_xcnt 0x0
	v_mov_b32_e32 v1, 0xff
	s_mov_b32 s6, exec_lo
	s_delay_alu instid0(VALU_DEP_2)
	v_cmpx_ne_u32_e32 0xff, v5
	s_cbranch_execz .LBB40_2923
; %bb.2922:
	v_and_b32_e32 v1, 0x400000, v4
	v_and_or_b32 v5, 0x3fffff, v4, v5
	s_delay_alu instid0(VALU_DEP_2) | instskip(NEXT) | instid1(VALU_DEP_2)
	v_cmp_ne_u32_e32 vcc_lo, 0, v1
	v_cmp_ne_u32_e64 s0, 0, v5
	v_lshrrev_b32_e32 v1, 23, v4
	s_and_b32 s0, vcc_lo, s0
	s_delay_alu instid0(SALU_CYCLE_1) | instskip(NEXT) | instid1(VALU_DEP_1)
	v_cndmask_b32_e64 v5, 0, 1, s0
	v_add_nc_u32_e32 v1, v1, v5
.LBB40_2923:
	s_or_b32 exec_lo, exec_lo, s6
	s_mov_b32 s0, 0
	s_mov_b32 s6, -1
	global_store_b8 v[2:3], v1, off
.LBB40_2924:
	s_mov_b32 s7, 0
.LBB40_2925:
	s_delay_alu instid0(SALU_CYCLE_1)
	s_and_b32 vcc_lo, exec_lo, s7
	s_cbranch_vccz .LBB40_2928
; %bb.2926:
	s_cmp_eq_u32 s2, 29
	s_mov_b32 s0, -1
	s_cbranch_scc0 .LBB40_2928
; %bb.2927:
	s_wait_xcnt 0x0
	v_trunc_f32_e32 v1, v4
	s_mov_b32 s0, 0
	s_mov_b32 s6, -1
	s_delay_alu instid0(VALU_DEP_1) | instskip(NEXT) | instid1(VALU_DEP_1)
	v_mul_f32_e32 v5, 0x2f800000, v1
	v_floor_f32_e32 v5, v5
	s_delay_alu instid0(VALU_DEP_1) | instskip(SKIP_1) | instid1(VALU_DEP_2)
	v_fmamk_f32 v1, v5, 0xcf800000, v1
	v_cvt_u32_f32_e32 v7, v5
	v_cvt_u32_f32_e32 v6, v1
	global_store_b64 v[2:3], v[6:7], off
.LBB40_2928:
	s_mov_b32 s7, 0
.LBB40_2929:
	s_delay_alu instid0(SALU_CYCLE_1)
	s_and_b32 vcc_lo, exec_lo, s7
	s_cbranch_vccz .LBB40_2945
; %bb.2930:
	s_cmp_lt_i32 s2, 27
	s_mov_b32 s6, -1
	s_cbranch_scc1 .LBB40_2936
; %bb.2931:
	s_cmp_gt_i32 s2, 27
	s_cbranch_scc0 .LBB40_2933
; %bb.2932:
	s_wait_xcnt 0x0
	v_cvt_u32_f32_e32 v1, v4
	s_mov_b32 s6, 0
	global_store_b32 v[2:3], v1, off
.LBB40_2933:
	s_and_not1_b32 vcc_lo, exec_lo, s6
	s_cbranch_vccnz .LBB40_2935
; %bb.2934:
	s_wait_xcnt 0x0
	v_cvt_u32_f32_e32 v1, v4
	global_store_b16 v[2:3], v1, off
.LBB40_2935:
	s_mov_b32 s6, 0
.LBB40_2936:
	s_delay_alu instid0(SALU_CYCLE_1)
	s_and_not1_b32 vcc_lo, exec_lo, s6
	s_cbranch_vccnz .LBB40_2944
; %bb.2937:
	s_wait_xcnt 0x0
	v_and_b32_e32 v1, 0x7fffffff, v4
	v_mov_b32_e32 v5, 0x80
	s_mov_b32 s6, exec_lo
	s_delay_alu instid0(VALU_DEP_2)
	v_cmpx_gt_u32_e32 0x43800000, v1
	s_cbranch_execz .LBB40_2943
; %bb.2938:
	v_cmp_lt_u32_e32 vcc_lo, 0x3bffffff, v1
	s_mov_b32 s7, 0
                                        ; implicit-def: $vgpr1
	s_and_saveexec_b32 s11, vcc_lo
	s_delay_alu instid0(SALU_CYCLE_1)
	s_xor_b32 s11, exec_lo, s11
	s_cbranch_execz .LBB40_3162
; %bb.2939:
	v_bfe_u32 v1, v4, 20, 1
	s_mov_b32 s7, exec_lo
	s_delay_alu instid0(VALU_DEP_1) | instskip(NEXT) | instid1(VALU_DEP_1)
	v_add3_u32 v1, v4, v1, 0x487ffff
	v_lshrrev_b32_e32 v1, 20, v1
	s_and_not1_saveexec_b32 s11, s11
	s_cbranch_execnz .LBB40_3163
.LBB40_2940:
	s_or_b32 exec_lo, exec_lo, s11
	v_mov_b32_e32 v5, 0
	s_and_saveexec_b32 s11, s7
.LBB40_2941:
	v_lshrrev_b32_e32 v5, 24, v4
	s_delay_alu instid0(VALU_DEP_1)
	v_and_or_b32 v5, 0x80, v5, v1
.LBB40_2942:
	s_or_b32 exec_lo, exec_lo, s11
.LBB40_2943:
	s_delay_alu instid0(SALU_CYCLE_1)
	s_or_b32 exec_lo, exec_lo, s6
	global_store_b8 v[2:3], v5, off
.LBB40_2944:
	s_mov_b32 s6, -1
.LBB40_2945:
	s_mov_b32 s7, 0
.LBB40_2946:
	s_delay_alu instid0(SALU_CYCLE_1)
	s_and_b32 vcc_lo, exec_lo, s7
	s_cbranch_vccz .LBB40_2986
; %bb.2947:
	s_cmp_gt_i32 s2, 22
	s_mov_b32 s3, -1
	s_cbranch_scc0 .LBB40_2979
; %bb.2948:
	s_cmp_lt_i32 s2, 24
	s_cbranch_scc1 .LBB40_2968
; %bb.2949:
	s_cmp_gt_i32 s2, 24
	s_cbranch_scc0 .LBB40_2957
; %bb.2950:
	s_wait_xcnt 0x0
	v_and_b32_e32 v1, 0x7fffffff, v4
	v_mov_b32_e32 v5, 0x80
	s_mov_b32 s3, exec_lo
	s_delay_alu instid0(VALU_DEP_2)
	v_cmpx_gt_u32_e32 0x47800000, v1
	s_cbranch_execz .LBB40_2956
; %bb.2951:
	v_cmp_lt_u32_e32 vcc_lo, 0x37ffffff, v1
	s_mov_b32 s6, 0
                                        ; implicit-def: $vgpr1
	s_and_saveexec_b32 s7, vcc_lo
	s_delay_alu instid0(SALU_CYCLE_1)
	s_xor_b32 s7, exec_lo, s7
	s_cbranch_execz .LBB40_3165
; %bb.2952:
	v_bfe_u32 v1, v4, 21, 1
	s_mov_b32 s6, exec_lo
	s_delay_alu instid0(VALU_DEP_1) | instskip(NEXT) | instid1(VALU_DEP_1)
	v_add3_u32 v1, v4, v1, 0x88fffff
	v_lshrrev_b32_e32 v1, 21, v1
	s_and_not1_saveexec_b32 s7, s7
	s_cbranch_execnz .LBB40_3166
.LBB40_2953:
	s_or_b32 exec_lo, exec_lo, s7
	v_mov_b32_e32 v5, 0
	s_and_saveexec_b32 s7, s6
.LBB40_2954:
	v_lshrrev_b32_e32 v5, 24, v4
	s_delay_alu instid0(VALU_DEP_1)
	v_and_or_b32 v5, 0x80, v5, v1
.LBB40_2955:
	s_or_b32 exec_lo, exec_lo, s7
.LBB40_2956:
	s_delay_alu instid0(SALU_CYCLE_1)
	s_or_b32 exec_lo, exec_lo, s3
	s_mov_b32 s3, 0
	global_store_b8 v[2:3], v5, off
.LBB40_2957:
	s_and_b32 vcc_lo, exec_lo, s3
	s_cbranch_vccz .LBB40_2967
; %bb.2958:
	s_wait_xcnt 0x0
	v_and_b32_e32 v5, 0x7fffffff, v4
	s_mov_b32 s3, exec_lo
                                        ; implicit-def: $vgpr1
	s_delay_alu instid0(VALU_DEP_1)
	v_cmpx_gt_u32_e32 0x43f00000, v5
	s_xor_b32 s3, exec_lo, s3
	s_cbranch_execz .LBB40_2964
; %bb.2959:
	s_mov_b32 s6, exec_lo
                                        ; implicit-def: $vgpr1
	v_cmpx_lt_u32_e32 0x3c7fffff, v5
	s_xor_b32 s6, exec_lo, s6
; %bb.2960:
	v_bfe_u32 v1, v4, 20, 1
	s_delay_alu instid0(VALU_DEP_1) | instskip(NEXT) | instid1(VALU_DEP_1)
	v_add3_u32 v1, v4, v1, 0x407ffff
	v_and_b32_e32 v5, 0xff00000, v1
	v_lshrrev_b32_e32 v1, 20, v1
	s_delay_alu instid0(VALU_DEP_2) | instskip(NEXT) | instid1(VALU_DEP_2)
	v_cmp_ne_u32_e32 vcc_lo, 0x7f00000, v5
	v_cndmask_b32_e32 v1, 0x7e, v1, vcc_lo
; %bb.2961:
	s_and_not1_saveexec_b32 s6, s6
; %bb.2962:
	v_add_f32_e64 v1, 0x46800000, |v4|
; %bb.2963:
	s_or_b32 exec_lo, exec_lo, s6
                                        ; implicit-def: $vgpr5
.LBB40_2964:
	s_and_not1_saveexec_b32 s3, s3
; %bb.2965:
	v_mov_b32_e32 v1, 0x7f
	v_cmp_lt_u32_e32 vcc_lo, 0x7f800000, v5
	s_delay_alu instid0(VALU_DEP_2)
	v_cndmask_b32_e32 v1, 0x7e, v1, vcc_lo
; %bb.2966:
	s_or_b32 exec_lo, exec_lo, s3
	v_lshrrev_b32_e32 v5, 24, v4
	s_delay_alu instid0(VALU_DEP_1)
	v_and_or_b32 v1, 0x80, v5, v1
	global_store_b8 v[2:3], v1, off
.LBB40_2967:
	s_mov_b32 s3, 0
.LBB40_2968:
	s_delay_alu instid0(SALU_CYCLE_1)
	s_and_not1_b32 vcc_lo, exec_lo, s3
	s_cbranch_vccnz .LBB40_2978
; %bb.2969:
	s_wait_xcnt 0x0
	v_and_b32_e32 v5, 0x7fffffff, v4
	s_mov_b32 s3, exec_lo
                                        ; implicit-def: $vgpr1
	s_delay_alu instid0(VALU_DEP_1)
	v_cmpx_gt_u32_e32 0x47800000, v5
	s_xor_b32 s3, exec_lo, s3
	s_cbranch_execz .LBB40_2975
; %bb.2970:
	s_mov_b32 s6, exec_lo
                                        ; implicit-def: $vgpr1
	v_cmpx_lt_u32_e32 0x387fffff, v5
	s_xor_b32 s6, exec_lo, s6
; %bb.2971:
	v_bfe_u32 v1, v4, 21, 1
	s_delay_alu instid0(VALU_DEP_1) | instskip(NEXT) | instid1(VALU_DEP_1)
	v_add3_u32 v1, v4, v1, 0x80fffff
	v_lshrrev_b32_e32 v1, 21, v1
; %bb.2972:
	s_and_not1_saveexec_b32 s6, s6
; %bb.2973:
	v_add_f32_e64 v1, 0x43000000, |v4|
; %bb.2974:
	s_or_b32 exec_lo, exec_lo, s6
                                        ; implicit-def: $vgpr5
.LBB40_2975:
	s_and_not1_saveexec_b32 s3, s3
; %bb.2976:
	v_mov_b32_e32 v1, 0x7f
	v_cmp_lt_u32_e32 vcc_lo, 0x7f800000, v5
	s_delay_alu instid0(VALU_DEP_2)
	v_cndmask_b32_e32 v1, 0x7c, v1, vcc_lo
; %bb.2977:
	s_or_b32 exec_lo, exec_lo, s3
	v_lshrrev_b32_e32 v5, 24, v4
	s_delay_alu instid0(VALU_DEP_1)
	v_and_or_b32 v1, 0x80, v5, v1
	global_store_b8 v[2:3], v1, off
.LBB40_2978:
	s_mov_b32 s3, 0
	s_mov_b32 s6, -1
.LBB40_2979:
	s_and_not1_b32 vcc_lo, exec_lo, s3
	s_mov_b32 s3, 0
	s_cbranch_vccnz .LBB40_2986
; %bb.2980:
	s_cmp_gt_i32 s2, 14
	s_mov_b32 s3, -1
	s_cbranch_scc0 .LBB40_2984
; %bb.2981:
	s_cmp_eq_u32 s2, 15
	s_mov_b32 s0, -1
	s_cbranch_scc0 .LBB40_2983
; %bb.2982:
	s_wait_xcnt 0x0
	v_bfe_u32 v1, v4, 16, 1
	v_cmp_o_f32_e32 vcc_lo, v4, v4
	s_mov_b32 s0, 0
	s_mov_b32 s6, -1
	s_delay_alu instid0(VALU_DEP_2) | instskip(NEXT) | instid1(VALU_DEP_1)
	v_add3_u32 v1, v4, v1, 0x7fff
	v_lshrrev_b32_e32 v1, 16, v1
	s_delay_alu instid0(VALU_DEP_1)
	v_cndmask_b32_e32 v1, 0x7fc0, v1, vcc_lo
	global_store_b16 v[2:3], v1, off
.LBB40_2983:
	s_mov_b32 s3, 0
.LBB40_2984:
	s_delay_alu instid0(SALU_CYCLE_1)
	s_and_b32 vcc_lo, exec_lo, s3
	s_mov_b32 s3, 0
	s_cbranch_vccz .LBB40_2986
; %bb.2985:
	s_cmp_lg_u32 s2, 11
	s_mov_b32 s3, -1
	s_cselect_b32 s0, -1, 0
.LBB40_2986:
	s_delay_alu instid0(SALU_CYCLE_1)
	s_and_b32 vcc_lo, exec_lo, s0
	s_cbranch_vccnz .LBB40_3164
; %bb.2987:
	s_and_not1_b32 vcc_lo, exec_lo, s3
	s_cbranch_vccnz .LBB40_2989
.LBB40_2988:
	v_cmp_neq_f32_e32 vcc_lo, 0, v4
	s_mov_b32 s6, -1
	s_wait_xcnt 0x0
	v_cndmask_b32_e64 v1, 0, 1, vcc_lo
	global_store_b8 v[2:3], v1, off
.LBB40_2989:
.LBB40_2990:
	s_and_not1_b32 vcc_lo, exec_lo, s6
	s_cbranch_vccnz .LBB40_3106
.LBB40_2991:
	s_wait_xcnt 0x0
	v_dual_mov_b32 v1, 0 :: v_dual_mul_f32 v4, v12, v10
	v_cmp_lt_f32_e32 vcc_lo, 0, v12
	s_mov_b32 s3, 0
	s_cmp_lt_i32 s2, 11
	s_delay_alu instid0(VALU_DEP_2)
	v_add_nc_u64_e32 v[2:3], s[4:5], v[0:1]
	s_mov_b32 s0, -1
	v_cndmask_b32_e32 v4, v4, v12, vcc_lo
	s_cbranch_scc1 .LBB40_3107
; %bb.2992:
	s_mov_b32 s4, -1
	s_cmp_gt_i32 s2, 25
	s_mov_b32 s0, 0
	s_cbranch_scc0 .LBB40_3025
; %bb.2993:
	s_cmp_gt_i32 s2, 28
	s_cbranch_scc0 .LBB40_3009
; %bb.2994:
	s_cmp_gt_i32 s2, 43
	;; [unrolled: 3-line block ×3, first 2 shown]
	s_cbranch_scc0 .LBB40_2999
; %bb.2996:
	s_cmp_eq_u32 s2, 46
	s_mov_b32 s0, -1
	s_cbranch_scc0 .LBB40_2998
; %bb.2997:
	v_bfe_u32 v0, v4, 16, 1
	v_cmp_o_f32_e32 vcc_lo, v4, v4
	s_mov_b32 s0, 0
	s_delay_alu instid0(VALU_DEP_2) | instskip(NEXT) | instid1(VALU_DEP_1)
	v_add3_u32 v0, v4, v0, 0x7fff
	v_lshrrev_b32_e32 v0, 16, v0
	s_delay_alu instid0(VALU_DEP_1)
	v_cndmask_b32_e32 v0, 0x7fc0, v0, vcc_lo
	global_store_b32 v[2:3], v0, off
.LBB40_2998:
	s_mov_b32 s4, 0
.LBB40_2999:
	s_delay_alu instid0(SALU_CYCLE_1)
	s_and_b32 vcc_lo, exec_lo, s4
	s_cbranch_vccz .LBB40_3004
; %bb.3000:
	s_cmp_eq_u32 s2, 44
	s_mov_b32 s0, -1
	s_cbranch_scc0 .LBB40_3004
; %bb.3001:
	v_bfe_u32 v1, v4, 23, 8
	s_wait_xcnt 0x0
	v_mov_b32_e32 v0, 0xff
	s_mov_b32 s4, exec_lo
	s_delay_alu instid0(VALU_DEP_2)
	v_cmpx_ne_u32_e32 0xff, v1
	s_cbranch_execz .LBB40_3003
; %bb.3002:
	v_and_b32_e32 v0, 0x400000, v4
	v_and_or_b32 v1, 0x3fffff, v4, v1
	s_delay_alu instid0(VALU_DEP_2) | instskip(NEXT) | instid1(VALU_DEP_2)
	v_cmp_ne_u32_e32 vcc_lo, 0, v0
	v_cmp_ne_u32_e64 s0, 0, v1
	v_lshrrev_b32_e32 v0, 23, v4
	s_and_b32 s0, vcc_lo, s0
	s_delay_alu instid0(SALU_CYCLE_1) | instskip(NEXT) | instid1(VALU_DEP_1)
	v_cndmask_b32_e64 v1, 0, 1, s0
	v_add_nc_u32_e32 v0, v0, v1
.LBB40_3003:
	s_or_b32 exec_lo, exec_lo, s4
	s_mov_b32 s0, 0
	global_store_b8 v[2:3], v0, off
.LBB40_3004:
	s_mov_b32 s4, 0
.LBB40_3005:
	s_delay_alu instid0(SALU_CYCLE_1)
	s_and_b32 vcc_lo, exec_lo, s4
	s_cbranch_vccz .LBB40_3008
; %bb.3006:
	s_cmp_eq_u32 s2, 29
	s_mov_b32 s0, -1
	s_cbranch_scc0 .LBB40_3008
; %bb.3007:
	s_wait_xcnt 0x0
	v_trunc_f32_e32 v0, v4
	s_mov_b32 s0, 0
	s_delay_alu instid0(VALU_DEP_1) | instskip(NEXT) | instid1(VALU_DEP_1)
	v_mul_f32_e32 v1, 0x2f800000, v0
	v_floor_f32_e32 v1, v1
	s_delay_alu instid0(VALU_DEP_1) | instskip(SKIP_1) | instid1(VALU_DEP_2)
	v_fmamk_f32 v0, v1, 0xcf800000, v0
	v_cvt_u32_f32_e32 v1, v1
	v_cvt_u32_f32_e32 v0, v0
	global_store_b64 v[2:3], v[0:1], off
.LBB40_3008:
	s_mov_b32 s4, 0
.LBB40_3009:
	s_delay_alu instid0(SALU_CYCLE_1)
	s_and_b32 vcc_lo, exec_lo, s4
	s_cbranch_vccz .LBB40_3024
; %bb.3010:
	s_cmp_lt_i32 s2, 27
	s_mov_b32 s4, -1
	s_cbranch_scc1 .LBB40_3016
; %bb.3011:
	s_wait_xcnt 0x0
	v_cvt_u32_f32_e32 v0, v4
	s_cmp_gt_i32 s2, 27
	s_cbranch_scc0 .LBB40_3013
; %bb.3012:
	s_mov_b32 s4, 0
	global_store_b32 v[2:3], v0, off
.LBB40_3013:
	s_and_not1_b32 vcc_lo, exec_lo, s4
	s_cbranch_vccnz .LBB40_3015
; %bb.3014:
	global_store_b16 v[2:3], v0, off
.LBB40_3015:
	s_mov_b32 s4, 0
.LBB40_3016:
	s_delay_alu instid0(SALU_CYCLE_1)
	s_and_not1_b32 vcc_lo, exec_lo, s4
	s_cbranch_vccnz .LBB40_3024
; %bb.3017:
	s_wait_xcnt 0x0
	v_and_b32_e32 v0, 0x7fffffff, v4
	v_mov_b32_e32 v1, 0x80
	s_mov_b32 s4, exec_lo
	s_delay_alu instid0(VALU_DEP_2)
	v_cmpx_gt_u32_e32 0x43800000, v0
	s_cbranch_execz .LBB40_3023
; %bb.3018:
	v_cmp_lt_u32_e32 vcc_lo, 0x3bffffff, v0
	s_mov_b32 s5, 0
                                        ; implicit-def: $vgpr0
	s_and_saveexec_b32 s6, vcc_lo
	s_delay_alu instid0(SALU_CYCLE_1)
	s_xor_b32 s6, exec_lo, s6
	s_cbranch_execz .LBB40_3167
; %bb.3019:
	v_bfe_u32 v0, v4, 20, 1
	s_mov_b32 s5, exec_lo
	s_delay_alu instid0(VALU_DEP_1) | instskip(NEXT) | instid1(VALU_DEP_1)
	v_add3_u32 v0, v4, v0, 0x487ffff
	v_lshrrev_b32_e32 v0, 20, v0
	s_and_not1_saveexec_b32 s6, s6
	s_cbranch_execnz .LBB40_3168
.LBB40_3020:
	s_or_b32 exec_lo, exec_lo, s6
	v_mov_b32_e32 v1, 0
	s_and_saveexec_b32 s6, s5
.LBB40_3021:
	v_lshrrev_b32_e32 v1, 24, v4
	s_delay_alu instid0(VALU_DEP_1)
	v_and_or_b32 v1, 0x80, v1, v0
.LBB40_3022:
	s_or_b32 exec_lo, exec_lo, s6
.LBB40_3023:
	s_delay_alu instid0(SALU_CYCLE_1)
	s_or_b32 exec_lo, exec_lo, s4
	global_store_b8 v[2:3], v1, off
.LBB40_3024:
	s_mov_b32 s4, 0
.LBB40_3025:
	s_delay_alu instid0(SALU_CYCLE_1)
	s_and_b32 vcc_lo, exec_lo, s4
	s_cbranch_vccz .LBB40_3065
; %bb.3026:
	s_cmp_gt_i32 s2, 22
	s_mov_b32 s3, -1
	s_cbranch_scc0 .LBB40_3058
; %bb.3027:
	s_cmp_lt_i32 s2, 24
	s_cbranch_scc1 .LBB40_3047
; %bb.3028:
	s_cmp_gt_i32 s2, 24
	s_cbranch_scc0 .LBB40_3036
; %bb.3029:
	s_wait_xcnt 0x0
	v_and_b32_e32 v0, 0x7fffffff, v4
	v_mov_b32_e32 v1, 0x80
	s_mov_b32 s3, exec_lo
	s_delay_alu instid0(VALU_DEP_2)
	v_cmpx_gt_u32_e32 0x47800000, v0
	s_cbranch_execz .LBB40_3035
; %bb.3030:
	v_cmp_lt_u32_e32 vcc_lo, 0x37ffffff, v0
	s_mov_b32 s4, 0
                                        ; implicit-def: $vgpr0
	s_and_saveexec_b32 s5, vcc_lo
	s_delay_alu instid0(SALU_CYCLE_1)
	s_xor_b32 s5, exec_lo, s5
	s_cbranch_execz .LBB40_3170
; %bb.3031:
	v_bfe_u32 v0, v4, 21, 1
	s_mov_b32 s4, exec_lo
	s_delay_alu instid0(VALU_DEP_1) | instskip(NEXT) | instid1(VALU_DEP_1)
	v_add3_u32 v0, v4, v0, 0x88fffff
	v_lshrrev_b32_e32 v0, 21, v0
	s_and_not1_saveexec_b32 s5, s5
	s_cbranch_execnz .LBB40_3171
.LBB40_3032:
	s_or_b32 exec_lo, exec_lo, s5
	v_mov_b32_e32 v1, 0
	s_and_saveexec_b32 s5, s4
.LBB40_3033:
	v_lshrrev_b32_e32 v1, 24, v4
	s_delay_alu instid0(VALU_DEP_1)
	v_and_or_b32 v1, 0x80, v1, v0
.LBB40_3034:
	s_or_b32 exec_lo, exec_lo, s5
.LBB40_3035:
	s_delay_alu instid0(SALU_CYCLE_1)
	s_or_b32 exec_lo, exec_lo, s3
	s_mov_b32 s3, 0
	global_store_b8 v[2:3], v1, off
.LBB40_3036:
	s_and_b32 vcc_lo, exec_lo, s3
	s_cbranch_vccz .LBB40_3046
; %bb.3037:
	s_wait_xcnt 0x0
	v_and_b32_e32 v1, 0x7fffffff, v4
	s_mov_b32 s3, exec_lo
                                        ; implicit-def: $vgpr0
	s_delay_alu instid0(VALU_DEP_1)
	v_cmpx_gt_u32_e32 0x43f00000, v1
	s_xor_b32 s3, exec_lo, s3
	s_cbranch_execz .LBB40_3043
; %bb.3038:
	s_mov_b32 s4, exec_lo
                                        ; implicit-def: $vgpr0
	v_cmpx_lt_u32_e32 0x3c7fffff, v1
	s_xor_b32 s4, exec_lo, s4
; %bb.3039:
	v_bfe_u32 v0, v4, 20, 1
	s_delay_alu instid0(VALU_DEP_1) | instskip(NEXT) | instid1(VALU_DEP_1)
	v_add3_u32 v0, v4, v0, 0x407ffff
	v_and_b32_e32 v1, 0xff00000, v0
	v_lshrrev_b32_e32 v0, 20, v0
	s_delay_alu instid0(VALU_DEP_2) | instskip(NEXT) | instid1(VALU_DEP_2)
	v_cmp_ne_u32_e32 vcc_lo, 0x7f00000, v1
	v_cndmask_b32_e32 v0, 0x7e, v0, vcc_lo
; %bb.3040:
	s_and_not1_saveexec_b32 s4, s4
; %bb.3041:
	v_add_f32_e64 v0, 0x46800000, |v4|
; %bb.3042:
	s_or_b32 exec_lo, exec_lo, s4
                                        ; implicit-def: $vgpr1
.LBB40_3043:
	s_and_not1_saveexec_b32 s3, s3
; %bb.3044:
	v_mov_b32_e32 v0, 0x7f
	v_cmp_lt_u32_e32 vcc_lo, 0x7f800000, v1
	s_delay_alu instid0(VALU_DEP_2)
	v_cndmask_b32_e32 v0, 0x7e, v0, vcc_lo
; %bb.3045:
	s_or_b32 exec_lo, exec_lo, s3
	v_lshrrev_b32_e32 v1, 24, v4
	s_delay_alu instid0(VALU_DEP_1)
	v_and_or_b32 v0, 0x80, v1, v0
	global_store_b8 v[2:3], v0, off
.LBB40_3046:
	s_mov_b32 s3, 0
.LBB40_3047:
	s_delay_alu instid0(SALU_CYCLE_1)
	s_and_not1_b32 vcc_lo, exec_lo, s3
	s_cbranch_vccnz .LBB40_3057
; %bb.3048:
	s_wait_xcnt 0x0
	v_and_b32_e32 v1, 0x7fffffff, v4
	s_mov_b32 s3, exec_lo
                                        ; implicit-def: $vgpr0
	s_delay_alu instid0(VALU_DEP_1)
	v_cmpx_gt_u32_e32 0x47800000, v1
	s_xor_b32 s3, exec_lo, s3
	s_cbranch_execz .LBB40_3054
; %bb.3049:
	s_mov_b32 s4, exec_lo
                                        ; implicit-def: $vgpr0
	v_cmpx_lt_u32_e32 0x387fffff, v1
	s_xor_b32 s4, exec_lo, s4
; %bb.3050:
	v_bfe_u32 v0, v4, 21, 1
	s_delay_alu instid0(VALU_DEP_1) | instskip(NEXT) | instid1(VALU_DEP_1)
	v_add3_u32 v0, v4, v0, 0x80fffff
	v_lshrrev_b32_e32 v0, 21, v0
; %bb.3051:
	s_and_not1_saveexec_b32 s4, s4
; %bb.3052:
	v_add_f32_e64 v0, 0x43000000, |v4|
; %bb.3053:
	s_or_b32 exec_lo, exec_lo, s4
                                        ; implicit-def: $vgpr1
.LBB40_3054:
	s_and_not1_saveexec_b32 s3, s3
; %bb.3055:
	v_mov_b32_e32 v0, 0x7f
	v_cmp_lt_u32_e32 vcc_lo, 0x7f800000, v1
	s_delay_alu instid0(VALU_DEP_2)
	v_cndmask_b32_e32 v0, 0x7c, v0, vcc_lo
; %bb.3056:
	s_or_b32 exec_lo, exec_lo, s3
	v_lshrrev_b32_e32 v1, 24, v4
	s_delay_alu instid0(VALU_DEP_1)
	v_and_or_b32 v0, 0x80, v1, v0
	global_store_b8 v[2:3], v0, off
.LBB40_3057:
	s_mov_b32 s3, 0
.LBB40_3058:
	s_delay_alu instid0(SALU_CYCLE_1)
	s_and_not1_b32 vcc_lo, exec_lo, s3
	s_mov_b32 s3, 0
	s_cbranch_vccnz .LBB40_3065
; %bb.3059:
	s_cmp_gt_i32 s2, 14
	s_mov_b32 s3, -1
	s_cbranch_scc0 .LBB40_3063
; %bb.3060:
	s_cmp_eq_u32 s2, 15
	s_mov_b32 s0, -1
	s_cbranch_scc0 .LBB40_3062
; %bb.3061:
	s_wait_xcnt 0x0
	v_bfe_u32 v0, v4, 16, 1
	v_cmp_o_f32_e32 vcc_lo, v4, v4
	s_mov_b32 s0, 0
	s_delay_alu instid0(VALU_DEP_2) | instskip(NEXT) | instid1(VALU_DEP_1)
	v_add3_u32 v0, v4, v0, 0x7fff
	v_lshrrev_b32_e32 v0, 16, v0
	s_delay_alu instid0(VALU_DEP_1)
	v_cndmask_b32_e32 v0, 0x7fc0, v0, vcc_lo
	global_store_b16 v[2:3], v0, off
.LBB40_3062:
	s_mov_b32 s3, 0
.LBB40_3063:
	s_delay_alu instid0(SALU_CYCLE_1)
	s_and_b32 vcc_lo, exec_lo, s3
	s_mov_b32 s3, 0
	s_cbranch_vccz .LBB40_3065
; %bb.3064:
	s_cmp_lg_u32 s2, 11
	s_mov_b32 s3, -1
	s_cselect_b32 s0, -1, 0
.LBB40_3065:
	s_delay_alu instid0(SALU_CYCLE_1)
	s_and_b32 vcc_lo, exec_lo, s0
	s_cbranch_vccnz .LBB40_3169
.LBB40_3066:
	s_mov_b32 s0, 0
	s_branch .LBB40_3107
.LBB40_3067:
	s_and_b32 vcc_lo, exec_lo, s0
	s_cbranch_vccz .LBB40_2990
; %bb.3068:
	s_cmp_lt_i32 s2, 5
	s_mov_b32 s0, -1
	s_cbranch_scc1 .LBB40_3089
; %bb.3069:
	s_cmp_lt_i32 s2, 8
	s_cbranch_scc1 .LBB40_3079
; %bb.3070:
	s_cmp_lt_i32 s2, 9
	s_cbranch_scc1 .LBB40_3076
; %bb.3071:
	s_cmp_gt_i32 s2, 9
	s_cbranch_scc0 .LBB40_3073
; %bb.3072:
	s_wait_xcnt 0x0
	v_cvt_f64_f32_e32 v[6:7], v4
	v_mov_b32_e32 v8, 0
	s_mov_b32 s0, 0
	s_delay_alu instid0(VALU_DEP_1)
	v_mov_b32_e32 v9, v8
	global_store_b128 v[2:3], v[6:9], off
.LBB40_3073:
	s_and_not1_b32 vcc_lo, exec_lo, s0
	s_cbranch_vccnz .LBB40_3075
; %bb.3074:
	s_wait_xcnt 0x0
	v_mov_b32_e32 v5, 0
	global_store_b64 v[2:3], v[4:5], off
.LBB40_3075:
	s_mov_b32 s0, 0
.LBB40_3076:
	s_delay_alu instid0(SALU_CYCLE_1)
	s_and_not1_b32 vcc_lo, exec_lo, s0
	s_cbranch_vccnz .LBB40_3078
; %bb.3077:
	s_wait_xcnt 0x0
	v_cvt_f16_f32_e32 v1, v4
	s_delay_alu instid0(VALU_DEP_1)
	v_and_b32_e32 v1, 0xffff, v1
	global_store_b32 v[2:3], v1, off
.LBB40_3078:
	s_mov_b32 s0, 0
.LBB40_3079:
	s_delay_alu instid0(SALU_CYCLE_1)
	s_and_not1_b32 vcc_lo, exec_lo, s0
	s_cbranch_vccnz .LBB40_3088
; %bb.3080:
	s_cmp_lt_i32 s2, 6
	s_mov_b32 s0, -1
	s_cbranch_scc1 .LBB40_3086
; %bb.3081:
	s_cmp_gt_i32 s2, 6
	s_cbranch_scc0 .LBB40_3083
; %bb.3082:
	s_wait_xcnt 0x0
	v_cvt_f64_f32_e32 v[6:7], v4
	s_mov_b32 s0, 0
	global_store_b64 v[2:3], v[6:7], off
.LBB40_3083:
	s_and_not1_b32 vcc_lo, exec_lo, s0
	s_cbranch_vccnz .LBB40_3085
; %bb.3084:
	global_store_b32 v[2:3], v4, off
.LBB40_3085:
	s_mov_b32 s0, 0
.LBB40_3086:
	s_delay_alu instid0(SALU_CYCLE_1)
	s_and_not1_b32 vcc_lo, exec_lo, s0
	s_cbranch_vccnz .LBB40_3088
; %bb.3087:
	s_wait_xcnt 0x0
	v_cvt_f16_f32_e32 v1, v4
	global_store_b16 v[2:3], v1, off
.LBB40_3088:
	s_mov_b32 s0, 0
.LBB40_3089:
	s_delay_alu instid0(SALU_CYCLE_1)
	s_and_not1_b32 vcc_lo, exec_lo, s0
	s_cbranch_vccnz .LBB40_3105
; %bb.3090:
	s_cmp_lt_i32 s2, 2
	s_mov_b32 s0, -1
	s_cbranch_scc1 .LBB40_3100
; %bb.3091:
	s_cmp_lt_i32 s2, 3
	s_cbranch_scc1 .LBB40_3097
; %bb.3092:
	s_cmp_gt_i32 s2, 3
	s_cbranch_scc0 .LBB40_3094
; %bb.3093:
	s_wait_xcnt 0x0
	v_trunc_f32_e32 v1, v4
	s_mov_b32 s0, 0
	s_delay_alu instid0(VALU_DEP_1) | instskip(SKIP_1) | instid1(VALU_DEP_2)
	v_mul_f32_e64 v5, 0x2f800000, |v1|
	v_ashrrev_i32_e32 v6, 31, v1
	v_floor_f32_e32 v5, v5
	s_delay_alu instid0(VALU_DEP_1) | instskip(SKIP_1) | instid1(VALU_DEP_2)
	v_fma_f32 v7, 0xcf800000, v5, |v1|
	v_cvt_u32_f32_e32 v1, v5
	v_cvt_u32_f32_e32 v5, v7
	s_delay_alu instid0(VALU_DEP_2) | instskip(NEXT) | instid1(VALU_DEP_2)
	v_dual_mov_b32 v7, v6 :: v_dual_bitop2_b32 v9, v1, v6 bitop3:0x14
	v_xor_b32_e32 v8, v5, v6
	s_delay_alu instid0(VALU_DEP_1)
	v_sub_nc_u64_e32 v[6:7], v[8:9], v[6:7]
	global_store_b64 v[2:3], v[6:7], off
.LBB40_3094:
	s_and_not1_b32 vcc_lo, exec_lo, s0
	s_cbranch_vccnz .LBB40_3096
; %bb.3095:
	s_wait_xcnt 0x0
	v_cvt_i32_f32_e32 v1, v4
	global_store_b32 v[2:3], v1, off
.LBB40_3096:
	s_mov_b32 s0, 0
.LBB40_3097:
	s_delay_alu instid0(SALU_CYCLE_1)
	s_and_not1_b32 vcc_lo, exec_lo, s0
	s_cbranch_vccnz .LBB40_3099
; %bb.3098:
	s_wait_xcnt 0x0
	v_cvt_i32_f32_e32 v1, v4
	global_store_b16 v[2:3], v1, off
.LBB40_3099:
	s_mov_b32 s0, 0
.LBB40_3100:
	s_delay_alu instid0(SALU_CYCLE_1)
	s_and_not1_b32 vcc_lo, exec_lo, s0
	s_cbranch_vccnz .LBB40_3105
; %bb.3101:
	s_cmp_gt_i32 s2, 0
	s_mov_b32 s0, -1
	s_cbranch_scc0 .LBB40_3103
; %bb.3102:
	s_wait_xcnt 0x0
	v_cvt_i32_f32_e32 v1, v4
	s_mov_b32 s0, 0
	global_store_b8 v[2:3], v1, off
.LBB40_3103:
	s_and_not1_b32 vcc_lo, exec_lo, s0
	s_cbranch_vccnz .LBB40_3105
; %bb.3104:
	s_wait_xcnt 0x0
	v_trunc_f32_e32 v1, v4
	s_delay_alu instid0(VALU_DEP_1) | instskip(NEXT) | instid1(VALU_DEP_1)
	v_mul_f32_e64 v4, 0x2f800000, |v1|
	v_floor_f32_e32 v4, v4
	s_delay_alu instid0(VALU_DEP_1) | instskip(SKIP_1) | instid1(VALU_DEP_2)
	v_fma_f32 v4, 0xcf800000, v4, |v1|
	v_ashrrev_i32_e32 v1, 31, v1
	v_cvt_u32_f32_e32 v4, v4
	s_delay_alu instid0(VALU_DEP_1) | instskip(NEXT) | instid1(VALU_DEP_1)
	v_xor_b32_e32 v4, v4, v1
	v_sub_nc_u32_e32 v1, v4, v1
	global_store_b8 v[2:3], v1, off
.LBB40_3105:
	s_branch .LBB40_2991
.LBB40_3106:
	s_mov_b32 s0, 0
	s_mov_b32 s3, 0
                                        ; implicit-def: $vgpr2_vgpr3
                                        ; implicit-def: $sgpr1
                                        ; implicit-def: $vgpr4
.LBB40_3107:
	s_and_not1_b32 s2, s8, exec_lo
	s_and_b32 s4, s10, exec_lo
	s_and_b32 s0, s0, exec_lo
	;; [unrolled: 1-line block ×3, first 2 shown]
	s_or_b32 s8, s2, s4
.LBB40_3108:
	s_wait_xcnt 0x0
	s_or_b32 exec_lo, exec_lo, s9
	s_and_saveexec_b32 s2, s8
	s_cbranch_execz .LBB40_3111
; %bb.3109:
	; divergent unreachable
	s_or_b32 exec_lo, exec_lo, s2
	s_and_saveexec_b32 s2, s28
	s_delay_alu instid0(SALU_CYCLE_1)
	s_xor_b32 s2, exec_lo, s2
	s_cbranch_execnz .LBB40_3112
.LBB40_3110:
	s_or_b32 exec_lo, exec_lo, s2
	s_and_saveexec_b32 s2, s0
	s_cbranch_execnz .LBB40_3113
	s_branch .LBB40_3150
.LBB40_3111:
	s_or_b32 exec_lo, exec_lo, s2
	s_and_saveexec_b32 s2, s28
	s_delay_alu instid0(SALU_CYCLE_1)
	s_xor_b32 s2, exec_lo, s2
	s_cbranch_execz .LBB40_3110
.LBB40_3112:
	v_cmp_neq_f32_e32 vcc_lo, 0, v4
	v_cndmask_b32_e64 v0, 0, 1, vcc_lo
	s_wait_loadcnt 0x0
	global_store_b8 v[2:3], v0, off
	s_wait_xcnt 0x0
	s_or_b32 exec_lo, exec_lo, s2
	s_and_saveexec_b32 s2, s0
	s_cbranch_execz .LBB40_3150
.LBB40_3113:
	s_sext_i32_i16 s2, s1
	s_mov_b32 s0, -1
	s_cmp_lt_i32 s2, 5
	s_cbranch_scc1 .LBB40_3134
; %bb.3114:
	s_cmp_lt_i32 s2, 8
	s_cbranch_scc1 .LBB40_3124
; %bb.3115:
	;; [unrolled: 3-line block ×3, first 2 shown]
	s_cmp_gt_i32 s2, 9
	s_cbranch_scc0 .LBB40_3118
; %bb.3117:
	s_wait_loadcnt 0x0
	v_cvt_f64_f32_e32 v[6:7], v4
	v_mov_b32_e32 v8, 0
	s_mov_b32 s0, 0
	s_delay_alu instid0(VALU_DEP_1)
	v_mov_b32_e32 v9, v8
	global_store_b128 v[2:3], v[6:9], off
.LBB40_3118:
	s_and_not1_b32 vcc_lo, exec_lo, s0
	s_cbranch_vccnz .LBB40_3120
; %bb.3119:
	s_wait_loadcnt 0x0
	v_mov_b32_e32 v5, 0
	global_store_b64 v[2:3], v[4:5], off
.LBB40_3120:
	s_mov_b32 s0, 0
.LBB40_3121:
	s_delay_alu instid0(SALU_CYCLE_1)
	s_and_not1_b32 vcc_lo, exec_lo, s0
	s_cbranch_vccnz .LBB40_3123
; %bb.3122:
	v_cvt_f16_f32_e32 v0, v4
	s_delay_alu instid0(VALU_DEP_1)
	v_and_b32_e32 v0, 0xffff, v0
	s_wait_loadcnt 0x0
	global_store_b32 v[2:3], v0, off
.LBB40_3123:
	s_mov_b32 s0, 0
.LBB40_3124:
	s_delay_alu instid0(SALU_CYCLE_1)
	s_and_not1_b32 vcc_lo, exec_lo, s0
	s_cbranch_vccnz .LBB40_3133
; %bb.3125:
	s_sext_i32_i16 s2, s1
	s_mov_b32 s0, -1
	s_cmp_lt_i32 s2, 6
	s_cbranch_scc1 .LBB40_3131
; %bb.3126:
	s_cmp_gt_i32 s2, 6
	s_cbranch_scc0 .LBB40_3128
; %bb.3127:
	s_wait_loadcnt 0x0
	v_cvt_f64_f32_e32 v[0:1], v4
	s_mov_b32 s0, 0
	global_store_b64 v[2:3], v[0:1], off
.LBB40_3128:
	s_and_not1_b32 vcc_lo, exec_lo, s0
	s_cbranch_vccnz .LBB40_3130
; %bb.3129:
	s_wait_loadcnt 0x0
	global_store_b32 v[2:3], v4, off
.LBB40_3130:
	s_mov_b32 s0, 0
.LBB40_3131:
	s_delay_alu instid0(SALU_CYCLE_1)
	s_and_not1_b32 vcc_lo, exec_lo, s0
	s_cbranch_vccnz .LBB40_3133
; %bb.3132:
	s_wait_xcnt 0x0
	v_cvt_f16_f32_e32 v0, v4
	s_wait_loadcnt 0x0
	global_store_b16 v[2:3], v0, off
.LBB40_3133:
	s_mov_b32 s0, 0
.LBB40_3134:
	s_delay_alu instid0(SALU_CYCLE_1)
	s_and_not1_b32 vcc_lo, exec_lo, s0
	s_cbranch_vccnz .LBB40_3150
; %bb.3135:
	s_sext_i32_i16 s2, s1
	s_mov_b32 s0, -1
	s_cmp_lt_i32 s2, 2
	s_cbranch_scc1 .LBB40_3145
; %bb.3136:
	s_cmp_lt_i32 s2, 3
	s_cbranch_scc1 .LBB40_3142
; %bb.3137:
	s_cmp_gt_i32 s2, 3
	s_cbranch_scc0 .LBB40_3139
; %bb.3138:
	s_wait_xcnt 0x0
	v_trunc_f32_e32 v0, v4
	s_mov_b32 s0, 0
	s_wait_loadcnt 0x0
	s_delay_alu instid0(VALU_DEP_1) | instskip(NEXT) | instid1(VALU_DEP_1)
	v_mul_f32_e64 v1, 0x2f800000, |v0|
	v_floor_f32_e32 v1, v1
	s_delay_alu instid0(VALU_DEP_1) | instskip(SKIP_2) | instid1(VALU_DEP_3)
	v_fma_f32 v5, 0xcf800000, v1, |v0|
	v_ashrrev_i32_e32 v0, 31, v0
	v_cvt_u32_f32_e32 v6, v1
	v_cvt_u32_f32_e32 v5, v5
	s_delay_alu instid0(VALU_DEP_2) | instskip(NEXT) | instid1(VALU_DEP_2)
	v_dual_mov_b32 v1, v0 :: v_dual_bitop2_b32 v7, v6, v0 bitop3:0x14
	v_xor_b32_e32 v6, v5, v0
	s_delay_alu instid0(VALU_DEP_1)
	v_sub_nc_u64_e32 v[0:1], v[6:7], v[0:1]
	global_store_b64 v[2:3], v[0:1], off
.LBB40_3139:
	s_and_not1_b32 vcc_lo, exec_lo, s0
	s_cbranch_vccnz .LBB40_3141
; %bb.3140:
	s_wait_xcnt 0x0
	v_cvt_i32_f32_e32 v0, v4
	s_wait_loadcnt 0x0
	global_store_b32 v[2:3], v0, off
.LBB40_3141:
	s_mov_b32 s0, 0
.LBB40_3142:
	s_delay_alu instid0(SALU_CYCLE_1)
	s_and_not1_b32 vcc_lo, exec_lo, s0
	s_cbranch_vccnz .LBB40_3144
; %bb.3143:
	s_wait_xcnt 0x0
	v_cvt_i32_f32_e32 v0, v4
	s_wait_loadcnt 0x0
	global_store_b16 v[2:3], v0, off
.LBB40_3144:
	s_mov_b32 s0, 0
.LBB40_3145:
	s_delay_alu instid0(SALU_CYCLE_1)
	s_and_not1_b32 vcc_lo, exec_lo, s0
	s_cbranch_vccnz .LBB40_3150
; %bb.3146:
	s_sext_i32_i16 s0, s1
	s_delay_alu instid0(SALU_CYCLE_1)
	s_cmp_gt_i32 s0, 0
	s_mov_b32 s0, -1
	s_cbranch_scc0 .LBB40_3148
; %bb.3147:
	s_wait_xcnt 0x0
	v_cvt_i32_f32_e32 v0, v4
	s_mov_b32 s0, 0
	s_wait_loadcnt 0x0
	global_store_b8 v[2:3], v0, off
.LBB40_3148:
	s_and_not1_b32 vcc_lo, exec_lo, s0
	s_cbranch_vccnz .LBB40_3150
; %bb.3149:
	s_wait_xcnt 0x0
	v_trunc_f32_e32 v0, v4
	s_wait_loadcnt 0x0
	s_delay_alu instid0(VALU_DEP_1) | instskip(NEXT) | instid1(VALU_DEP_1)
	v_mul_f32_e64 v1, 0x2f800000, |v0|
	v_floor_f32_e32 v1, v1
	s_delay_alu instid0(VALU_DEP_1) | instskip(SKIP_1) | instid1(VALU_DEP_2)
	v_fma_f32 v1, 0xcf800000, v1, |v0|
	v_ashrrev_i32_e32 v0, 31, v0
	v_cvt_u32_f32_e32 v1, v1
	s_delay_alu instid0(VALU_DEP_1) | instskip(NEXT) | instid1(VALU_DEP_1)
	v_xor_b32_e32 v1, v1, v0
	v_sub_nc_u32_e32 v0, v1, v0
	global_store_b8 v[2:3], v0, off
	s_endpgm
.LBB40_3150:
	s_endpgm
.LBB40_3151:
	s_or_b32 s10, s10, exec_lo
	s_trap 2
	s_cbranch_execz .LBB40_2624
	s_branch .LBB40_2625
.LBB40_3152:
	s_and_not1_saveexec_b32 s11, s11
	s_cbranch_execz .LBB40_2704
.LBB40_3153:
	v_add_f32_e64 v1, 0x46000000, |v8|
	s_and_not1_b32 s7, s7, exec_lo
	s_delay_alu instid0(VALU_DEP_1) | instskip(NEXT) | instid1(VALU_DEP_1)
	v_and_b32_e32 v1, 0xff, v1
	v_cmp_ne_u32_e32 vcc_lo, 0, v1
	s_and_b32 s12, vcc_lo, exec_lo
	s_delay_alu instid0(SALU_CYCLE_1)
	s_or_b32 s7, s7, s12
	s_or_b32 exec_lo, exec_lo, s11
	v_mov_b32_e32 v5, 0
	s_and_saveexec_b32 s11, s7
	s_cbranch_execnz .LBB40_2705
	s_branch .LBB40_2706
.LBB40_3154:
	s_or_b32 s10, s10, exec_lo
	s_trap 2
	s_cbranch_execz .LBB40_2752
	s_branch .LBB40_2753
.LBB40_3155:
	s_and_not1_saveexec_b32 s7, s7
	s_cbranch_execz .LBB40_2717
.LBB40_3156:
	v_add_f32_e64 v1, 0x42800000, |v8|
	s_and_not1_b32 s6, s6, exec_lo
	s_delay_alu instid0(VALU_DEP_1) | instskip(NEXT) | instid1(VALU_DEP_1)
	v_and_b32_e32 v1, 0xff, v1
	v_cmp_ne_u32_e32 vcc_lo, 0, v1
	s_and_b32 s11, vcc_lo, exec_lo
	s_delay_alu instid0(SALU_CYCLE_1)
	s_or_b32 s6, s6, s11
	s_or_b32 exec_lo, exec_lo, s7
	v_mov_b32_e32 v5, 0
	s_and_saveexec_b32 s7, s6
	s_cbranch_execnz .LBB40_2718
	s_branch .LBB40_2719
.LBB40_3157:
	s_and_not1_saveexec_b32 s11, s11
	s_cbranch_execz .LBB40_2822
.LBB40_3158:
	v_add_f32_e64 v1, 0x46000000, |v6|
	s_and_not1_b32 s7, s7, exec_lo
	s_delay_alu instid0(VALU_DEP_1) | instskip(NEXT) | instid1(VALU_DEP_1)
	v_and_b32_e32 v1, 0xff, v1
	v_cmp_ne_u32_e32 vcc_lo, 0, v1
	s_and_b32 s12, vcc_lo, exec_lo
	s_delay_alu instid0(SALU_CYCLE_1)
	s_or_b32 s7, s7, s12
	s_or_b32 exec_lo, exec_lo, s11
	v_mov_b32_e32 v3, 0
	s_and_saveexec_b32 s11, s7
	s_cbranch_execnz .LBB40_2823
	s_branch .LBB40_2824
.LBB40_3159:
	s_or_b32 s10, s10, exec_lo
	s_trap 2
	s_cbranch_execz .LBB40_2870
	s_branch .LBB40_2871
.LBB40_3160:
	s_and_not1_saveexec_b32 s7, s7
	s_cbranch_execz .LBB40_2835
.LBB40_3161:
	v_add_f32_e64 v1, 0x42800000, |v6|
	s_and_not1_b32 s6, s6, exec_lo
	s_delay_alu instid0(VALU_DEP_1) | instskip(NEXT) | instid1(VALU_DEP_1)
	v_and_b32_e32 v1, 0xff, v1
	v_cmp_ne_u32_e32 vcc_lo, 0, v1
	s_and_b32 s11, vcc_lo, exec_lo
	s_delay_alu instid0(SALU_CYCLE_1)
	s_or_b32 s6, s6, s11
	s_or_b32 exec_lo, exec_lo, s7
	v_mov_b32_e32 v3, 0
	s_and_saveexec_b32 s7, s6
	s_cbranch_execnz .LBB40_2836
	s_branch .LBB40_2837
.LBB40_3162:
	s_and_not1_saveexec_b32 s11, s11
	s_cbranch_execz .LBB40_2940
.LBB40_3163:
	v_add_f32_e64 v1, 0x46000000, |v4|
	s_and_not1_b32 s7, s7, exec_lo
	s_delay_alu instid0(VALU_DEP_1) | instskip(NEXT) | instid1(VALU_DEP_1)
	v_and_b32_e32 v1, 0xff, v1
	v_cmp_ne_u32_e32 vcc_lo, 0, v1
	s_and_b32 s12, vcc_lo, exec_lo
	s_delay_alu instid0(SALU_CYCLE_1)
	s_or_b32 s7, s7, s12
	s_or_b32 exec_lo, exec_lo, s11
	v_mov_b32_e32 v5, 0
	s_and_saveexec_b32 s11, s7
	s_cbranch_execnz .LBB40_2941
	s_branch .LBB40_2942
.LBB40_3164:
	s_or_b32 s10, s10, exec_lo
	s_trap 2
	s_cbranch_execz .LBB40_2988
	s_branch .LBB40_2989
.LBB40_3165:
	s_and_not1_saveexec_b32 s7, s7
	s_cbranch_execz .LBB40_2953
.LBB40_3166:
	v_add_f32_e64 v1, 0x42800000, |v4|
	s_and_not1_b32 s6, s6, exec_lo
	s_delay_alu instid0(VALU_DEP_1) | instskip(NEXT) | instid1(VALU_DEP_1)
	v_and_b32_e32 v1, 0xff, v1
	v_cmp_ne_u32_e32 vcc_lo, 0, v1
	s_and_b32 s11, vcc_lo, exec_lo
	s_delay_alu instid0(SALU_CYCLE_1)
	s_or_b32 s6, s6, s11
	s_or_b32 exec_lo, exec_lo, s7
	v_mov_b32_e32 v5, 0
	s_and_saveexec_b32 s7, s6
	s_cbranch_execnz .LBB40_2954
	s_branch .LBB40_2955
.LBB40_3167:
	s_and_not1_saveexec_b32 s6, s6
	s_cbranch_execz .LBB40_3020
.LBB40_3168:
	v_add_f32_e64 v0, 0x46000000, |v4|
	s_and_not1_b32 s5, s5, exec_lo
	s_delay_alu instid0(VALU_DEP_1) | instskip(NEXT) | instid1(VALU_DEP_1)
	v_and_b32_e32 v0, 0xff, v0
	v_cmp_ne_u32_e32 vcc_lo, 0, v0
	s_and_b32 s7, vcc_lo, exec_lo
	s_delay_alu instid0(SALU_CYCLE_1)
	s_or_b32 s5, s5, s7
	s_or_b32 exec_lo, exec_lo, s6
	v_mov_b32_e32 v1, 0
	s_and_saveexec_b32 s6, s5
	s_cbranch_execnz .LBB40_3021
	s_branch .LBB40_3022
.LBB40_3169:
	s_mov_b32 s3, 0
	s_or_b32 s10, s10, exec_lo
	s_trap 2
	s_branch .LBB40_3066
.LBB40_3170:
	s_and_not1_saveexec_b32 s5, s5
	s_cbranch_execz .LBB40_3032
.LBB40_3171:
	v_add_f32_e64 v0, 0x42800000, |v4|
	s_and_not1_b32 s4, s4, exec_lo
	s_delay_alu instid0(VALU_DEP_1) | instskip(NEXT) | instid1(VALU_DEP_1)
	v_and_b32_e32 v0, 0xff, v0
	v_cmp_ne_u32_e32 vcc_lo, 0, v0
	s_and_b32 s6, vcc_lo, exec_lo
	s_delay_alu instid0(SALU_CYCLE_1)
	s_or_b32 s4, s4, s6
	s_or_b32 exec_lo, exec_lo, s5
	v_mov_b32_e32 v1, 0
	s_and_saveexec_b32 s5, s4
	s_cbranch_execnz .LBB40_3033
	s_branch .LBB40_3034
	.section	.rodata,"a",@progbits
	.p2align	6, 0x0
	.amdhsa_kernel _ZN2at6native32elementwise_kernel_manual_unrollILi128ELi4EZNS0_15gpu_kernel_implIZZZNS0_12prelu_kernelERNS_14TensorIteratorEENKUlvE_clEvENKUlvE0_clEvEUlffE_EEvRNS_18TensorIteratorBaseERKT_EUlibE0_EEviT1_
		.amdhsa_group_segment_fixed_size 0
		.amdhsa_private_segment_fixed_size 0
		.amdhsa_kernarg_size 432
		.amdhsa_user_sgpr_count 2
		.amdhsa_user_sgpr_dispatch_ptr 0
		.amdhsa_user_sgpr_queue_ptr 0
		.amdhsa_user_sgpr_kernarg_segment_ptr 1
		.amdhsa_user_sgpr_dispatch_id 0
		.amdhsa_user_sgpr_kernarg_preload_length 0
		.amdhsa_user_sgpr_kernarg_preload_offset 0
		.amdhsa_user_sgpr_private_segment_size 0
		.amdhsa_wavefront_size32 1
		.amdhsa_uses_dynamic_stack 0
		.amdhsa_enable_private_segment 0
		.amdhsa_system_sgpr_workgroup_id_x 1
		.amdhsa_system_sgpr_workgroup_id_y 0
		.amdhsa_system_sgpr_workgroup_id_z 0
		.amdhsa_system_sgpr_workgroup_info 0
		.amdhsa_system_vgpr_workitem_id 0
		.amdhsa_next_free_vgpr 26
		.amdhsa_next_free_sgpr 60
		.amdhsa_named_barrier_count 0
		.amdhsa_reserve_vcc 1
		.amdhsa_float_round_mode_32 0
		.amdhsa_float_round_mode_16_64 0
		.amdhsa_float_denorm_mode_32 3
		.amdhsa_float_denorm_mode_16_64 3
		.amdhsa_fp16_overflow 0
		.amdhsa_memory_ordered 1
		.amdhsa_forward_progress 1
		.amdhsa_inst_pref_size 255
		.amdhsa_round_robin_scheduling 0
		.amdhsa_exception_fp_ieee_invalid_op 0
		.amdhsa_exception_fp_denorm_src 0
		.amdhsa_exception_fp_ieee_div_zero 0
		.amdhsa_exception_fp_ieee_overflow 0
		.amdhsa_exception_fp_ieee_underflow 0
		.amdhsa_exception_fp_ieee_inexact 0
		.amdhsa_exception_int_div_zero 0
	.end_amdhsa_kernel
	.section	.text._ZN2at6native32elementwise_kernel_manual_unrollILi128ELi4EZNS0_15gpu_kernel_implIZZZNS0_12prelu_kernelERNS_14TensorIteratorEENKUlvE_clEvENKUlvE0_clEvEUlffE_EEvRNS_18TensorIteratorBaseERKT_EUlibE0_EEviT1_,"axG",@progbits,_ZN2at6native32elementwise_kernel_manual_unrollILi128ELi4EZNS0_15gpu_kernel_implIZZZNS0_12prelu_kernelERNS_14TensorIteratorEENKUlvE_clEvENKUlvE0_clEvEUlffE_EEvRNS_18TensorIteratorBaseERKT_EUlibE0_EEviT1_,comdat
.Lfunc_end40:
	.size	_ZN2at6native32elementwise_kernel_manual_unrollILi128ELi4EZNS0_15gpu_kernel_implIZZZNS0_12prelu_kernelERNS_14TensorIteratorEENKUlvE_clEvENKUlvE0_clEvEUlffE_EEvRNS_18TensorIteratorBaseERKT_EUlibE0_EEviT1_, .Lfunc_end40-_ZN2at6native32elementwise_kernel_manual_unrollILi128ELi4EZNS0_15gpu_kernel_implIZZZNS0_12prelu_kernelERNS_14TensorIteratorEENKUlvE_clEvENKUlvE0_clEvEUlffE_EEvRNS_18TensorIteratorBaseERKT_EUlibE0_EEviT1_
                                        ; -- End function
	.set _ZN2at6native32elementwise_kernel_manual_unrollILi128ELi4EZNS0_15gpu_kernel_implIZZZNS0_12prelu_kernelERNS_14TensorIteratorEENKUlvE_clEvENKUlvE0_clEvEUlffE_EEvRNS_18TensorIteratorBaseERKT_EUlibE0_EEviT1_.num_vgpr, 26
	.set _ZN2at6native32elementwise_kernel_manual_unrollILi128ELi4EZNS0_15gpu_kernel_implIZZZNS0_12prelu_kernelERNS_14TensorIteratorEENKUlvE_clEvENKUlvE0_clEvEUlffE_EEvRNS_18TensorIteratorBaseERKT_EUlibE0_EEviT1_.num_agpr, 0
	.set _ZN2at6native32elementwise_kernel_manual_unrollILi128ELi4EZNS0_15gpu_kernel_implIZZZNS0_12prelu_kernelERNS_14TensorIteratorEENKUlvE_clEvENKUlvE0_clEvEUlffE_EEvRNS_18TensorIteratorBaseERKT_EUlibE0_EEviT1_.numbered_sgpr, 60
	.set _ZN2at6native32elementwise_kernel_manual_unrollILi128ELi4EZNS0_15gpu_kernel_implIZZZNS0_12prelu_kernelERNS_14TensorIteratorEENKUlvE_clEvENKUlvE0_clEvEUlffE_EEvRNS_18TensorIteratorBaseERKT_EUlibE0_EEviT1_.num_named_barrier, 0
	.set _ZN2at6native32elementwise_kernel_manual_unrollILi128ELi4EZNS0_15gpu_kernel_implIZZZNS0_12prelu_kernelERNS_14TensorIteratorEENKUlvE_clEvENKUlvE0_clEvEUlffE_EEvRNS_18TensorIteratorBaseERKT_EUlibE0_EEviT1_.private_seg_size, 0
	.set _ZN2at6native32elementwise_kernel_manual_unrollILi128ELi4EZNS0_15gpu_kernel_implIZZZNS0_12prelu_kernelERNS_14TensorIteratorEENKUlvE_clEvENKUlvE0_clEvEUlffE_EEvRNS_18TensorIteratorBaseERKT_EUlibE0_EEviT1_.uses_vcc, 1
	.set _ZN2at6native32elementwise_kernel_manual_unrollILi128ELi4EZNS0_15gpu_kernel_implIZZZNS0_12prelu_kernelERNS_14TensorIteratorEENKUlvE_clEvENKUlvE0_clEvEUlffE_EEvRNS_18TensorIteratorBaseERKT_EUlibE0_EEviT1_.uses_flat_scratch, 0
	.set _ZN2at6native32elementwise_kernel_manual_unrollILi128ELi4EZNS0_15gpu_kernel_implIZZZNS0_12prelu_kernelERNS_14TensorIteratorEENKUlvE_clEvENKUlvE0_clEvEUlffE_EEvRNS_18TensorIteratorBaseERKT_EUlibE0_EEviT1_.has_dyn_sized_stack, 0
	.set _ZN2at6native32elementwise_kernel_manual_unrollILi128ELi4EZNS0_15gpu_kernel_implIZZZNS0_12prelu_kernelERNS_14TensorIteratorEENKUlvE_clEvENKUlvE0_clEvEUlffE_EEvRNS_18TensorIteratorBaseERKT_EUlibE0_EEviT1_.has_recursion, 0
	.set _ZN2at6native32elementwise_kernel_manual_unrollILi128ELi4EZNS0_15gpu_kernel_implIZZZNS0_12prelu_kernelERNS_14TensorIteratorEENKUlvE_clEvENKUlvE0_clEvEUlffE_EEvRNS_18TensorIteratorBaseERKT_EUlibE0_EEviT1_.has_indirect_call, 0
	.section	.AMDGPU.csdata,"",@progbits
; Kernel info:
; codeLenInByte = 60484
; TotalNumSgprs: 62
; NumVgprs: 26
; ScratchSize: 0
; MemoryBound: 1
; FloatMode: 240
; IeeeMode: 1
; LDSByteSize: 0 bytes/workgroup (compile time only)
; SGPRBlocks: 0
; VGPRBlocks: 1
; NumSGPRsForWavesPerEU: 62
; NumVGPRsForWavesPerEU: 26
; NamedBarCnt: 0
; Occupancy: 16
; WaveLimiterHint : 1
; COMPUTE_PGM_RSRC2:SCRATCH_EN: 0
; COMPUTE_PGM_RSRC2:USER_SGPR: 2
; COMPUTE_PGM_RSRC2:TRAP_HANDLER: 0
; COMPUTE_PGM_RSRC2:TGID_X_EN: 1
; COMPUTE_PGM_RSRC2:TGID_Y_EN: 0
; COMPUTE_PGM_RSRC2:TGID_Z_EN: 0
; COMPUTE_PGM_RSRC2:TIDIG_COMP_CNT: 0
	.section	.text._ZN2at6native29vectorized_elementwise_kernelILi16EZZZNS0_12prelu_kernelERNS_14TensorIteratorEENKUlvE_clEvENKUlvE1_clEvEUlN3c108BFloat16ES7_E_St5arrayIPcLm3EEEEviT0_T1_,"axG",@progbits,_ZN2at6native29vectorized_elementwise_kernelILi16EZZZNS0_12prelu_kernelERNS_14TensorIteratorEENKUlvE_clEvENKUlvE1_clEvEUlN3c108BFloat16ES7_E_St5arrayIPcLm3EEEEviT0_T1_,comdat
	.globl	_ZN2at6native29vectorized_elementwise_kernelILi16EZZZNS0_12prelu_kernelERNS_14TensorIteratorEENKUlvE_clEvENKUlvE1_clEvEUlN3c108BFloat16ES7_E_St5arrayIPcLm3EEEEviT0_T1_ ; -- Begin function _ZN2at6native29vectorized_elementwise_kernelILi16EZZZNS0_12prelu_kernelERNS_14TensorIteratorEENKUlvE_clEvENKUlvE1_clEvEUlN3c108BFloat16ES7_E_St5arrayIPcLm3EEEEviT0_T1_
	.p2align	8
	.type	_ZN2at6native29vectorized_elementwise_kernelILi16EZZZNS0_12prelu_kernelERNS_14TensorIteratorEENKUlvE_clEvENKUlvE1_clEvEUlN3c108BFloat16ES7_E_St5arrayIPcLm3EEEEviT0_T1_,@function
_ZN2at6native29vectorized_elementwise_kernelILi16EZZZNS0_12prelu_kernelERNS_14TensorIteratorEENKUlvE_clEvENKUlvE1_clEvEUlN3c108BFloat16ES7_E_St5arrayIPcLm3EEEEviT0_T1_: ; @_ZN2at6native29vectorized_elementwise_kernelILi16EZZZNS0_12prelu_kernelERNS_14TensorIteratorEENKUlvE_clEvENKUlvE1_clEvEUlN3c108BFloat16ES7_E_St5arrayIPcLm3EEEEviT0_T1_
; %bb.0:
	s_clause 0x2
	s_load_b32 s3, s[0:1], 0x0
	s_load_b128 s[4:7], s[0:1], 0x8
	s_load_b64 s[8:9], s[0:1], 0x18
	s_wait_xcnt 0x0
	s_bfe_u32 s0, ttmp6, 0x4000c
	s_and_b32 s1, ttmp6, 15
	s_add_co_i32 s0, s0, 1
	s_getreg_b32 s2, hwreg(HW_REG_IB_STS2, 6, 4)
	s_mul_i32 s0, ttmp9, s0
	s_delay_alu instid0(SALU_CYCLE_1) | instskip(SKIP_2) | instid1(SALU_CYCLE_1)
	s_add_co_i32 s1, s1, s0
	s_cmp_eq_u32 s2, 0
	s_cselect_b32 s0, ttmp9, s1
	s_lshl_b32 s2, s0, 11
	s_wait_kmcnt 0x0
	s_sub_co_i32 s12, s3, s2
	s_mov_b32 s3, -1
	s_cmp_gt_i32 s12, 0x7ff
	s_cbranch_scc0 .LBB41_18
; %bb.1:
	s_ashr_i32 s3, s2, 31
	s_delay_alu instid0(SALU_CYCLE_1)
	s_lshl_b64 s[0:1], s[2:3], 1
	s_mov_b32 s3, exec_lo
	s_add_nc_u64 s[10:11], s[6:7], s[0:1]
	global_load_b128 v[2:5], v0, s[10:11] scale_offset
	v_lshlrev_b32_e32 v8, 4, v0
	s_wait_xcnt 0x0
	s_add_nc_u64 s[10:11], s[8:9], s[0:1]
	s_wait_loadcnt 0x0
	v_dual_mov_b32 v9, 0 :: v_dual_mov_b32 v10, v2
	v_lshlrev_b32_e32 v12, 16, v2
	s_clause 0x2
	global_load_b32 v11, v8, s[10:11] offset:10
	global_load_u16 v1, v8, s[10:11] offset:14
	global_load_b64 v[6:7], v8, s[10:11] offset:2
	s_wait_xcnt 0x0
	v_cmpx_nlt_f32_e32 0, v12
	s_cbranch_execz .LBB41_3
; %bb.2:
	v_add_nc_u64_e32 v[8:9], s[10:11], v[8:9]
	global_load_u16 v8, v[8:9], off
	s_wait_loadcnt 0x0
	v_lshlrev_b32_e32 v8, 16, v8
	s_delay_alu instid0(VALU_DEP_1) | instskip(NEXT) | instid1(VALU_DEP_1)
	v_mul_f32_e32 v8, v12, v8
	v_bfe_u32 v9, v8, 16, 1
	v_cmp_o_f32_e32 vcc_lo, v8, v8
	s_delay_alu instid0(VALU_DEP_2) | instskip(NEXT) | instid1(VALU_DEP_1)
	v_add3_u32 v9, v8, v9, 0x7fff
	v_lshrrev_b32_e32 v9, 16, v9
	s_delay_alu instid0(VALU_DEP_1)
	v_cndmask_b32_e32 v10, 0x7fc0, v9, vcc_lo
.LBB41_3:
	s_or_b32 exec_lo, exec_lo, s3
	v_and_b32_e32 v8, 0xffff0000, v2
	v_lshrrev_b32_e32 v2, 16, v2
	s_mov_b32 s3, exec_lo
	s_delay_alu instid0(VALU_DEP_2)
	v_cmpx_nlt_f32_e32 0, v8
	s_cbranch_execz .LBB41_5
; %bb.4:
	s_wait_loadcnt 0x0
	v_lshlrev_b32_e32 v2, 16, v6
	s_delay_alu instid0(VALU_DEP_1) | instskip(NEXT) | instid1(VALU_DEP_1)
	v_mul_f32_e32 v2, v8, v2
	v_bfe_u32 v8, v2, 16, 1
	v_cmp_o_f32_e32 vcc_lo, v2, v2
	s_delay_alu instid0(VALU_DEP_2) | instskip(NEXT) | instid1(VALU_DEP_1)
	v_add3_u32 v8, v2, v8, 0x7fff
	v_lshrrev_b32_e32 v8, 16, v8
	s_delay_alu instid0(VALU_DEP_1)
	v_cndmask_b32_e32 v2, 0x7fc0, v8, vcc_lo
.LBB41_5:
	s_or_b32 exec_lo, exec_lo, s3
	v_dual_mov_b32 v8, v3 :: v_dual_lshlrev_b32 v9, 16, v3
	s_mov_b32 s3, exec_lo
	s_delay_alu instid0(VALU_DEP_1)
	v_cmpx_nlt_f32_e32 0, v9
	s_cbranch_execz .LBB41_7
; %bb.6:
	s_wait_loadcnt 0x0
	v_and_b32_e32 v6, 0xffff0000, v6
	s_delay_alu instid0(VALU_DEP_1) | instskip(NEXT) | instid1(VALU_DEP_1)
	v_mul_f32_e32 v6, v9, v6
	v_bfe_u32 v8, v6, 16, 1
	s_delay_alu instid0(VALU_DEP_1) | instskip(NEXT) | instid1(VALU_DEP_1)
	v_add3_u32 v8, v6, v8, 0x7fff
	v_lshrrev_b32_e32 v8, 16, v8
	v_cmp_o_f32_e32 vcc_lo, v6, v6
	s_delay_alu instid0(VALU_DEP_2)
	v_cndmask_b32_e32 v8, 0x7fc0, v8, vcc_lo
.LBB41_7:
	s_or_b32 exec_lo, exec_lo, s3
	s_wait_loadcnt 0x0
	v_and_b32_e32 v6, 0xffff0000, v3
	v_lshrrev_b32_e32 v3, 16, v3
	s_mov_b32 s3, exec_lo
	s_delay_alu instid0(VALU_DEP_2)
	v_cmpx_nlt_f32_e32 0, v6
	s_cbranch_execz .LBB41_9
; %bb.8:
	v_lshlrev_b32_e32 v3, 16, v7
	s_delay_alu instid0(VALU_DEP_1) | instskip(NEXT) | instid1(VALU_DEP_1)
	v_mul_f32_e32 v3, v6, v3
	v_bfe_u32 v6, v3, 16, 1
	v_cmp_o_f32_e32 vcc_lo, v3, v3
	s_delay_alu instid0(VALU_DEP_2) | instskip(NEXT) | instid1(VALU_DEP_1)
	v_add3_u32 v6, v3, v6, 0x7fff
	v_lshrrev_b32_e32 v6, 16, v6
	s_delay_alu instid0(VALU_DEP_1)
	v_cndmask_b32_e32 v3, 0x7fc0, v6, vcc_lo
.LBB41_9:
	s_or_b32 exec_lo, exec_lo, s3
	v_dual_mov_b32 v6, v4 :: v_dual_lshlrev_b32 v9, 16, v4
	s_mov_b32 s3, exec_lo
	s_delay_alu instid0(VALU_DEP_1)
	v_cmpx_nlt_f32_e32 0, v9
	s_cbranch_execz .LBB41_11
; %bb.10:
	v_and_b32_e32 v6, 0xffff0000, v7
	s_delay_alu instid0(VALU_DEP_1) | instskip(NEXT) | instid1(VALU_DEP_1)
	v_mul_f32_e32 v6, v9, v6
	v_bfe_u32 v7, v6, 16, 1
	s_delay_alu instid0(VALU_DEP_1) | instskip(NEXT) | instid1(VALU_DEP_1)
	v_add3_u32 v7, v6, v7, 0x7fff
	v_lshrrev_b32_e32 v7, 16, v7
	v_cmp_o_f32_e32 vcc_lo, v6, v6
	s_delay_alu instid0(VALU_DEP_2)
	v_cndmask_b32_e32 v6, 0x7fc0, v7, vcc_lo
.LBB41_11:
	s_or_b32 exec_lo, exec_lo, s3
	v_and_b32_e32 v7, 0xffff0000, v4
	v_lshrrev_b32_e32 v4, 16, v4
	s_mov_b32 s3, exec_lo
	s_delay_alu instid0(VALU_DEP_2)
	v_cmpx_nlt_f32_e32 0, v7
	s_cbranch_execz .LBB41_13
; %bb.12:
	v_lshlrev_b32_e32 v4, 16, v11
	s_delay_alu instid0(VALU_DEP_1) | instskip(NEXT) | instid1(VALU_DEP_1)
	v_mul_f32_e32 v4, v7, v4
	v_bfe_u32 v7, v4, 16, 1
	s_delay_alu instid0(VALU_DEP_1) | instskip(NEXT) | instid1(VALU_DEP_1)
	v_add3_u32 v7, v4, v7, 0x7fff
	v_lshrrev_b32_e32 v7, 16, v7
	v_cmp_o_f32_e32 vcc_lo, v4, v4
	s_delay_alu instid0(VALU_DEP_2)
	v_cndmask_b32_e32 v4, 0x7fc0, v7, vcc_lo
.LBB41_13:
	s_or_b32 exec_lo, exec_lo, s3
	v_dual_lshlrev_b32 v9, 16, v5 :: v_dual_mov_b32 v7, v5
	s_mov_b32 s3, exec_lo
	s_delay_alu instid0(VALU_DEP_1)
	v_cmpx_nlt_f32_e32 0, v9
	s_cbranch_execz .LBB41_15
; %bb.14:
	v_and_b32_e32 v7, 0xffff0000, v11
	s_delay_alu instid0(VALU_DEP_1) | instskip(NEXT) | instid1(VALU_DEP_1)
	v_mul_f32_e32 v7, v9, v7
	v_bfe_u32 v9, v7, 16, 1
	s_delay_alu instid0(VALU_DEP_1) | instskip(NEXT) | instid1(VALU_DEP_1)
	v_add3_u32 v9, v7, v9, 0x7fff
	v_lshrrev_b32_e32 v9, 16, v9
	v_cmp_o_f32_e32 vcc_lo, v7, v7
	s_delay_alu instid0(VALU_DEP_2)
	v_cndmask_b32_e32 v7, 0x7fc0, v9, vcc_lo
.LBB41_15:
	s_or_b32 exec_lo, exec_lo, s3
	v_and_b32_e32 v9, 0xffff0000, v5
	v_lshrrev_b32_e32 v5, 16, v5
	s_mov_b32 s3, 0
	s_mov_b32 s10, exec_lo
	s_delay_alu instid0(VALU_DEP_2)
	v_cmpx_nlt_f32_e32 0, v9
	s_cbranch_execz .LBB41_17
; %bb.16:
	v_lshlrev_b32_e32 v1, 16, v1
	s_delay_alu instid0(VALU_DEP_1) | instskip(NEXT) | instid1(VALU_DEP_1)
	v_mul_f32_e32 v1, v9, v1
	v_bfe_u32 v5, v1, 16, 1
	v_cmp_o_f32_e32 vcc_lo, v1, v1
	s_delay_alu instid0(VALU_DEP_2) | instskip(NEXT) | instid1(VALU_DEP_1)
	v_add3_u32 v5, v1, v5, 0x7fff
	v_lshrrev_b32_e32 v5, 16, v5
	s_delay_alu instid0(VALU_DEP_1)
	v_cndmask_b32_e32 v5, 0x7fc0, v5, vcc_lo
.LBB41_17:
	s_or_b32 exec_lo, exec_lo, s10
	s_delay_alu instid0(VALU_DEP_1)
	v_perm_b32 v5, v5, v7, 0x5040100
	v_perm_b32 v4, v4, v6, 0x5040100
	;; [unrolled: 1-line block ×4, first 2 shown]
	s_add_nc_u64 s[0:1], s[4:5], s[0:1]
	global_store_b128 v0, v[2:5], s[0:1] scale_offset
.LBB41_18:
	s_and_b32 vcc_lo, exec_lo, s3
	s_cbranch_vccz .LBB41_73
; %bb.19:
	v_cmp_gt_i32_e32 vcc_lo, s12, v0
	v_dual_mov_b32 v17, 0 :: v_dual_mov_b32 v1, 0
	s_wait_xcnt 0x0
	v_dual_mov_b32 v4, 0 :: v_dual_bitop2_b32 v2, s2, v0 bitop3:0x54
	v_or_b32_e32 v3, 0x100, v0
	v_mov_b32_e32 v19, v0
	s_and_saveexec_b32 s0, vcc_lo
	s_cbranch_execz .LBB41_21
; %bb.20:
	s_clause 0x1
	global_load_u16 v5, v2, s[8:9] scale_offset
	global_load_u16 v4, v2, s[6:7] scale_offset
	v_or_b32_e32 v19, 0x100, v0
	s_wait_loadcnt 0x1
	v_lshlrev_b32_e32 v17, 16, v5
.LBB41_21:
	s_wait_xcnt 0x0
	s_or_b32 exec_lo, exec_lo, s0
	v_mov_b32_e32 v18, 0
	s_mov_b32 s1, exec_lo
	v_cmpx_gt_i32_e64 s12, v19
	s_cbranch_execz .LBB41_23
; %bb.22:
	v_add_nc_u32_e32 v5, s2, v19
	v_add_nc_u32_e32 v19, 0x100, v19
	s_clause 0x1
	global_load_u16 v6, v5, s[8:9] scale_offset
	global_load_u16 v1, v5, s[6:7] scale_offset
	s_wait_loadcnt 0x1
	v_lshlrev_b32_e32 v18, 16, v6
.LBB41_23:
	s_wait_xcnt 0x0
	s_or_b32 exec_lo, exec_lo, s1
	v_dual_mov_b32 v16, 0 :: v_dual_mov_b32 v5, 0
	v_mov_b32_e32 v6, 0
	s_mov_b32 s1, exec_lo
	v_cmpx_gt_i32_e64 s12, v19
	s_cbranch_execz .LBB41_25
; %bb.24:
	v_add_nc_u32_e32 v7, s2, v19
	v_add_nc_u32_e32 v19, 0x100, v19
	s_clause 0x1
	global_load_u16 v8, v7, s[8:9] scale_offset
	global_load_u16 v6, v7, s[6:7] scale_offset
	s_wait_loadcnt 0x1
	v_lshlrev_b32_e32 v16, 16, v8
.LBB41_25:
	s_wait_xcnt 0x0
	s_or_b32 exec_lo, exec_lo, s1
	v_mov_b32_e32 v15, 0
	s_mov_b32 s1, exec_lo
	v_cmpx_gt_i32_e64 s12, v19
	s_cbranch_execz .LBB41_27
; %bb.26:
	v_add_nc_u32_e32 v7, s2, v19
	v_add_nc_u32_e32 v19, 0x100, v19
	s_clause 0x1
	global_load_u16 v8, v7, s[8:9] scale_offset
	global_load_u16 v5, v7, s[6:7] scale_offset
	s_wait_loadcnt 0x1
	v_lshlrev_b32_e32 v15, 16, v8
.LBB41_27:
	s_wait_xcnt 0x0
	s_or_b32 exec_lo, exec_lo, s1
	v_dual_mov_b32 v14, 0 :: v_dual_mov_b32 v7, 0
	v_mov_b32_e32 v8, 0
	s_mov_b32 s1, exec_lo
	v_cmpx_gt_i32_e64 s12, v19
	s_cbranch_execz .LBB41_29
; %bb.28:
	v_add_nc_u32_e32 v9, s2, v19
	v_add_nc_u32_e32 v19, 0x100, v19
	s_clause 0x1
	global_load_u16 v10, v9, s[8:9] scale_offset
	global_load_u16 v8, v9, s[6:7] scale_offset
	s_wait_loadcnt 0x1
	v_lshlrev_b32_e32 v14, 16, v10
.LBB41_29:
	;; [unrolled: 31-line block ×3, first 2 shown]
	s_wait_xcnt 0x0
	s_or_b32 exec_lo, exec_lo, s1
	v_mov_b32_e32 v11, 0
	s_mov_b32 s1, exec_lo
	v_cmpx_gt_i32_e64 s12, v19
	s_cbranch_execnz .LBB41_36
; %bb.34:
	s_or_b32 exec_lo, exec_lo, s1
	s_and_saveexec_b32 s1, vcc_lo
	s_cbranch_execnz .LBB41_37
.LBB41_35:
	s_or_b32 exec_lo, exec_lo, s1
	s_delay_alu instid0(SALU_CYCLE_1)
	s_mov_b32 s1, exec_lo
	v_cmpx_gt_i32_e64 s12, v3
	s_cbranch_execnz .LBB41_40
	s_branch .LBB41_43
.LBB41_36:
	v_add_nc_u32_e32 v11, s2, v19
	s_clause 0x1
	global_load_u16 v19, v11, s[8:9] scale_offset
	global_load_u16 v9, v11, s[6:7] scale_offset
	s_wait_loadcnt 0x1
	s_wait_xcnt 0x0
	v_lshlrev_b32_e32 v11, 16, v19
	s_or_b32 exec_lo, exec_lo, s1
	s_and_saveexec_b32 s1, vcc_lo
	s_cbranch_execz .LBB41_35
.LBB41_37:
	s_wait_loadcnt 0x0
	v_lshlrev_b32_e32 v19, 16, v4
	s_mov_b32 s3, exec_lo
	s_delay_alu instid0(VALU_DEP_1)
	v_cmpx_nlt_f32_e32 0, v19
; %bb.38:
	v_mul_f32_e32 v4, v17, v19
	s_delay_alu instid0(VALU_DEP_1) | instskip(NEXT) | instid1(VALU_DEP_1)
	v_bfe_u32 v17, v4, 16, 1
	v_add3_u32 v17, v4, v17, 0x7fff
	s_delay_alu instid0(VALU_DEP_1) | instskip(SKIP_1) | instid1(VALU_DEP_1)
	v_lshrrev_b32_e32 v17, 16, v17
	v_cmp_o_f32_e64 s0, v4, v4
	v_cndmask_b32_e64 v4, 0x7fc0, v17, s0
; %bb.39:
	s_or_b32 exec_lo, exec_lo, s3
	s_delay_alu instid0(SALU_CYCLE_1) | instskip(NEXT) | instid1(SALU_CYCLE_1)
	s_or_b32 exec_lo, exec_lo, s1
	s_mov_b32 s1, exec_lo
	v_cmpx_gt_i32_e64 s12, v3
	s_cbranch_execz .LBB41_43
.LBB41_40:
	s_wait_loadcnt 0x0
	v_lshlrev_b32_e32 v17, 16, v1
	s_mov_b32 s3, exec_lo
	s_delay_alu instid0(VALU_DEP_1)
	v_cmpx_nlt_f32_e32 0, v17
; %bb.41:
	v_mul_f32_e32 v1, v18, v17
	s_delay_alu instid0(VALU_DEP_1) | instskip(NEXT) | instid1(VALU_DEP_1)
	v_bfe_u32 v17, v1, 16, 1
	v_add3_u32 v17, v1, v17, 0x7fff
	s_delay_alu instid0(VALU_DEP_1) | instskip(SKIP_1) | instid1(VALU_DEP_1)
	v_lshrrev_b32_e32 v17, 16, v17
	v_cmp_o_f32_e64 s0, v1, v1
	v_cndmask_b32_e64 v1, 0x7fc0, v17, s0
; %bb.42:
	s_or_b32 exec_lo, exec_lo, s3
.LBB41_43:
	s_delay_alu instid0(SALU_CYCLE_1) | instskip(SKIP_2) | instid1(VALU_DEP_1)
	s_or_b32 exec_lo, exec_lo, s1
	v_or_b32_e32 v17, 0x200, v0
	s_mov_b32 s1, exec_lo
	v_cmpx_gt_i32_e64 s12, v17
	s_cbranch_execz .LBB41_47
; %bb.44:
	s_wait_loadcnt 0x0
	v_lshlrev_b32_e32 v17, 16, v6
	s_mov_b32 s3, exec_lo
	s_delay_alu instid0(VALU_DEP_1)
	v_cmpx_nlt_f32_e32 0, v17
; %bb.45:
	v_mul_f32_e32 v6, v16, v17
	s_delay_alu instid0(VALU_DEP_1) | instskip(NEXT) | instid1(VALU_DEP_1)
	v_bfe_u32 v16, v6, 16, 1
	v_add3_u32 v16, v6, v16, 0x7fff
	s_delay_alu instid0(VALU_DEP_1) | instskip(SKIP_1) | instid1(VALU_DEP_1)
	v_lshrrev_b32_e32 v16, 16, v16
	v_cmp_o_f32_e64 s0, v6, v6
	v_cndmask_b32_e64 v6, 0x7fc0, v16, s0
; %bb.46:
	s_or_b32 exec_lo, exec_lo, s3
.LBB41_47:
	s_delay_alu instid0(SALU_CYCLE_1) | instskip(SKIP_2) | instid1(VALU_DEP_1)
	s_or_b32 exec_lo, exec_lo, s1
	v_or_b32_e32 v16, 0x300, v0
	s_mov_b32 s1, exec_lo
	v_cmpx_gt_i32_e64 s12, v16
	s_cbranch_execz .LBB41_51
; %bb.48:
	s_wait_loadcnt 0x0
	v_lshlrev_b32_e32 v16, 16, v5
	s_mov_b32 s3, exec_lo
	s_delay_alu instid0(VALU_DEP_1)
	v_cmpx_nlt_f32_e32 0, v16
; %bb.49:
	v_mul_f32_e32 v5, v15, v16
	s_delay_alu instid0(VALU_DEP_1) | instskip(NEXT) | instid1(VALU_DEP_1)
	v_bfe_u32 v15, v5, 16, 1
	v_add3_u32 v15, v5, v15, 0x7fff
	s_delay_alu instid0(VALU_DEP_1) | instskip(SKIP_1) | instid1(VALU_DEP_1)
	v_lshrrev_b32_e32 v15, 16, v15
	v_cmp_o_f32_e64 s0, v5, v5
	v_cndmask_b32_e64 v5, 0x7fc0, v15, s0
; %bb.50:
	s_or_b32 exec_lo, exec_lo, s3
.LBB41_51:
	;; [unrolled: 24-line block ×5, first 2 shown]
	s_delay_alu instid0(SALU_CYCLE_1) | instskip(SKIP_2) | instid1(VALU_DEP_1)
	s_or_b32 exec_lo, exec_lo, s1
	v_or_b32_e32 v12, 0x700, v0
	s_mov_b32 s1, exec_lo
	v_cmpx_gt_i32_e64 s12, v12
	s_cbranch_execnz .LBB41_74
; %bb.64:
	s_or_b32 exec_lo, exec_lo, s1
	s_and_saveexec_b32 s0, vcc_lo
	s_delay_alu instid0(SALU_CYCLE_1)
	s_xor_b32 s0, exec_lo, s0
	s_cbranch_execnz .LBB41_77
.LBB41_65:
	s_or_b32 exec_lo, exec_lo, s0
	s_delay_alu instid0(SALU_CYCLE_1)
	s_mov_b32 s0, exec_lo
	v_cmpx_gt_i32_e64 s12, v0
	s_cbranch_execnz .LBB41_78
.LBB41_66:
	s_or_b32 exec_lo, exec_lo, s0
	s_delay_alu instid0(SALU_CYCLE_1)
	s_mov_b32 s0, exec_lo
	v_cmpx_gt_i32_e64 s12, v0
	s_cbranch_execnz .LBB41_79
.LBB41_67:
	s_or_b32 exec_lo, exec_lo, s0
	s_delay_alu instid0(SALU_CYCLE_1)
	s_mov_b32 s0, exec_lo
	v_cmpx_gt_i32_e64 s12, v0
	s_cbranch_execnz .LBB41_80
.LBB41_68:
	s_or_b32 exec_lo, exec_lo, s0
	s_delay_alu instid0(SALU_CYCLE_1)
	s_mov_b32 s0, exec_lo
	v_cmpx_gt_i32_e64 s12, v0
	s_cbranch_execnz .LBB41_81
.LBB41_69:
	s_or_b32 exec_lo, exec_lo, s0
	s_delay_alu instid0(SALU_CYCLE_1)
	s_mov_b32 s0, exec_lo
	v_cmpx_gt_i32_e64 s12, v0
	s_cbranch_execnz .LBB41_82
.LBB41_70:
	s_or_b32 exec_lo, exec_lo, s0
	s_delay_alu instid0(SALU_CYCLE_1)
	s_mov_b32 s0, exec_lo
	v_cmpx_gt_i32_e64 s12, v0
	s_cbranch_execnz .LBB41_83
.LBB41_71:
	s_or_b32 exec_lo, exec_lo, s0
	s_delay_alu instid0(SALU_CYCLE_1)
	s_mov_b32 s0, exec_lo
	v_cmpx_gt_i32_e64 s12, v0
	s_cbranch_execz .LBB41_73
.LBB41_72:
	v_add_nc_u32_e32 v0, s2, v0
	s_wait_loadcnt 0x0
	global_store_b16 v0, v9, s[4:5] scale_offset
.LBB41_73:
	s_endpgm
.LBB41_74:
	s_wait_loadcnt 0x0
	v_lshlrev_b32_e32 v12, 16, v9
	s_mov_b32 s3, exec_lo
	s_delay_alu instid0(VALU_DEP_1)
	v_cmpx_nlt_f32_e32 0, v12
; %bb.75:
	v_mul_f32_e32 v9, v11, v12
	s_delay_alu instid0(VALU_DEP_1) | instskip(NEXT) | instid1(VALU_DEP_1)
	v_bfe_u32 v11, v9, 16, 1
	v_add3_u32 v11, v9, v11, 0x7fff
	s_delay_alu instid0(VALU_DEP_1) | instskip(SKIP_1) | instid1(VALU_DEP_1)
	v_lshrrev_b32_e32 v11, 16, v11
	v_cmp_o_f32_e64 s0, v9, v9
	v_cndmask_b32_e64 v9, 0x7fc0, v11, s0
; %bb.76:
	s_or_b32 exec_lo, exec_lo, s3
	s_delay_alu instid0(SALU_CYCLE_1) | instskip(SKIP_1) | instid1(SALU_CYCLE_1)
	s_or_b32 exec_lo, exec_lo, s1
	s_and_saveexec_b32 s0, vcc_lo
	s_xor_b32 s0, exec_lo, s0
	s_cbranch_execz .LBB41_65
.LBB41_77:
	v_mov_b32_e32 v0, v3
	s_wait_loadcnt 0x0
	global_store_b16 v2, v4, s[4:5] scale_offset
	s_wait_xcnt 0x0
	s_or_b32 exec_lo, exec_lo, s0
	s_delay_alu instid0(SALU_CYCLE_1)
	s_mov_b32 s0, exec_lo
	v_cmpx_gt_i32_e64 s12, v0
	s_cbranch_execz .LBB41_66
.LBB41_78:
	v_add_nc_u32_e32 v2, s2, v0
	v_add_nc_u32_e32 v0, 0x100, v0
	s_wait_loadcnt 0x0
	global_store_b16 v2, v1, s[4:5] scale_offset
	s_wait_xcnt 0x0
	s_or_b32 exec_lo, exec_lo, s0
	s_delay_alu instid0(SALU_CYCLE_1)
	s_mov_b32 s0, exec_lo
	v_cmpx_gt_i32_e64 s12, v0
	s_cbranch_execz .LBB41_67
.LBB41_79:
	s_wait_loadcnt 0x0
	v_add_nc_u32_e32 v1, s2, v0
	v_add_nc_u32_e32 v0, 0x100, v0
	global_store_b16 v1, v6, s[4:5] scale_offset
	s_wait_xcnt 0x0
	s_or_b32 exec_lo, exec_lo, s0
	s_delay_alu instid0(SALU_CYCLE_1)
	s_mov_b32 s0, exec_lo
	v_cmpx_gt_i32_e64 s12, v0
	s_cbranch_execz .LBB41_68
.LBB41_80:
	s_wait_loadcnt 0x0
	v_add_nc_u32_e32 v1, s2, v0
	v_add_nc_u32_e32 v0, 0x100, v0
	global_store_b16 v1, v5, s[4:5] scale_offset
	s_wait_xcnt 0x0
	s_or_b32 exec_lo, exec_lo, s0
	s_delay_alu instid0(SALU_CYCLE_1)
	s_mov_b32 s0, exec_lo
	v_cmpx_gt_i32_e64 s12, v0
	s_cbranch_execz .LBB41_69
.LBB41_81:
	s_wait_loadcnt 0x0
	v_add_nc_u32_e32 v1, s2, v0
	v_add_nc_u32_e32 v0, 0x100, v0
	global_store_b16 v1, v8, s[4:5] scale_offset
	s_wait_xcnt 0x0
	s_or_b32 exec_lo, exec_lo, s0
	s_delay_alu instid0(SALU_CYCLE_1)
	s_mov_b32 s0, exec_lo
	v_cmpx_gt_i32_e64 s12, v0
	s_cbranch_execz .LBB41_70
.LBB41_82:
	s_wait_loadcnt 0x0
	v_add_nc_u32_e32 v1, s2, v0
	v_add_nc_u32_e32 v0, 0x100, v0
	global_store_b16 v1, v7, s[4:5] scale_offset
	s_wait_xcnt 0x0
	s_or_b32 exec_lo, exec_lo, s0
	s_delay_alu instid0(SALU_CYCLE_1)
	s_mov_b32 s0, exec_lo
	v_cmpx_gt_i32_e64 s12, v0
	s_cbranch_execz .LBB41_71
.LBB41_83:
	s_wait_loadcnt 0x0
	v_add_nc_u32_e32 v1, s2, v0
	v_add_nc_u32_e32 v0, 0x100, v0
	global_store_b16 v1, v10, s[4:5] scale_offset
	s_wait_xcnt 0x0
	s_or_b32 exec_lo, exec_lo, s0
	s_delay_alu instid0(SALU_CYCLE_1)
	s_mov_b32 s0, exec_lo
	v_cmpx_gt_i32_e64 s12, v0
	s_cbranch_execnz .LBB41_72
	s_branch .LBB41_73
	.section	.rodata,"a",@progbits
	.p2align	6, 0x0
	.amdhsa_kernel _ZN2at6native29vectorized_elementwise_kernelILi16EZZZNS0_12prelu_kernelERNS_14TensorIteratorEENKUlvE_clEvENKUlvE1_clEvEUlN3c108BFloat16ES7_E_St5arrayIPcLm3EEEEviT0_T1_
		.amdhsa_group_segment_fixed_size 0
		.amdhsa_private_segment_fixed_size 0
		.amdhsa_kernarg_size 32
		.amdhsa_user_sgpr_count 2
		.amdhsa_user_sgpr_dispatch_ptr 0
		.amdhsa_user_sgpr_queue_ptr 0
		.amdhsa_user_sgpr_kernarg_segment_ptr 1
		.amdhsa_user_sgpr_dispatch_id 0
		.amdhsa_user_sgpr_kernarg_preload_length 0
		.amdhsa_user_sgpr_kernarg_preload_offset 0
		.amdhsa_user_sgpr_private_segment_size 0
		.amdhsa_wavefront_size32 1
		.amdhsa_uses_dynamic_stack 0
		.amdhsa_enable_private_segment 0
		.amdhsa_system_sgpr_workgroup_id_x 1
		.amdhsa_system_sgpr_workgroup_id_y 0
		.amdhsa_system_sgpr_workgroup_id_z 0
		.amdhsa_system_sgpr_workgroup_info 0
		.amdhsa_system_vgpr_workitem_id 0
		.amdhsa_next_free_vgpr 20
		.amdhsa_next_free_sgpr 13
		.amdhsa_named_barrier_count 0
		.amdhsa_reserve_vcc 1
		.amdhsa_float_round_mode_32 0
		.amdhsa_float_round_mode_16_64 0
		.amdhsa_float_denorm_mode_32 3
		.amdhsa_float_denorm_mode_16_64 3
		.amdhsa_fp16_overflow 0
		.amdhsa_memory_ordered 1
		.amdhsa_forward_progress 1
		.amdhsa_inst_pref_size 25
		.amdhsa_round_robin_scheduling 0
		.amdhsa_exception_fp_ieee_invalid_op 0
		.amdhsa_exception_fp_denorm_src 0
		.amdhsa_exception_fp_ieee_div_zero 0
		.amdhsa_exception_fp_ieee_overflow 0
		.amdhsa_exception_fp_ieee_underflow 0
		.amdhsa_exception_fp_ieee_inexact 0
		.amdhsa_exception_int_div_zero 0
	.end_amdhsa_kernel
	.section	.text._ZN2at6native29vectorized_elementwise_kernelILi16EZZZNS0_12prelu_kernelERNS_14TensorIteratorEENKUlvE_clEvENKUlvE1_clEvEUlN3c108BFloat16ES7_E_St5arrayIPcLm3EEEEviT0_T1_,"axG",@progbits,_ZN2at6native29vectorized_elementwise_kernelILi16EZZZNS0_12prelu_kernelERNS_14TensorIteratorEENKUlvE_clEvENKUlvE1_clEvEUlN3c108BFloat16ES7_E_St5arrayIPcLm3EEEEviT0_T1_,comdat
.Lfunc_end41:
	.size	_ZN2at6native29vectorized_elementwise_kernelILi16EZZZNS0_12prelu_kernelERNS_14TensorIteratorEENKUlvE_clEvENKUlvE1_clEvEUlN3c108BFloat16ES7_E_St5arrayIPcLm3EEEEviT0_T1_, .Lfunc_end41-_ZN2at6native29vectorized_elementwise_kernelILi16EZZZNS0_12prelu_kernelERNS_14TensorIteratorEENKUlvE_clEvENKUlvE1_clEvEUlN3c108BFloat16ES7_E_St5arrayIPcLm3EEEEviT0_T1_
                                        ; -- End function
	.set _ZN2at6native29vectorized_elementwise_kernelILi16EZZZNS0_12prelu_kernelERNS_14TensorIteratorEENKUlvE_clEvENKUlvE1_clEvEUlN3c108BFloat16ES7_E_St5arrayIPcLm3EEEEviT0_T1_.num_vgpr, 20
	.set _ZN2at6native29vectorized_elementwise_kernelILi16EZZZNS0_12prelu_kernelERNS_14TensorIteratorEENKUlvE_clEvENKUlvE1_clEvEUlN3c108BFloat16ES7_E_St5arrayIPcLm3EEEEviT0_T1_.num_agpr, 0
	.set _ZN2at6native29vectorized_elementwise_kernelILi16EZZZNS0_12prelu_kernelERNS_14TensorIteratorEENKUlvE_clEvENKUlvE1_clEvEUlN3c108BFloat16ES7_E_St5arrayIPcLm3EEEEviT0_T1_.numbered_sgpr, 13
	.set _ZN2at6native29vectorized_elementwise_kernelILi16EZZZNS0_12prelu_kernelERNS_14TensorIteratorEENKUlvE_clEvENKUlvE1_clEvEUlN3c108BFloat16ES7_E_St5arrayIPcLm3EEEEviT0_T1_.num_named_barrier, 0
	.set _ZN2at6native29vectorized_elementwise_kernelILi16EZZZNS0_12prelu_kernelERNS_14TensorIteratorEENKUlvE_clEvENKUlvE1_clEvEUlN3c108BFloat16ES7_E_St5arrayIPcLm3EEEEviT0_T1_.private_seg_size, 0
	.set _ZN2at6native29vectorized_elementwise_kernelILi16EZZZNS0_12prelu_kernelERNS_14TensorIteratorEENKUlvE_clEvENKUlvE1_clEvEUlN3c108BFloat16ES7_E_St5arrayIPcLm3EEEEviT0_T1_.uses_vcc, 1
	.set _ZN2at6native29vectorized_elementwise_kernelILi16EZZZNS0_12prelu_kernelERNS_14TensorIteratorEENKUlvE_clEvENKUlvE1_clEvEUlN3c108BFloat16ES7_E_St5arrayIPcLm3EEEEviT0_T1_.uses_flat_scratch, 0
	.set _ZN2at6native29vectorized_elementwise_kernelILi16EZZZNS0_12prelu_kernelERNS_14TensorIteratorEENKUlvE_clEvENKUlvE1_clEvEUlN3c108BFloat16ES7_E_St5arrayIPcLm3EEEEviT0_T1_.has_dyn_sized_stack, 0
	.set _ZN2at6native29vectorized_elementwise_kernelILi16EZZZNS0_12prelu_kernelERNS_14TensorIteratorEENKUlvE_clEvENKUlvE1_clEvEUlN3c108BFloat16ES7_E_St5arrayIPcLm3EEEEviT0_T1_.has_recursion, 0
	.set _ZN2at6native29vectorized_elementwise_kernelILi16EZZZNS0_12prelu_kernelERNS_14TensorIteratorEENKUlvE_clEvENKUlvE1_clEvEUlN3c108BFloat16ES7_E_St5arrayIPcLm3EEEEviT0_T1_.has_indirect_call, 0
	.section	.AMDGPU.csdata,"",@progbits
; Kernel info:
; codeLenInByte = 3180
; TotalNumSgprs: 15
; NumVgprs: 20
; ScratchSize: 0
; MemoryBound: 0
; FloatMode: 240
; IeeeMode: 1
; LDSByteSize: 0 bytes/workgroup (compile time only)
; SGPRBlocks: 0
; VGPRBlocks: 1
; NumSGPRsForWavesPerEU: 15
; NumVGPRsForWavesPerEU: 20
; NamedBarCnt: 0
; Occupancy: 16
; WaveLimiterHint : 0
; COMPUTE_PGM_RSRC2:SCRATCH_EN: 0
; COMPUTE_PGM_RSRC2:USER_SGPR: 2
; COMPUTE_PGM_RSRC2:TRAP_HANDLER: 0
; COMPUTE_PGM_RSRC2:TGID_X_EN: 1
; COMPUTE_PGM_RSRC2:TGID_Y_EN: 0
; COMPUTE_PGM_RSRC2:TGID_Z_EN: 0
; COMPUTE_PGM_RSRC2:TIDIG_COMP_CNT: 0
	.section	.text._ZN2at6native29vectorized_elementwise_kernelILi8EZZZNS0_12prelu_kernelERNS_14TensorIteratorEENKUlvE_clEvENKUlvE1_clEvEUlN3c108BFloat16ES7_E_St5arrayIPcLm3EEEEviT0_T1_,"axG",@progbits,_ZN2at6native29vectorized_elementwise_kernelILi8EZZZNS0_12prelu_kernelERNS_14TensorIteratorEENKUlvE_clEvENKUlvE1_clEvEUlN3c108BFloat16ES7_E_St5arrayIPcLm3EEEEviT0_T1_,comdat
	.globl	_ZN2at6native29vectorized_elementwise_kernelILi8EZZZNS0_12prelu_kernelERNS_14TensorIteratorEENKUlvE_clEvENKUlvE1_clEvEUlN3c108BFloat16ES7_E_St5arrayIPcLm3EEEEviT0_T1_ ; -- Begin function _ZN2at6native29vectorized_elementwise_kernelILi8EZZZNS0_12prelu_kernelERNS_14TensorIteratorEENKUlvE_clEvENKUlvE1_clEvEUlN3c108BFloat16ES7_E_St5arrayIPcLm3EEEEviT0_T1_
	.p2align	8
	.type	_ZN2at6native29vectorized_elementwise_kernelILi8EZZZNS0_12prelu_kernelERNS_14TensorIteratorEENKUlvE_clEvENKUlvE1_clEvEUlN3c108BFloat16ES7_E_St5arrayIPcLm3EEEEviT0_T1_,@function
_ZN2at6native29vectorized_elementwise_kernelILi8EZZZNS0_12prelu_kernelERNS_14TensorIteratorEENKUlvE_clEvENKUlvE1_clEvEUlN3c108BFloat16ES7_E_St5arrayIPcLm3EEEEviT0_T1_: ; @_ZN2at6native29vectorized_elementwise_kernelILi8EZZZNS0_12prelu_kernelERNS_14TensorIteratorEENKUlvE_clEvENKUlvE1_clEvEUlN3c108BFloat16ES7_E_St5arrayIPcLm3EEEEviT0_T1_
; %bb.0:
	s_clause 0x2
	s_load_b32 s3, s[0:1], 0x0
	s_load_b128 s[4:7], s[0:1], 0x8
	s_load_b64 s[8:9], s[0:1], 0x18
	s_wait_xcnt 0x0
	s_bfe_u32 s0, ttmp6, 0x4000c
	s_and_b32 s1, ttmp6, 15
	s_add_co_i32 s0, s0, 1
	s_getreg_b32 s2, hwreg(HW_REG_IB_STS2, 6, 4)
	s_mul_i32 s0, ttmp9, s0
	s_delay_alu instid0(SALU_CYCLE_1) | instskip(SKIP_2) | instid1(SALU_CYCLE_1)
	s_add_co_i32 s1, s1, s0
	s_cmp_eq_u32 s2, 0
	s_cselect_b32 s0, ttmp9, s1
	s_lshl_b32 s2, s0, 11
	s_wait_kmcnt 0x0
	s_sub_co_i32 s12, s3, s2
	s_mov_b32 s3, -1
	s_cmp_gt_i32 s12, 0x7ff
	s_cbranch_scc0 .LBB42_18
; %bb.1:
	s_ashr_i32 s3, s2, 31
	s_delay_alu instid0(SALU_CYCLE_1)
	s_lshl_b64 s[0:1], s[2:3], 1
	s_mov_b32 s3, exec_lo
	s_add_nc_u64 s[10:11], s[6:7], s[0:1]
	global_load_b128 v[2:5], v0, s[10:11] scale_offset
	v_lshlrev_b32_e32 v8, 4, v0
	s_wait_xcnt 0x0
	s_add_nc_u64 s[10:11], s[8:9], s[0:1]
	s_wait_loadcnt 0x0
	v_dual_mov_b32 v9, 0 :: v_dual_mov_b32 v10, v2
	v_lshlrev_b32_e32 v12, 16, v2
	s_clause 0x2
	global_load_b32 v11, v8, s[10:11] offset:10
	global_load_u16 v1, v8, s[10:11] offset:14
	global_load_b64 v[6:7], v8, s[10:11] offset:2
	s_wait_xcnt 0x0
	v_cmpx_nlt_f32_e32 0, v12
	s_cbranch_execz .LBB42_3
; %bb.2:
	v_add_nc_u64_e32 v[8:9], s[10:11], v[8:9]
	global_load_u16 v8, v[8:9], off
	s_wait_loadcnt 0x0
	v_lshlrev_b32_e32 v8, 16, v8
	s_delay_alu instid0(VALU_DEP_1) | instskip(NEXT) | instid1(VALU_DEP_1)
	v_mul_f32_e32 v8, v12, v8
	v_bfe_u32 v9, v8, 16, 1
	v_cmp_o_f32_e32 vcc_lo, v8, v8
	s_delay_alu instid0(VALU_DEP_2) | instskip(NEXT) | instid1(VALU_DEP_1)
	v_add3_u32 v9, v8, v9, 0x7fff
	v_lshrrev_b32_e32 v9, 16, v9
	s_delay_alu instid0(VALU_DEP_1)
	v_cndmask_b32_e32 v10, 0x7fc0, v9, vcc_lo
.LBB42_3:
	s_or_b32 exec_lo, exec_lo, s3
	v_and_b32_e32 v8, 0xffff0000, v2
	v_lshrrev_b32_e32 v2, 16, v2
	s_mov_b32 s3, exec_lo
	s_delay_alu instid0(VALU_DEP_2)
	v_cmpx_nlt_f32_e32 0, v8
	s_cbranch_execz .LBB42_5
; %bb.4:
	s_wait_loadcnt 0x0
	v_lshlrev_b32_e32 v2, 16, v6
	s_delay_alu instid0(VALU_DEP_1) | instskip(NEXT) | instid1(VALU_DEP_1)
	v_mul_f32_e32 v2, v8, v2
	v_bfe_u32 v8, v2, 16, 1
	v_cmp_o_f32_e32 vcc_lo, v2, v2
	s_delay_alu instid0(VALU_DEP_2) | instskip(NEXT) | instid1(VALU_DEP_1)
	v_add3_u32 v8, v2, v8, 0x7fff
	v_lshrrev_b32_e32 v8, 16, v8
	s_delay_alu instid0(VALU_DEP_1)
	v_cndmask_b32_e32 v2, 0x7fc0, v8, vcc_lo
.LBB42_5:
	s_or_b32 exec_lo, exec_lo, s3
	v_dual_mov_b32 v8, v3 :: v_dual_lshlrev_b32 v9, 16, v3
	s_mov_b32 s3, exec_lo
	s_delay_alu instid0(VALU_DEP_1)
	v_cmpx_nlt_f32_e32 0, v9
	s_cbranch_execz .LBB42_7
; %bb.6:
	s_wait_loadcnt 0x0
	v_and_b32_e32 v6, 0xffff0000, v6
	s_delay_alu instid0(VALU_DEP_1) | instskip(NEXT) | instid1(VALU_DEP_1)
	v_mul_f32_e32 v6, v9, v6
	v_bfe_u32 v8, v6, 16, 1
	s_delay_alu instid0(VALU_DEP_1) | instskip(NEXT) | instid1(VALU_DEP_1)
	v_add3_u32 v8, v6, v8, 0x7fff
	v_lshrrev_b32_e32 v8, 16, v8
	v_cmp_o_f32_e32 vcc_lo, v6, v6
	s_delay_alu instid0(VALU_DEP_2)
	v_cndmask_b32_e32 v8, 0x7fc0, v8, vcc_lo
.LBB42_7:
	s_or_b32 exec_lo, exec_lo, s3
	s_wait_loadcnt 0x0
	v_and_b32_e32 v6, 0xffff0000, v3
	v_lshrrev_b32_e32 v3, 16, v3
	s_mov_b32 s3, exec_lo
	s_delay_alu instid0(VALU_DEP_2)
	v_cmpx_nlt_f32_e32 0, v6
	s_cbranch_execz .LBB42_9
; %bb.8:
	v_lshlrev_b32_e32 v3, 16, v7
	s_delay_alu instid0(VALU_DEP_1) | instskip(NEXT) | instid1(VALU_DEP_1)
	v_mul_f32_e32 v3, v6, v3
	v_bfe_u32 v6, v3, 16, 1
	v_cmp_o_f32_e32 vcc_lo, v3, v3
	s_delay_alu instid0(VALU_DEP_2) | instskip(NEXT) | instid1(VALU_DEP_1)
	v_add3_u32 v6, v3, v6, 0x7fff
	v_lshrrev_b32_e32 v6, 16, v6
	s_delay_alu instid0(VALU_DEP_1)
	v_cndmask_b32_e32 v3, 0x7fc0, v6, vcc_lo
.LBB42_9:
	s_or_b32 exec_lo, exec_lo, s3
	v_dual_mov_b32 v6, v4 :: v_dual_lshlrev_b32 v9, 16, v4
	s_mov_b32 s3, exec_lo
	s_delay_alu instid0(VALU_DEP_1)
	v_cmpx_nlt_f32_e32 0, v9
	s_cbranch_execz .LBB42_11
; %bb.10:
	v_and_b32_e32 v6, 0xffff0000, v7
	s_delay_alu instid0(VALU_DEP_1) | instskip(NEXT) | instid1(VALU_DEP_1)
	v_mul_f32_e32 v6, v9, v6
	v_bfe_u32 v7, v6, 16, 1
	s_delay_alu instid0(VALU_DEP_1) | instskip(NEXT) | instid1(VALU_DEP_1)
	v_add3_u32 v7, v6, v7, 0x7fff
	v_lshrrev_b32_e32 v7, 16, v7
	v_cmp_o_f32_e32 vcc_lo, v6, v6
	s_delay_alu instid0(VALU_DEP_2)
	v_cndmask_b32_e32 v6, 0x7fc0, v7, vcc_lo
.LBB42_11:
	s_or_b32 exec_lo, exec_lo, s3
	v_and_b32_e32 v7, 0xffff0000, v4
	v_lshrrev_b32_e32 v4, 16, v4
	s_mov_b32 s3, exec_lo
	s_delay_alu instid0(VALU_DEP_2)
	v_cmpx_nlt_f32_e32 0, v7
	s_cbranch_execz .LBB42_13
; %bb.12:
	v_lshlrev_b32_e32 v4, 16, v11
	s_delay_alu instid0(VALU_DEP_1) | instskip(NEXT) | instid1(VALU_DEP_1)
	v_mul_f32_e32 v4, v7, v4
	v_bfe_u32 v7, v4, 16, 1
	s_delay_alu instid0(VALU_DEP_1) | instskip(NEXT) | instid1(VALU_DEP_1)
	v_add3_u32 v7, v4, v7, 0x7fff
	v_lshrrev_b32_e32 v7, 16, v7
	v_cmp_o_f32_e32 vcc_lo, v4, v4
	s_delay_alu instid0(VALU_DEP_2)
	v_cndmask_b32_e32 v4, 0x7fc0, v7, vcc_lo
.LBB42_13:
	s_or_b32 exec_lo, exec_lo, s3
	v_dual_lshlrev_b32 v9, 16, v5 :: v_dual_mov_b32 v7, v5
	s_mov_b32 s3, exec_lo
	s_delay_alu instid0(VALU_DEP_1)
	v_cmpx_nlt_f32_e32 0, v9
	s_cbranch_execz .LBB42_15
; %bb.14:
	v_and_b32_e32 v7, 0xffff0000, v11
	s_delay_alu instid0(VALU_DEP_1) | instskip(NEXT) | instid1(VALU_DEP_1)
	v_mul_f32_e32 v7, v9, v7
	v_bfe_u32 v9, v7, 16, 1
	s_delay_alu instid0(VALU_DEP_1) | instskip(NEXT) | instid1(VALU_DEP_1)
	v_add3_u32 v9, v7, v9, 0x7fff
	v_lshrrev_b32_e32 v9, 16, v9
	v_cmp_o_f32_e32 vcc_lo, v7, v7
	s_delay_alu instid0(VALU_DEP_2)
	v_cndmask_b32_e32 v7, 0x7fc0, v9, vcc_lo
.LBB42_15:
	s_or_b32 exec_lo, exec_lo, s3
	v_and_b32_e32 v9, 0xffff0000, v5
	v_lshrrev_b32_e32 v5, 16, v5
	s_mov_b32 s3, 0
	s_mov_b32 s10, exec_lo
	s_delay_alu instid0(VALU_DEP_2)
	v_cmpx_nlt_f32_e32 0, v9
	s_cbranch_execz .LBB42_17
; %bb.16:
	v_lshlrev_b32_e32 v1, 16, v1
	s_delay_alu instid0(VALU_DEP_1) | instskip(NEXT) | instid1(VALU_DEP_1)
	v_mul_f32_e32 v1, v9, v1
	v_bfe_u32 v5, v1, 16, 1
	v_cmp_o_f32_e32 vcc_lo, v1, v1
	s_delay_alu instid0(VALU_DEP_2) | instskip(NEXT) | instid1(VALU_DEP_1)
	v_add3_u32 v5, v1, v5, 0x7fff
	v_lshrrev_b32_e32 v5, 16, v5
	s_delay_alu instid0(VALU_DEP_1)
	v_cndmask_b32_e32 v5, 0x7fc0, v5, vcc_lo
.LBB42_17:
	s_or_b32 exec_lo, exec_lo, s10
	s_delay_alu instid0(VALU_DEP_1)
	v_perm_b32 v5, v5, v7, 0x5040100
	v_perm_b32 v4, v4, v6, 0x5040100
	;; [unrolled: 1-line block ×4, first 2 shown]
	s_add_nc_u64 s[0:1], s[4:5], s[0:1]
	global_store_b128 v0, v[2:5], s[0:1] scale_offset
.LBB42_18:
	s_and_b32 vcc_lo, exec_lo, s3
	s_cbranch_vccz .LBB42_73
; %bb.19:
	v_cmp_gt_i32_e32 vcc_lo, s12, v0
	v_dual_mov_b32 v17, 0 :: v_dual_mov_b32 v1, 0
	s_wait_xcnt 0x0
	v_dual_mov_b32 v4, 0 :: v_dual_bitop2_b32 v2, s2, v0 bitop3:0x54
	v_or_b32_e32 v3, 0x100, v0
	v_mov_b32_e32 v19, v0
	s_and_saveexec_b32 s0, vcc_lo
	s_cbranch_execz .LBB42_21
; %bb.20:
	s_clause 0x1
	global_load_u16 v5, v2, s[8:9] scale_offset
	global_load_u16 v4, v2, s[6:7] scale_offset
	v_or_b32_e32 v19, 0x100, v0
	s_wait_loadcnt 0x1
	v_lshlrev_b32_e32 v17, 16, v5
.LBB42_21:
	s_wait_xcnt 0x0
	s_or_b32 exec_lo, exec_lo, s0
	v_mov_b32_e32 v18, 0
	s_mov_b32 s1, exec_lo
	v_cmpx_gt_i32_e64 s12, v19
	s_cbranch_execz .LBB42_23
; %bb.22:
	v_add_nc_u32_e32 v5, s2, v19
	v_add_nc_u32_e32 v19, 0x100, v19
	s_clause 0x1
	global_load_u16 v6, v5, s[8:9] scale_offset
	global_load_u16 v1, v5, s[6:7] scale_offset
	s_wait_loadcnt 0x1
	v_lshlrev_b32_e32 v18, 16, v6
.LBB42_23:
	s_wait_xcnt 0x0
	s_or_b32 exec_lo, exec_lo, s1
	v_dual_mov_b32 v16, 0 :: v_dual_mov_b32 v5, 0
	v_mov_b32_e32 v6, 0
	s_mov_b32 s1, exec_lo
	v_cmpx_gt_i32_e64 s12, v19
	s_cbranch_execz .LBB42_25
; %bb.24:
	v_add_nc_u32_e32 v7, s2, v19
	v_add_nc_u32_e32 v19, 0x100, v19
	s_clause 0x1
	global_load_u16 v8, v7, s[8:9] scale_offset
	global_load_u16 v6, v7, s[6:7] scale_offset
	s_wait_loadcnt 0x1
	v_lshlrev_b32_e32 v16, 16, v8
.LBB42_25:
	s_wait_xcnt 0x0
	s_or_b32 exec_lo, exec_lo, s1
	v_mov_b32_e32 v15, 0
	s_mov_b32 s1, exec_lo
	v_cmpx_gt_i32_e64 s12, v19
	s_cbranch_execz .LBB42_27
; %bb.26:
	v_add_nc_u32_e32 v7, s2, v19
	v_add_nc_u32_e32 v19, 0x100, v19
	s_clause 0x1
	global_load_u16 v8, v7, s[8:9] scale_offset
	global_load_u16 v5, v7, s[6:7] scale_offset
	s_wait_loadcnt 0x1
	v_lshlrev_b32_e32 v15, 16, v8
.LBB42_27:
	s_wait_xcnt 0x0
	s_or_b32 exec_lo, exec_lo, s1
	v_dual_mov_b32 v14, 0 :: v_dual_mov_b32 v7, 0
	v_mov_b32_e32 v8, 0
	s_mov_b32 s1, exec_lo
	v_cmpx_gt_i32_e64 s12, v19
	s_cbranch_execz .LBB42_29
; %bb.28:
	v_add_nc_u32_e32 v9, s2, v19
	v_add_nc_u32_e32 v19, 0x100, v19
	s_clause 0x1
	global_load_u16 v10, v9, s[8:9] scale_offset
	global_load_u16 v8, v9, s[6:7] scale_offset
	s_wait_loadcnt 0x1
	v_lshlrev_b32_e32 v14, 16, v10
.LBB42_29:
	;; [unrolled: 31-line block ×3, first 2 shown]
	s_wait_xcnt 0x0
	s_or_b32 exec_lo, exec_lo, s1
	v_mov_b32_e32 v11, 0
	s_mov_b32 s1, exec_lo
	v_cmpx_gt_i32_e64 s12, v19
	s_cbranch_execnz .LBB42_36
; %bb.34:
	s_or_b32 exec_lo, exec_lo, s1
	s_and_saveexec_b32 s1, vcc_lo
	s_cbranch_execnz .LBB42_37
.LBB42_35:
	s_or_b32 exec_lo, exec_lo, s1
	s_delay_alu instid0(SALU_CYCLE_1)
	s_mov_b32 s1, exec_lo
	v_cmpx_gt_i32_e64 s12, v3
	s_cbranch_execnz .LBB42_40
	s_branch .LBB42_43
.LBB42_36:
	v_add_nc_u32_e32 v11, s2, v19
	s_clause 0x1
	global_load_u16 v19, v11, s[8:9] scale_offset
	global_load_u16 v9, v11, s[6:7] scale_offset
	s_wait_loadcnt 0x1
	s_wait_xcnt 0x0
	v_lshlrev_b32_e32 v11, 16, v19
	s_or_b32 exec_lo, exec_lo, s1
	s_and_saveexec_b32 s1, vcc_lo
	s_cbranch_execz .LBB42_35
.LBB42_37:
	s_wait_loadcnt 0x0
	v_lshlrev_b32_e32 v19, 16, v4
	s_mov_b32 s3, exec_lo
	s_delay_alu instid0(VALU_DEP_1)
	v_cmpx_nlt_f32_e32 0, v19
; %bb.38:
	v_mul_f32_e32 v4, v17, v19
	s_delay_alu instid0(VALU_DEP_1) | instskip(NEXT) | instid1(VALU_DEP_1)
	v_bfe_u32 v17, v4, 16, 1
	v_add3_u32 v17, v4, v17, 0x7fff
	s_delay_alu instid0(VALU_DEP_1) | instskip(SKIP_1) | instid1(VALU_DEP_1)
	v_lshrrev_b32_e32 v17, 16, v17
	v_cmp_o_f32_e64 s0, v4, v4
	v_cndmask_b32_e64 v4, 0x7fc0, v17, s0
; %bb.39:
	s_or_b32 exec_lo, exec_lo, s3
	s_delay_alu instid0(SALU_CYCLE_1) | instskip(NEXT) | instid1(SALU_CYCLE_1)
	s_or_b32 exec_lo, exec_lo, s1
	s_mov_b32 s1, exec_lo
	v_cmpx_gt_i32_e64 s12, v3
	s_cbranch_execz .LBB42_43
.LBB42_40:
	s_wait_loadcnt 0x0
	v_lshlrev_b32_e32 v17, 16, v1
	s_mov_b32 s3, exec_lo
	s_delay_alu instid0(VALU_DEP_1)
	v_cmpx_nlt_f32_e32 0, v17
; %bb.41:
	v_mul_f32_e32 v1, v18, v17
	s_delay_alu instid0(VALU_DEP_1) | instskip(NEXT) | instid1(VALU_DEP_1)
	v_bfe_u32 v17, v1, 16, 1
	v_add3_u32 v17, v1, v17, 0x7fff
	s_delay_alu instid0(VALU_DEP_1) | instskip(SKIP_1) | instid1(VALU_DEP_1)
	v_lshrrev_b32_e32 v17, 16, v17
	v_cmp_o_f32_e64 s0, v1, v1
	v_cndmask_b32_e64 v1, 0x7fc0, v17, s0
; %bb.42:
	s_or_b32 exec_lo, exec_lo, s3
.LBB42_43:
	s_delay_alu instid0(SALU_CYCLE_1) | instskip(SKIP_2) | instid1(VALU_DEP_1)
	s_or_b32 exec_lo, exec_lo, s1
	v_or_b32_e32 v17, 0x200, v0
	s_mov_b32 s1, exec_lo
	v_cmpx_gt_i32_e64 s12, v17
	s_cbranch_execz .LBB42_47
; %bb.44:
	s_wait_loadcnt 0x0
	v_lshlrev_b32_e32 v17, 16, v6
	s_mov_b32 s3, exec_lo
	s_delay_alu instid0(VALU_DEP_1)
	v_cmpx_nlt_f32_e32 0, v17
; %bb.45:
	v_mul_f32_e32 v6, v16, v17
	s_delay_alu instid0(VALU_DEP_1) | instskip(NEXT) | instid1(VALU_DEP_1)
	v_bfe_u32 v16, v6, 16, 1
	v_add3_u32 v16, v6, v16, 0x7fff
	s_delay_alu instid0(VALU_DEP_1) | instskip(SKIP_1) | instid1(VALU_DEP_1)
	v_lshrrev_b32_e32 v16, 16, v16
	v_cmp_o_f32_e64 s0, v6, v6
	v_cndmask_b32_e64 v6, 0x7fc0, v16, s0
; %bb.46:
	s_or_b32 exec_lo, exec_lo, s3
.LBB42_47:
	s_delay_alu instid0(SALU_CYCLE_1) | instskip(SKIP_2) | instid1(VALU_DEP_1)
	s_or_b32 exec_lo, exec_lo, s1
	v_or_b32_e32 v16, 0x300, v0
	s_mov_b32 s1, exec_lo
	v_cmpx_gt_i32_e64 s12, v16
	s_cbranch_execz .LBB42_51
; %bb.48:
	s_wait_loadcnt 0x0
	v_lshlrev_b32_e32 v16, 16, v5
	s_mov_b32 s3, exec_lo
	s_delay_alu instid0(VALU_DEP_1)
	v_cmpx_nlt_f32_e32 0, v16
; %bb.49:
	v_mul_f32_e32 v5, v15, v16
	s_delay_alu instid0(VALU_DEP_1) | instskip(NEXT) | instid1(VALU_DEP_1)
	v_bfe_u32 v15, v5, 16, 1
	v_add3_u32 v15, v5, v15, 0x7fff
	s_delay_alu instid0(VALU_DEP_1) | instskip(SKIP_1) | instid1(VALU_DEP_1)
	v_lshrrev_b32_e32 v15, 16, v15
	v_cmp_o_f32_e64 s0, v5, v5
	v_cndmask_b32_e64 v5, 0x7fc0, v15, s0
; %bb.50:
	s_or_b32 exec_lo, exec_lo, s3
.LBB42_51:
	;; [unrolled: 24-line block ×5, first 2 shown]
	s_delay_alu instid0(SALU_CYCLE_1) | instskip(SKIP_2) | instid1(VALU_DEP_1)
	s_or_b32 exec_lo, exec_lo, s1
	v_or_b32_e32 v12, 0x700, v0
	s_mov_b32 s1, exec_lo
	v_cmpx_gt_i32_e64 s12, v12
	s_cbranch_execnz .LBB42_74
; %bb.64:
	s_or_b32 exec_lo, exec_lo, s1
	s_and_saveexec_b32 s0, vcc_lo
	s_delay_alu instid0(SALU_CYCLE_1)
	s_xor_b32 s0, exec_lo, s0
	s_cbranch_execnz .LBB42_77
.LBB42_65:
	s_or_b32 exec_lo, exec_lo, s0
	s_delay_alu instid0(SALU_CYCLE_1)
	s_mov_b32 s0, exec_lo
	v_cmpx_gt_i32_e64 s12, v0
	s_cbranch_execnz .LBB42_78
.LBB42_66:
	s_or_b32 exec_lo, exec_lo, s0
	s_delay_alu instid0(SALU_CYCLE_1)
	s_mov_b32 s0, exec_lo
	v_cmpx_gt_i32_e64 s12, v0
	s_cbranch_execnz .LBB42_79
.LBB42_67:
	s_or_b32 exec_lo, exec_lo, s0
	s_delay_alu instid0(SALU_CYCLE_1)
	s_mov_b32 s0, exec_lo
	v_cmpx_gt_i32_e64 s12, v0
	s_cbranch_execnz .LBB42_80
.LBB42_68:
	s_or_b32 exec_lo, exec_lo, s0
	s_delay_alu instid0(SALU_CYCLE_1)
	s_mov_b32 s0, exec_lo
	v_cmpx_gt_i32_e64 s12, v0
	s_cbranch_execnz .LBB42_81
.LBB42_69:
	s_or_b32 exec_lo, exec_lo, s0
	s_delay_alu instid0(SALU_CYCLE_1)
	s_mov_b32 s0, exec_lo
	v_cmpx_gt_i32_e64 s12, v0
	s_cbranch_execnz .LBB42_82
.LBB42_70:
	s_or_b32 exec_lo, exec_lo, s0
	s_delay_alu instid0(SALU_CYCLE_1)
	s_mov_b32 s0, exec_lo
	v_cmpx_gt_i32_e64 s12, v0
	s_cbranch_execnz .LBB42_83
.LBB42_71:
	s_or_b32 exec_lo, exec_lo, s0
	s_delay_alu instid0(SALU_CYCLE_1)
	s_mov_b32 s0, exec_lo
	v_cmpx_gt_i32_e64 s12, v0
	s_cbranch_execz .LBB42_73
.LBB42_72:
	v_add_nc_u32_e32 v0, s2, v0
	s_wait_loadcnt 0x0
	global_store_b16 v0, v9, s[4:5] scale_offset
.LBB42_73:
	s_endpgm
.LBB42_74:
	s_wait_loadcnt 0x0
	v_lshlrev_b32_e32 v12, 16, v9
	s_mov_b32 s3, exec_lo
	s_delay_alu instid0(VALU_DEP_1)
	v_cmpx_nlt_f32_e32 0, v12
; %bb.75:
	v_mul_f32_e32 v9, v11, v12
	s_delay_alu instid0(VALU_DEP_1) | instskip(NEXT) | instid1(VALU_DEP_1)
	v_bfe_u32 v11, v9, 16, 1
	v_add3_u32 v11, v9, v11, 0x7fff
	s_delay_alu instid0(VALU_DEP_1) | instskip(SKIP_1) | instid1(VALU_DEP_1)
	v_lshrrev_b32_e32 v11, 16, v11
	v_cmp_o_f32_e64 s0, v9, v9
	v_cndmask_b32_e64 v9, 0x7fc0, v11, s0
; %bb.76:
	s_or_b32 exec_lo, exec_lo, s3
	s_delay_alu instid0(SALU_CYCLE_1) | instskip(SKIP_1) | instid1(SALU_CYCLE_1)
	s_or_b32 exec_lo, exec_lo, s1
	s_and_saveexec_b32 s0, vcc_lo
	s_xor_b32 s0, exec_lo, s0
	s_cbranch_execz .LBB42_65
.LBB42_77:
	v_mov_b32_e32 v0, v3
	s_wait_loadcnt 0x0
	global_store_b16 v2, v4, s[4:5] scale_offset
	s_wait_xcnt 0x0
	s_or_b32 exec_lo, exec_lo, s0
	s_delay_alu instid0(SALU_CYCLE_1)
	s_mov_b32 s0, exec_lo
	v_cmpx_gt_i32_e64 s12, v0
	s_cbranch_execz .LBB42_66
.LBB42_78:
	v_add_nc_u32_e32 v2, s2, v0
	v_add_nc_u32_e32 v0, 0x100, v0
	s_wait_loadcnt 0x0
	global_store_b16 v2, v1, s[4:5] scale_offset
	s_wait_xcnt 0x0
	s_or_b32 exec_lo, exec_lo, s0
	s_delay_alu instid0(SALU_CYCLE_1)
	s_mov_b32 s0, exec_lo
	v_cmpx_gt_i32_e64 s12, v0
	s_cbranch_execz .LBB42_67
.LBB42_79:
	s_wait_loadcnt 0x0
	v_add_nc_u32_e32 v1, s2, v0
	v_add_nc_u32_e32 v0, 0x100, v0
	global_store_b16 v1, v6, s[4:5] scale_offset
	s_wait_xcnt 0x0
	s_or_b32 exec_lo, exec_lo, s0
	s_delay_alu instid0(SALU_CYCLE_1)
	s_mov_b32 s0, exec_lo
	v_cmpx_gt_i32_e64 s12, v0
	s_cbranch_execz .LBB42_68
.LBB42_80:
	s_wait_loadcnt 0x0
	v_add_nc_u32_e32 v1, s2, v0
	v_add_nc_u32_e32 v0, 0x100, v0
	global_store_b16 v1, v5, s[4:5] scale_offset
	s_wait_xcnt 0x0
	s_or_b32 exec_lo, exec_lo, s0
	s_delay_alu instid0(SALU_CYCLE_1)
	s_mov_b32 s0, exec_lo
	v_cmpx_gt_i32_e64 s12, v0
	s_cbranch_execz .LBB42_69
.LBB42_81:
	s_wait_loadcnt 0x0
	v_add_nc_u32_e32 v1, s2, v0
	v_add_nc_u32_e32 v0, 0x100, v0
	global_store_b16 v1, v8, s[4:5] scale_offset
	s_wait_xcnt 0x0
	s_or_b32 exec_lo, exec_lo, s0
	s_delay_alu instid0(SALU_CYCLE_1)
	s_mov_b32 s0, exec_lo
	v_cmpx_gt_i32_e64 s12, v0
	s_cbranch_execz .LBB42_70
.LBB42_82:
	s_wait_loadcnt 0x0
	v_add_nc_u32_e32 v1, s2, v0
	v_add_nc_u32_e32 v0, 0x100, v0
	global_store_b16 v1, v7, s[4:5] scale_offset
	s_wait_xcnt 0x0
	s_or_b32 exec_lo, exec_lo, s0
	s_delay_alu instid0(SALU_CYCLE_1)
	s_mov_b32 s0, exec_lo
	v_cmpx_gt_i32_e64 s12, v0
	s_cbranch_execz .LBB42_71
.LBB42_83:
	s_wait_loadcnt 0x0
	v_add_nc_u32_e32 v1, s2, v0
	v_add_nc_u32_e32 v0, 0x100, v0
	global_store_b16 v1, v10, s[4:5] scale_offset
	s_wait_xcnt 0x0
	s_or_b32 exec_lo, exec_lo, s0
	s_delay_alu instid0(SALU_CYCLE_1)
	s_mov_b32 s0, exec_lo
	v_cmpx_gt_i32_e64 s12, v0
	s_cbranch_execnz .LBB42_72
	s_branch .LBB42_73
	.section	.rodata,"a",@progbits
	.p2align	6, 0x0
	.amdhsa_kernel _ZN2at6native29vectorized_elementwise_kernelILi8EZZZNS0_12prelu_kernelERNS_14TensorIteratorEENKUlvE_clEvENKUlvE1_clEvEUlN3c108BFloat16ES7_E_St5arrayIPcLm3EEEEviT0_T1_
		.amdhsa_group_segment_fixed_size 0
		.amdhsa_private_segment_fixed_size 0
		.amdhsa_kernarg_size 32
		.amdhsa_user_sgpr_count 2
		.amdhsa_user_sgpr_dispatch_ptr 0
		.amdhsa_user_sgpr_queue_ptr 0
		.amdhsa_user_sgpr_kernarg_segment_ptr 1
		.amdhsa_user_sgpr_dispatch_id 0
		.amdhsa_user_sgpr_kernarg_preload_length 0
		.amdhsa_user_sgpr_kernarg_preload_offset 0
		.amdhsa_user_sgpr_private_segment_size 0
		.amdhsa_wavefront_size32 1
		.amdhsa_uses_dynamic_stack 0
		.amdhsa_enable_private_segment 0
		.amdhsa_system_sgpr_workgroup_id_x 1
		.amdhsa_system_sgpr_workgroup_id_y 0
		.amdhsa_system_sgpr_workgroup_id_z 0
		.amdhsa_system_sgpr_workgroup_info 0
		.amdhsa_system_vgpr_workitem_id 0
		.amdhsa_next_free_vgpr 20
		.amdhsa_next_free_sgpr 13
		.amdhsa_named_barrier_count 0
		.amdhsa_reserve_vcc 1
		.amdhsa_float_round_mode_32 0
		.amdhsa_float_round_mode_16_64 0
		.amdhsa_float_denorm_mode_32 3
		.amdhsa_float_denorm_mode_16_64 3
		.amdhsa_fp16_overflow 0
		.amdhsa_memory_ordered 1
		.amdhsa_forward_progress 1
		.amdhsa_inst_pref_size 25
		.amdhsa_round_robin_scheduling 0
		.amdhsa_exception_fp_ieee_invalid_op 0
		.amdhsa_exception_fp_denorm_src 0
		.amdhsa_exception_fp_ieee_div_zero 0
		.amdhsa_exception_fp_ieee_overflow 0
		.amdhsa_exception_fp_ieee_underflow 0
		.amdhsa_exception_fp_ieee_inexact 0
		.amdhsa_exception_int_div_zero 0
	.end_amdhsa_kernel
	.section	.text._ZN2at6native29vectorized_elementwise_kernelILi8EZZZNS0_12prelu_kernelERNS_14TensorIteratorEENKUlvE_clEvENKUlvE1_clEvEUlN3c108BFloat16ES7_E_St5arrayIPcLm3EEEEviT0_T1_,"axG",@progbits,_ZN2at6native29vectorized_elementwise_kernelILi8EZZZNS0_12prelu_kernelERNS_14TensorIteratorEENKUlvE_clEvENKUlvE1_clEvEUlN3c108BFloat16ES7_E_St5arrayIPcLm3EEEEviT0_T1_,comdat
.Lfunc_end42:
	.size	_ZN2at6native29vectorized_elementwise_kernelILi8EZZZNS0_12prelu_kernelERNS_14TensorIteratorEENKUlvE_clEvENKUlvE1_clEvEUlN3c108BFloat16ES7_E_St5arrayIPcLm3EEEEviT0_T1_, .Lfunc_end42-_ZN2at6native29vectorized_elementwise_kernelILi8EZZZNS0_12prelu_kernelERNS_14TensorIteratorEENKUlvE_clEvENKUlvE1_clEvEUlN3c108BFloat16ES7_E_St5arrayIPcLm3EEEEviT0_T1_
                                        ; -- End function
	.set _ZN2at6native29vectorized_elementwise_kernelILi8EZZZNS0_12prelu_kernelERNS_14TensorIteratorEENKUlvE_clEvENKUlvE1_clEvEUlN3c108BFloat16ES7_E_St5arrayIPcLm3EEEEviT0_T1_.num_vgpr, 20
	.set _ZN2at6native29vectorized_elementwise_kernelILi8EZZZNS0_12prelu_kernelERNS_14TensorIteratorEENKUlvE_clEvENKUlvE1_clEvEUlN3c108BFloat16ES7_E_St5arrayIPcLm3EEEEviT0_T1_.num_agpr, 0
	.set _ZN2at6native29vectorized_elementwise_kernelILi8EZZZNS0_12prelu_kernelERNS_14TensorIteratorEENKUlvE_clEvENKUlvE1_clEvEUlN3c108BFloat16ES7_E_St5arrayIPcLm3EEEEviT0_T1_.numbered_sgpr, 13
	.set _ZN2at6native29vectorized_elementwise_kernelILi8EZZZNS0_12prelu_kernelERNS_14TensorIteratorEENKUlvE_clEvENKUlvE1_clEvEUlN3c108BFloat16ES7_E_St5arrayIPcLm3EEEEviT0_T1_.num_named_barrier, 0
	.set _ZN2at6native29vectorized_elementwise_kernelILi8EZZZNS0_12prelu_kernelERNS_14TensorIteratorEENKUlvE_clEvENKUlvE1_clEvEUlN3c108BFloat16ES7_E_St5arrayIPcLm3EEEEviT0_T1_.private_seg_size, 0
	.set _ZN2at6native29vectorized_elementwise_kernelILi8EZZZNS0_12prelu_kernelERNS_14TensorIteratorEENKUlvE_clEvENKUlvE1_clEvEUlN3c108BFloat16ES7_E_St5arrayIPcLm3EEEEviT0_T1_.uses_vcc, 1
	.set _ZN2at6native29vectorized_elementwise_kernelILi8EZZZNS0_12prelu_kernelERNS_14TensorIteratorEENKUlvE_clEvENKUlvE1_clEvEUlN3c108BFloat16ES7_E_St5arrayIPcLm3EEEEviT0_T1_.uses_flat_scratch, 0
	.set _ZN2at6native29vectorized_elementwise_kernelILi8EZZZNS0_12prelu_kernelERNS_14TensorIteratorEENKUlvE_clEvENKUlvE1_clEvEUlN3c108BFloat16ES7_E_St5arrayIPcLm3EEEEviT0_T1_.has_dyn_sized_stack, 0
	.set _ZN2at6native29vectorized_elementwise_kernelILi8EZZZNS0_12prelu_kernelERNS_14TensorIteratorEENKUlvE_clEvENKUlvE1_clEvEUlN3c108BFloat16ES7_E_St5arrayIPcLm3EEEEviT0_T1_.has_recursion, 0
	.set _ZN2at6native29vectorized_elementwise_kernelILi8EZZZNS0_12prelu_kernelERNS_14TensorIteratorEENKUlvE_clEvENKUlvE1_clEvEUlN3c108BFloat16ES7_E_St5arrayIPcLm3EEEEviT0_T1_.has_indirect_call, 0
	.section	.AMDGPU.csdata,"",@progbits
; Kernel info:
; codeLenInByte = 3180
; TotalNumSgprs: 15
; NumVgprs: 20
; ScratchSize: 0
; MemoryBound: 0
; FloatMode: 240
; IeeeMode: 1
; LDSByteSize: 0 bytes/workgroup (compile time only)
; SGPRBlocks: 0
; VGPRBlocks: 1
; NumSGPRsForWavesPerEU: 15
; NumVGPRsForWavesPerEU: 20
; NamedBarCnt: 0
; Occupancy: 16
; WaveLimiterHint : 0
; COMPUTE_PGM_RSRC2:SCRATCH_EN: 0
; COMPUTE_PGM_RSRC2:USER_SGPR: 2
; COMPUTE_PGM_RSRC2:TRAP_HANDLER: 0
; COMPUTE_PGM_RSRC2:TGID_X_EN: 1
; COMPUTE_PGM_RSRC2:TGID_Y_EN: 0
; COMPUTE_PGM_RSRC2:TGID_Z_EN: 0
; COMPUTE_PGM_RSRC2:TIDIG_COMP_CNT: 0
	.section	.text._ZN2at6native29vectorized_elementwise_kernelILi4EZZZNS0_12prelu_kernelERNS_14TensorIteratorEENKUlvE_clEvENKUlvE1_clEvEUlN3c108BFloat16ES7_E_St5arrayIPcLm3EEEEviT0_T1_,"axG",@progbits,_ZN2at6native29vectorized_elementwise_kernelILi4EZZZNS0_12prelu_kernelERNS_14TensorIteratorEENKUlvE_clEvENKUlvE1_clEvEUlN3c108BFloat16ES7_E_St5arrayIPcLm3EEEEviT0_T1_,comdat
	.globl	_ZN2at6native29vectorized_elementwise_kernelILi4EZZZNS0_12prelu_kernelERNS_14TensorIteratorEENKUlvE_clEvENKUlvE1_clEvEUlN3c108BFloat16ES7_E_St5arrayIPcLm3EEEEviT0_T1_ ; -- Begin function _ZN2at6native29vectorized_elementwise_kernelILi4EZZZNS0_12prelu_kernelERNS_14TensorIteratorEENKUlvE_clEvENKUlvE1_clEvEUlN3c108BFloat16ES7_E_St5arrayIPcLm3EEEEviT0_T1_
	.p2align	8
	.type	_ZN2at6native29vectorized_elementwise_kernelILi4EZZZNS0_12prelu_kernelERNS_14TensorIteratorEENKUlvE_clEvENKUlvE1_clEvEUlN3c108BFloat16ES7_E_St5arrayIPcLm3EEEEviT0_T1_,@function
_ZN2at6native29vectorized_elementwise_kernelILi4EZZZNS0_12prelu_kernelERNS_14TensorIteratorEENKUlvE_clEvENKUlvE1_clEvEUlN3c108BFloat16ES7_E_St5arrayIPcLm3EEEEviT0_T1_: ; @_ZN2at6native29vectorized_elementwise_kernelILi4EZZZNS0_12prelu_kernelERNS_14TensorIteratorEENKUlvE_clEvENKUlvE1_clEvEUlN3c108BFloat16ES7_E_St5arrayIPcLm3EEEEviT0_T1_
; %bb.0:
	s_clause 0x2
	s_load_b32 s3, s[0:1], 0x0
	s_load_b128 s[4:7], s[0:1], 0x8
	s_load_b64 s[8:9], s[0:1], 0x18
	s_wait_xcnt 0x0
	s_bfe_u32 s0, ttmp6, 0x4000c
	s_and_b32 s1, ttmp6, 15
	s_add_co_i32 s0, s0, 1
	s_getreg_b32 s2, hwreg(HW_REG_IB_STS2, 6, 4)
	s_mul_i32 s0, ttmp9, s0
	s_delay_alu instid0(SALU_CYCLE_1) | instskip(SKIP_2) | instid1(SALU_CYCLE_1)
	s_add_co_i32 s1, s1, s0
	s_cmp_eq_u32 s2, 0
	s_cselect_b32 s0, ttmp9, s1
	s_lshl_b32 s2, s0, 11
	s_wait_kmcnt 0x0
	s_sub_co_i32 s10, s3, s2
	s_mov_b32 s3, -1
	s_cmp_gt_i32 s10, 0x7ff
	s_cbranch_scc0 .LBB43_18
; %bb.1:
	s_ashr_i32 s3, s2, 31
	s_delay_alu instid0(SALU_CYCLE_1)
	s_lshl_b64 s[0:1], s[2:3], 1
	s_mov_b32 s3, exec_lo
	s_add_nc_u64 s[12:13], s[6:7], s[0:1]
	s_add_nc_u64 s[14:15], s[8:9], s[0:1]
	s_clause 0x3
	global_load_b64 v[8:9], v0, s[12:13] scale_offset
	global_load_b64 v[6:7], v0, s[12:13] offset:2048 scale_offset
	global_load_b64 v[10:11], v0, s[14:15] scale_offset
	global_load_b64 v[4:5], v0, s[14:15] offset:2048 scale_offset
	s_wait_loadcnt 0x3
	v_mov_b64_e32 v[2:3], v[8:9]
	v_lshlrev_b32_e32 v1, 16, v8
	s_wait_xcnt 0x0
	s_delay_alu instid0(VALU_DEP_1)
	v_cmpx_nlt_f32_e32 0, v1
	s_cbranch_execz .LBB43_3
; %bb.2:
	s_wait_loadcnt 0x1
	v_lshlrev_b32_e32 v2, 16, v10
	s_delay_alu instid0(VALU_DEP_1) | instskip(NEXT) | instid1(VALU_DEP_1)
	v_mul_f32_e32 v1, v1, v2
	v_bfe_u32 v2, v1, 16, 1
	s_delay_alu instid0(VALU_DEP_1) | instskip(NEXT) | instid1(VALU_DEP_1)
	v_add3_u32 v2, v1, v2, 0x7fff
	v_lshrrev_b32_e32 v2, 16, v2
	v_cmp_o_f32_e32 vcc_lo, v1, v1
	s_delay_alu instid0(VALU_DEP_2)
	v_cndmask_b32_e32 v2, 0x7fc0, v2, vcc_lo
.LBB43_3:
	s_or_b32 exec_lo, exec_lo, s3
	v_and_b32_e32 v1, 0xffff0000, v8
	v_lshrrev_b32_e32 v8, 16, v8
	s_mov_b32 s3, exec_lo
	s_delay_alu instid0(VALU_DEP_2)
	v_cmpx_nlt_f32_e32 0, v1
	s_cbranch_execz .LBB43_5
; %bb.4:
	s_wait_loadcnt 0x1
	v_and_b32_e32 v3, 0xffff0000, v10
	s_delay_alu instid0(VALU_DEP_1) | instskip(NEXT) | instid1(VALU_DEP_1)
	v_mul_f32_e32 v1, v1, v3
	v_bfe_u32 v3, v1, 16, 1
	s_delay_alu instid0(VALU_DEP_1) | instskip(NEXT) | instid1(VALU_DEP_1)
	v_add3_u32 v3, v1, v3, 0x7fff
	v_lshrrev_b32_e32 v3, 16, v3
	v_cmp_o_f32_e32 vcc_lo, v1, v1
	s_delay_alu instid0(VALU_DEP_2)
	v_cndmask_b32_e32 v8, 0x7fc0, v3, vcc_lo
.LBB43_5:
	s_or_b32 exec_lo, exec_lo, s3
	s_wait_loadcnt 0x1
	v_dual_mov_b32 v10, v9 :: v_dual_lshlrev_b32 v1, 16, v9
	s_mov_b32 s3, exec_lo
	s_delay_alu instid0(VALU_DEP_1)
	v_cmpx_nlt_f32_e32 0, v1
	s_cbranch_execz .LBB43_7
; %bb.6:
	v_lshlrev_b32_e32 v3, 16, v11
	s_delay_alu instid0(VALU_DEP_1) | instskip(NEXT) | instid1(VALU_DEP_1)
	v_mul_f32_e32 v1, v1, v3
	v_bfe_u32 v3, v1, 16, 1
	s_delay_alu instid0(VALU_DEP_1) | instskip(NEXT) | instid1(VALU_DEP_1)
	v_add3_u32 v3, v1, v3, 0x7fff
	v_lshrrev_b32_e32 v3, 16, v3
	v_cmp_o_f32_e32 vcc_lo, v1, v1
	s_delay_alu instid0(VALU_DEP_2)
	v_cndmask_b32_e32 v10, 0x7fc0, v3, vcc_lo
.LBB43_7:
	s_or_b32 exec_lo, exec_lo, s3
	v_and_b32_e32 v1, 0xffff0000, v9
	v_lshrrev_b32_e32 v12, 16, v9
	s_mov_b32 s3, exec_lo
	s_delay_alu instid0(VALU_DEP_2)
	v_cmpx_nlt_f32_e32 0, v1
	s_cbranch_execz .LBB43_9
; %bb.8:
	v_and_b32_e32 v3, 0xffff0000, v11
	s_delay_alu instid0(VALU_DEP_1) | instskip(NEXT) | instid1(VALU_DEP_1)
	v_mul_f32_e32 v1, v1, v3
	v_bfe_u32 v3, v1, 16, 1
	s_delay_alu instid0(VALU_DEP_1) | instskip(NEXT) | instid1(VALU_DEP_1)
	v_add3_u32 v3, v1, v3, 0x7fff
	v_lshrrev_b32_e32 v3, 16, v3
	v_cmp_o_f32_e32 vcc_lo, v1, v1
	s_delay_alu instid0(VALU_DEP_2)
	v_cndmask_b32_e32 v12, 0x7fc0, v3, vcc_lo
.LBB43_9:
	s_or_b32 exec_lo, exec_lo, s3
	v_mov_b64_e32 v[14:15], v[6:7]
	v_lshlrev_b32_e32 v1, 16, v6
	s_mov_b32 s3, exec_lo
	s_delay_alu instid0(VALU_DEP_1)
	v_cmpx_nlt_f32_e32 0, v1
	s_cbranch_execz .LBB43_11
; %bb.10:
	s_wait_loadcnt 0x0
	v_lshlrev_b32_e32 v3, 16, v4
	s_delay_alu instid0(VALU_DEP_1) | instskip(NEXT) | instid1(VALU_DEP_1)
	v_mul_f32_e32 v1, v1, v3
	v_bfe_u32 v3, v1, 16, 1
	s_delay_alu instid0(VALU_DEP_1) | instskip(NEXT) | instid1(VALU_DEP_1)
	v_add3_u32 v3, v1, v3, 0x7fff
	v_lshrrev_b32_e32 v3, 16, v3
	v_cmp_o_f32_e32 vcc_lo, v1, v1
	s_delay_alu instid0(VALU_DEP_2)
	v_cndmask_b32_e32 v14, 0x7fc0, v3, vcc_lo
.LBB43_11:
	s_or_b32 exec_lo, exec_lo, s3
	v_and_b32_e32 v1, 0xffff0000, v6
	v_lshrrev_b32_e32 v6, 16, v6
	s_mov_b32 s3, exec_lo
	s_delay_alu instid0(VALU_DEP_2)
	v_cmpx_nlt_f32_e32 0, v1
	s_cbranch_execz .LBB43_13
; %bb.12:
	s_wait_loadcnt 0x0
	v_and_b32_e32 v3, 0xffff0000, v4
	s_delay_alu instid0(VALU_DEP_1) | instskip(NEXT) | instid1(VALU_DEP_1)
	v_mul_f32_e32 v1, v1, v3
	v_bfe_u32 v3, v1, 16, 1
	s_delay_alu instid0(VALU_DEP_1) | instskip(NEXT) | instid1(VALU_DEP_1)
	v_add3_u32 v3, v1, v3, 0x7fff
	v_lshrrev_b32_e32 v3, 16, v3
	v_cmp_o_f32_e32 vcc_lo, v1, v1
	s_delay_alu instid0(VALU_DEP_2)
	v_cndmask_b32_e32 v6, 0x7fc0, v3, vcc_lo
.LBB43_13:
	s_or_b32 exec_lo, exec_lo, s3
	s_wait_loadcnt 0x0
	v_dual_mov_b32 v4, v7 :: v_dual_lshlrev_b32 v1, 16, v7
	s_mov_b32 s3, exec_lo
	s_delay_alu instid0(VALU_DEP_1)
	v_cmpx_nlt_f32_e32 0, v1
	s_cbranch_execz .LBB43_15
; %bb.14:
	v_lshlrev_b32_e32 v3, 16, v5
	s_delay_alu instid0(VALU_DEP_1) | instskip(NEXT) | instid1(VALU_DEP_1)
	v_mul_f32_e32 v1, v1, v3
	v_bfe_u32 v3, v1, 16, 1
	s_delay_alu instid0(VALU_DEP_1) | instskip(NEXT) | instid1(VALU_DEP_1)
	v_add3_u32 v3, v1, v3, 0x7fff
	v_lshrrev_b32_e32 v3, 16, v3
	v_cmp_o_f32_e32 vcc_lo, v1, v1
	s_delay_alu instid0(VALU_DEP_2)
	v_cndmask_b32_e32 v4, 0x7fc0, v3, vcc_lo
.LBB43_15:
	s_or_b32 exec_lo, exec_lo, s3
	v_and_b32_e32 v1, 0xffff0000, v7
	v_lshrrev_b32_e32 v16, 16, v7
	s_mov_b32 s3, 0
	s_mov_b32 s11, exec_lo
	s_delay_alu instid0(VALU_DEP_2)
	v_cmpx_nlt_f32_e32 0, v1
	s_cbranch_execz .LBB43_17
; %bb.16:
	v_and_b32_e32 v3, 0xffff0000, v5
	s_delay_alu instid0(VALU_DEP_1) | instskip(NEXT) | instid1(VALU_DEP_1)
	v_mul_f32_e32 v1, v1, v3
	v_bfe_u32 v3, v1, 16, 1
	s_delay_alu instid0(VALU_DEP_1) | instskip(NEXT) | instid1(VALU_DEP_1)
	v_add3_u32 v3, v1, v3, 0x7fff
	v_lshrrev_b32_e32 v3, 16, v3
	v_cmp_o_f32_e32 vcc_lo, v1, v1
	s_delay_alu instid0(VALU_DEP_2)
	v_cndmask_b32_e32 v16, 0x7fc0, v3, vcc_lo
.LBB43_17:
	s_or_b32 exec_lo, exec_lo, s11
	v_dual_lshlrev_b32 v1, 16, v6 :: v_dual_lshlrev_b32 v3, 16, v8
	v_and_b32_e32 v5, 0xffff, v10
	v_lshlrev_b32_e32 v6, 16, v12
	v_and_b32_e32 v4, 0xffff, v4
	v_lshlrev_b32_e32 v7, 16, v16
	v_and_or_b32 v2, 0xffff, v2, v3
	v_and_or_b32 v1, 0xffff, v14, v1
	v_or3_b32 v3, 0, v5, v6
	s_add_nc_u64 s[0:1], s[4:5], s[0:1]
	v_or3_b32 v5, 0, v4, v7
	v_or3_b32 v2, v2, 0, 0
	;; [unrolled: 1-line block ×3, first 2 shown]
	s_clause 0x1
	global_store_b64 v0, v[2:3], s[0:1] scale_offset
	global_store_b64 v0, v[4:5], s[0:1] offset:2048 scale_offset
.LBB43_18:
	s_and_b32 vcc_lo, exec_lo, s3
	s_cbranch_vccz .LBB43_73
; %bb.19:
	v_cmp_gt_i32_e32 vcc_lo, s10, v0
	v_dual_mov_b32 v17, 0 :: v_dual_mov_b32 v1, 0
	s_wait_xcnt 0x0
	v_dual_mov_b32 v4, 0 :: v_dual_bitop2_b32 v2, s2, v0 bitop3:0x54
	v_or_b32_e32 v3, 0x100, v0
	v_mov_b32_e32 v19, v0
	s_and_saveexec_b32 s0, vcc_lo
	s_cbranch_execz .LBB43_21
; %bb.20:
	s_clause 0x1
	global_load_u16 v5, v2, s[8:9] scale_offset
	global_load_u16 v4, v2, s[6:7] scale_offset
	v_or_b32_e32 v19, 0x100, v0
	s_wait_loadcnt 0x1
	v_lshlrev_b32_e32 v17, 16, v5
.LBB43_21:
	s_wait_xcnt 0x0
	s_or_b32 exec_lo, exec_lo, s0
	v_mov_b32_e32 v18, 0
	s_mov_b32 s1, exec_lo
	v_cmpx_gt_i32_e64 s10, v19
	s_cbranch_execz .LBB43_23
; %bb.22:
	v_add_nc_u32_e32 v5, s2, v19
	v_add_nc_u32_e32 v19, 0x100, v19
	s_clause 0x1
	global_load_u16 v6, v5, s[8:9] scale_offset
	global_load_u16 v1, v5, s[6:7] scale_offset
	s_wait_loadcnt 0x1
	v_lshlrev_b32_e32 v18, 16, v6
.LBB43_23:
	s_wait_xcnt 0x0
	s_or_b32 exec_lo, exec_lo, s1
	v_dual_mov_b32 v16, 0 :: v_dual_mov_b32 v5, 0
	v_mov_b32_e32 v6, 0
	s_mov_b32 s1, exec_lo
	v_cmpx_gt_i32_e64 s10, v19
	s_cbranch_execz .LBB43_25
; %bb.24:
	v_add_nc_u32_e32 v7, s2, v19
	v_add_nc_u32_e32 v19, 0x100, v19
	s_clause 0x1
	global_load_u16 v8, v7, s[8:9] scale_offset
	global_load_u16 v6, v7, s[6:7] scale_offset
	s_wait_loadcnt 0x1
	v_lshlrev_b32_e32 v16, 16, v8
.LBB43_25:
	s_wait_xcnt 0x0
	s_or_b32 exec_lo, exec_lo, s1
	v_mov_b32_e32 v15, 0
	s_mov_b32 s1, exec_lo
	v_cmpx_gt_i32_e64 s10, v19
	s_cbranch_execz .LBB43_27
; %bb.26:
	v_add_nc_u32_e32 v7, s2, v19
	v_add_nc_u32_e32 v19, 0x100, v19
	s_clause 0x1
	global_load_u16 v8, v7, s[8:9] scale_offset
	global_load_u16 v5, v7, s[6:7] scale_offset
	s_wait_loadcnt 0x1
	v_lshlrev_b32_e32 v15, 16, v8
.LBB43_27:
	s_wait_xcnt 0x0
	s_or_b32 exec_lo, exec_lo, s1
	v_dual_mov_b32 v14, 0 :: v_dual_mov_b32 v7, 0
	v_mov_b32_e32 v8, 0
	s_mov_b32 s1, exec_lo
	v_cmpx_gt_i32_e64 s10, v19
	s_cbranch_execz .LBB43_29
; %bb.28:
	v_add_nc_u32_e32 v9, s2, v19
	v_add_nc_u32_e32 v19, 0x100, v19
	s_clause 0x1
	global_load_u16 v10, v9, s[8:9] scale_offset
	global_load_u16 v8, v9, s[6:7] scale_offset
	s_wait_loadcnt 0x1
	v_lshlrev_b32_e32 v14, 16, v10
.LBB43_29:
	;; [unrolled: 31-line block ×3, first 2 shown]
	s_wait_xcnt 0x0
	s_or_b32 exec_lo, exec_lo, s1
	v_mov_b32_e32 v11, 0
	s_mov_b32 s1, exec_lo
	v_cmpx_gt_i32_e64 s10, v19
	s_cbranch_execnz .LBB43_36
; %bb.34:
	s_or_b32 exec_lo, exec_lo, s1
	s_and_saveexec_b32 s1, vcc_lo
	s_cbranch_execnz .LBB43_37
.LBB43_35:
	s_or_b32 exec_lo, exec_lo, s1
	s_delay_alu instid0(SALU_CYCLE_1)
	s_mov_b32 s1, exec_lo
	v_cmpx_gt_i32_e64 s10, v3
	s_cbranch_execnz .LBB43_40
	s_branch .LBB43_43
.LBB43_36:
	v_add_nc_u32_e32 v11, s2, v19
	s_clause 0x1
	global_load_u16 v19, v11, s[8:9] scale_offset
	global_load_u16 v9, v11, s[6:7] scale_offset
	s_wait_loadcnt 0x1
	s_wait_xcnt 0x0
	v_lshlrev_b32_e32 v11, 16, v19
	s_or_b32 exec_lo, exec_lo, s1
	s_and_saveexec_b32 s1, vcc_lo
	s_cbranch_execz .LBB43_35
.LBB43_37:
	s_wait_loadcnt 0x0
	v_lshlrev_b32_e32 v19, 16, v4
	s_mov_b32 s3, exec_lo
	s_delay_alu instid0(VALU_DEP_1)
	v_cmpx_nlt_f32_e32 0, v19
; %bb.38:
	v_mul_f32_e32 v4, v17, v19
	s_delay_alu instid0(VALU_DEP_1) | instskip(NEXT) | instid1(VALU_DEP_1)
	v_bfe_u32 v17, v4, 16, 1
	v_add3_u32 v17, v4, v17, 0x7fff
	s_delay_alu instid0(VALU_DEP_1) | instskip(SKIP_1) | instid1(VALU_DEP_1)
	v_lshrrev_b32_e32 v17, 16, v17
	v_cmp_o_f32_e64 s0, v4, v4
	v_cndmask_b32_e64 v4, 0x7fc0, v17, s0
; %bb.39:
	s_or_b32 exec_lo, exec_lo, s3
	s_delay_alu instid0(SALU_CYCLE_1) | instskip(NEXT) | instid1(SALU_CYCLE_1)
	s_or_b32 exec_lo, exec_lo, s1
	s_mov_b32 s1, exec_lo
	v_cmpx_gt_i32_e64 s10, v3
	s_cbranch_execz .LBB43_43
.LBB43_40:
	s_wait_loadcnt 0x0
	v_lshlrev_b32_e32 v17, 16, v1
	s_mov_b32 s3, exec_lo
	s_delay_alu instid0(VALU_DEP_1)
	v_cmpx_nlt_f32_e32 0, v17
; %bb.41:
	v_mul_f32_e32 v1, v18, v17
	s_delay_alu instid0(VALU_DEP_1) | instskip(NEXT) | instid1(VALU_DEP_1)
	v_bfe_u32 v17, v1, 16, 1
	v_add3_u32 v17, v1, v17, 0x7fff
	s_delay_alu instid0(VALU_DEP_1) | instskip(SKIP_1) | instid1(VALU_DEP_1)
	v_lshrrev_b32_e32 v17, 16, v17
	v_cmp_o_f32_e64 s0, v1, v1
	v_cndmask_b32_e64 v1, 0x7fc0, v17, s0
; %bb.42:
	s_or_b32 exec_lo, exec_lo, s3
.LBB43_43:
	s_delay_alu instid0(SALU_CYCLE_1) | instskip(SKIP_2) | instid1(VALU_DEP_1)
	s_or_b32 exec_lo, exec_lo, s1
	v_or_b32_e32 v17, 0x200, v0
	s_mov_b32 s1, exec_lo
	v_cmpx_gt_i32_e64 s10, v17
	s_cbranch_execz .LBB43_47
; %bb.44:
	s_wait_loadcnt 0x0
	v_lshlrev_b32_e32 v17, 16, v6
	s_mov_b32 s3, exec_lo
	s_delay_alu instid0(VALU_DEP_1)
	v_cmpx_nlt_f32_e32 0, v17
; %bb.45:
	v_mul_f32_e32 v6, v16, v17
	s_delay_alu instid0(VALU_DEP_1) | instskip(NEXT) | instid1(VALU_DEP_1)
	v_bfe_u32 v16, v6, 16, 1
	v_add3_u32 v16, v6, v16, 0x7fff
	s_delay_alu instid0(VALU_DEP_1) | instskip(SKIP_1) | instid1(VALU_DEP_1)
	v_lshrrev_b32_e32 v16, 16, v16
	v_cmp_o_f32_e64 s0, v6, v6
	v_cndmask_b32_e64 v6, 0x7fc0, v16, s0
; %bb.46:
	s_or_b32 exec_lo, exec_lo, s3
.LBB43_47:
	s_delay_alu instid0(SALU_CYCLE_1) | instskip(SKIP_2) | instid1(VALU_DEP_1)
	s_or_b32 exec_lo, exec_lo, s1
	v_or_b32_e32 v16, 0x300, v0
	s_mov_b32 s1, exec_lo
	v_cmpx_gt_i32_e64 s10, v16
	s_cbranch_execz .LBB43_51
; %bb.48:
	s_wait_loadcnt 0x0
	v_lshlrev_b32_e32 v16, 16, v5
	s_mov_b32 s3, exec_lo
	s_delay_alu instid0(VALU_DEP_1)
	v_cmpx_nlt_f32_e32 0, v16
; %bb.49:
	v_mul_f32_e32 v5, v15, v16
	s_delay_alu instid0(VALU_DEP_1) | instskip(NEXT) | instid1(VALU_DEP_1)
	v_bfe_u32 v15, v5, 16, 1
	v_add3_u32 v15, v5, v15, 0x7fff
	s_delay_alu instid0(VALU_DEP_1) | instskip(SKIP_1) | instid1(VALU_DEP_1)
	v_lshrrev_b32_e32 v15, 16, v15
	v_cmp_o_f32_e64 s0, v5, v5
	v_cndmask_b32_e64 v5, 0x7fc0, v15, s0
; %bb.50:
	s_or_b32 exec_lo, exec_lo, s3
.LBB43_51:
	;; [unrolled: 24-line block ×5, first 2 shown]
	s_delay_alu instid0(SALU_CYCLE_1) | instskip(SKIP_2) | instid1(VALU_DEP_1)
	s_or_b32 exec_lo, exec_lo, s1
	v_or_b32_e32 v12, 0x700, v0
	s_mov_b32 s1, exec_lo
	v_cmpx_gt_i32_e64 s10, v12
	s_cbranch_execnz .LBB43_74
; %bb.64:
	s_or_b32 exec_lo, exec_lo, s1
	s_and_saveexec_b32 s0, vcc_lo
	s_delay_alu instid0(SALU_CYCLE_1)
	s_xor_b32 s0, exec_lo, s0
	s_cbranch_execnz .LBB43_77
.LBB43_65:
	s_or_b32 exec_lo, exec_lo, s0
	s_delay_alu instid0(SALU_CYCLE_1)
	s_mov_b32 s0, exec_lo
	v_cmpx_gt_i32_e64 s10, v0
	s_cbranch_execnz .LBB43_78
.LBB43_66:
	s_or_b32 exec_lo, exec_lo, s0
	s_delay_alu instid0(SALU_CYCLE_1)
	s_mov_b32 s0, exec_lo
	v_cmpx_gt_i32_e64 s10, v0
	s_cbranch_execnz .LBB43_79
.LBB43_67:
	s_or_b32 exec_lo, exec_lo, s0
	s_delay_alu instid0(SALU_CYCLE_1)
	s_mov_b32 s0, exec_lo
	v_cmpx_gt_i32_e64 s10, v0
	s_cbranch_execnz .LBB43_80
.LBB43_68:
	s_or_b32 exec_lo, exec_lo, s0
	s_delay_alu instid0(SALU_CYCLE_1)
	s_mov_b32 s0, exec_lo
	v_cmpx_gt_i32_e64 s10, v0
	s_cbranch_execnz .LBB43_81
.LBB43_69:
	s_or_b32 exec_lo, exec_lo, s0
	s_delay_alu instid0(SALU_CYCLE_1)
	s_mov_b32 s0, exec_lo
	v_cmpx_gt_i32_e64 s10, v0
	s_cbranch_execnz .LBB43_82
.LBB43_70:
	s_or_b32 exec_lo, exec_lo, s0
	s_delay_alu instid0(SALU_CYCLE_1)
	s_mov_b32 s0, exec_lo
	v_cmpx_gt_i32_e64 s10, v0
	s_cbranch_execnz .LBB43_83
.LBB43_71:
	s_or_b32 exec_lo, exec_lo, s0
	s_delay_alu instid0(SALU_CYCLE_1)
	s_mov_b32 s0, exec_lo
	v_cmpx_gt_i32_e64 s10, v0
	s_cbranch_execz .LBB43_73
.LBB43_72:
	v_add_nc_u32_e32 v0, s2, v0
	s_wait_loadcnt 0x0
	global_store_b16 v0, v9, s[4:5] scale_offset
.LBB43_73:
	s_endpgm
.LBB43_74:
	s_wait_loadcnt 0x0
	v_lshlrev_b32_e32 v12, 16, v9
	s_mov_b32 s3, exec_lo
	s_delay_alu instid0(VALU_DEP_1)
	v_cmpx_nlt_f32_e32 0, v12
; %bb.75:
	v_mul_f32_e32 v9, v11, v12
	s_delay_alu instid0(VALU_DEP_1) | instskip(NEXT) | instid1(VALU_DEP_1)
	v_bfe_u32 v11, v9, 16, 1
	v_add3_u32 v11, v9, v11, 0x7fff
	s_delay_alu instid0(VALU_DEP_1) | instskip(SKIP_1) | instid1(VALU_DEP_1)
	v_lshrrev_b32_e32 v11, 16, v11
	v_cmp_o_f32_e64 s0, v9, v9
	v_cndmask_b32_e64 v9, 0x7fc0, v11, s0
; %bb.76:
	s_or_b32 exec_lo, exec_lo, s3
	s_delay_alu instid0(SALU_CYCLE_1) | instskip(SKIP_1) | instid1(SALU_CYCLE_1)
	s_or_b32 exec_lo, exec_lo, s1
	s_and_saveexec_b32 s0, vcc_lo
	s_xor_b32 s0, exec_lo, s0
	s_cbranch_execz .LBB43_65
.LBB43_77:
	v_mov_b32_e32 v0, v3
	s_wait_loadcnt 0x0
	global_store_b16 v2, v4, s[4:5] scale_offset
	s_wait_xcnt 0x0
	s_or_b32 exec_lo, exec_lo, s0
	s_delay_alu instid0(SALU_CYCLE_1)
	s_mov_b32 s0, exec_lo
	v_cmpx_gt_i32_e64 s10, v0
	s_cbranch_execz .LBB43_66
.LBB43_78:
	v_add_nc_u32_e32 v2, s2, v0
	v_add_nc_u32_e32 v0, 0x100, v0
	s_wait_loadcnt 0x0
	global_store_b16 v2, v1, s[4:5] scale_offset
	s_wait_xcnt 0x0
	s_or_b32 exec_lo, exec_lo, s0
	s_delay_alu instid0(SALU_CYCLE_1)
	s_mov_b32 s0, exec_lo
	v_cmpx_gt_i32_e64 s10, v0
	s_cbranch_execz .LBB43_67
.LBB43_79:
	s_wait_loadcnt 0x0
	v_add_nc_u32_e32 v1, s2, v0
	v_add_nc_u32_e32 v0, 0x100, v0
	global_store_b16 v1, v6, s[4:5] scale_offset
	s_wait_xcnt 0x0
	s_or_b32 exec_lo, exec_lo, s0
	s_delay_alu instid0(SALU_CYCLE_1)
	s_mov_b32 s0, exec_lo
	v_cmpx_gt_i32_e64 s10, v0
	s_cbranch_execz .LBB43_68
.LBB43_80:
	s_wait_loadcnt 0x0
	v_add_nc_u32_e32 v1, s2, v0
	v_add_nc_u32_e32 v0, 0x100, v0
	global_store_b16 v1, v5, s[4:5] scale_offset
	s_wait_xcnt 0x0
	s_or_b32 exec_lo, exec_lo, s0
	s_delay_alu instid0(SALU_CYCLE_1)
	s_mov_b32 s0, exec_lo
	v_cmpx_gt_i32_e64 s10, v0
	s_cbranch_execz .LBB43_69
.LBB43_81:
	s_wait_loadcnt 0x0
	v_add_nc_u32_e32 v1, s2, v0
	v_add_nc_u32_e32 v0, 0x100, v0
	global_store_b16 v1, v8, s[4:5] scale_offset
	s_wait_xcnt 0x0
	s_or_b32 exec_lo, exec_lo, s0
	s_delay_alu instid0(SALU_CYCLE_1)
	s_mov_b32 s0, exec_lo
	v_cmpx_gt_i32_e64 s10, v0
	s_cbranch_execz .LBB43_70
.LBB43_82:
	s_wait_loadcnt 0x0
	v_add_nc_u32_e32 v1, s2, v0
	v_add_nc_u32_e32 v0, 0x100, v0
	global_store_b16 v1, v7, s[4:5] scale_offset
	s_wait_xcnt 0x0
	s_or_b32 exec_lo, exec_lo, s0
	s_delay_alu instid0(SALU_CYCLE_1)
	s_mov_b32 s0, exec_lo
	v_cmpx_gt_i32_e64 s10, v0
	s_cbranch_execz .LBB43_71
.LBB43_83:
	s_wait_loadcnt 0x0
	v_add_nc_u32_e32 v1, s2, v0
	v_add_nc_u32_e32 v0, 0x100, v0
	global_store_b16 v1, v10, s[4:5] scale_offset
	s_wait_xcnt 0x0
	s_or_b32 exec_lo, exec_lo, s0
	s_delay_alu instid0(SALU_CYCLE_1)
	s_mov_b32 s0, exec_lo
	v_cmpx_gt_i32_e64 s10, v0
	s_cbranch_execnz .LBB43_72
	s_branch .LBB43_73
	.section	.rodata,"a",@progbits
	.p2align	6, 0x0
	.amdhsa_kernel _ZN2at6native29vectorized_elementwise_kernelILi4EZZZNS0_12prelu_kernelERNS_14TensorIteratorEENKUlvE_clEvENKUlvE1_clEvEUlN3c108BFloat16ES7_E_St5arrayIPcLm3EEEEviT0_T1_
		.amdhsa_group_segment_fixed_size 0
		.amdhsa_private_segment_fixed_size 0
		.amdhsa_kernarg_size 32
		.amdhsa_user_sgpr_count 2
		.amdhsa_user_sgpr_dispatch_ptr 0
		.amdhsa_user_sgpr_queue_ptr 0
		.amdhsa_user_sgpr_kernarg_segment_ptr 1
		.amdhsa_user_sgpr_dispatch_id 0
		.amdhsa_user_sgpr_kernarg_preload_length 0
		.amdhsa_user_sgpr_kernarg_preload_offset 0
		.amdhsa_user_sgpr_private_segment_size 0
		.amdhsa_wavefront_size32 1
		.amdhsa_uses_dynamic_stack 0
		.amdhsa_enable_private_segment 0
		.amdhsa_system_sgpr_workgroup_id_x 1
		.amdhsa_system_sgpr_workgroup_id_y 0
		.amdhsa_system_sgpr_workgroup_id_z 0
		.amdhsa_system_sgpr_workgroup_info 0
		.amdhsa_system_vgpr_workitem_id 0
		.amdhsa_next_free_vgpr 20
		.amdhsa_next_free_sgpr 16
		.amdhsa_named_barrier_count 0
		.amdhsa_reserve_vcc 1
		.amdhsa_float_round_mode_32 0
		.amdhsa_float_round_mode_16_64 0
		.amdhsa_float_denorm_mode_32 3
		.amdhsa_float_denorm_mode_16_64 3
		.amdhsa_fp16_overflow 0
		.amdhsa_memory_ordered 1
		.amdhsa_forward_progress 1
		.amdhsa_inst_pref_size 26
		.amdhsa_round_robin_scheduling 0
		.amdhsa_exception_fp_ieee_invalid_op 0
		.amdhsa_exception_fp_denorm_src 0
		.amdhsa_exception_fp_ieee_div_zero 0
		.amdhsa_exception_fp_ieee_overflow 0
		.amdhsa_exception_fp_ieee_underflow 0
		.amdhsa_exception_fp_ieee_inexact 0
		.amdhsa_exception_int_div_zero 0
	.end_amdhsa_kernel
	.section	.text._ZN2at6native29vectorized_elementwise_kernelILi4EZZZNS0_12prelu_kernelERNS_14TensorIteratorEENKUlvE_clEvENKUlvE1_clEvEUlN3c108BFloat16ES7_E_St5arrayIPcLm3EEEEviT0_T1_,"axG",@progbits,_ZN2at6native29vectorized_elementwise_kernelILi4EZZZNS0_12prelu_kernelERNS_14TensorIteratorEENKUlvE_clEvENKUlvE1_clEvEUlN3c108BFloat16ES7_E_St5arrayIPcLm3EEEEviT0_T1_,comdat
.Lfunc_end43:
	.size	_ZN2at6native29vectorized_elementwise_kernelILi4EZZZNS0_12prelu_kernelERNS_14TensorIteratorEENKUlvE_clEvENKUlvE1_clEvEUlN3c108BFloat16ES7_E_St5arrayIPcLm3EEEEviT0_T1_, .Lfunc_end43-_ZN2at6native29vectorized_elementwise_kernelILi4EZZZNS0_12prelu_kernelERNS_14TensorIteratorEENKUlvE_clEvENKUlvE1_clEvEUlN3c108BFloat16ES7_E_St5arrayIPcLm3EEEEviT0_T1_
                                        ; -- End function
	.set _ZN2at6native29vectorized_elementwise_kernelILi4EZZZNS0_12prelu_kernelERNS_14TensorIteratorEENKUlvE_clEvENKUlvE1_clEvEUlN3c108BFloat16ES7_E_St5arrayIPcLm3EEEEviT0_T1_.num_vgpr, 20
	.set _ZN2at6native29vectorized_elementwise_kernelILi4EZZZNS0_12prelu_kernelERNS_14TensorIteratorEENKUlvE_clEvENKUlvE1_clEvEUlN3c108BFloat16ES7_E_St5arrayIPcLm3EEEEviT0_T1_.num_agpr, 0
	.set _ZN2at6native29vectorized_elementwise_kernelILi4EZZZNS0_12prelu_kernelERNS_14TensorIteratorEENKUlvE_clEvENKUlvE1_clEvEUlN3c108BFloat16ES7_E_St5arrayIPcLm3EEEEviT0_T1_.numbered_sgpr, 16
	.set _ZN2at6native29vectorized_elementwise_kernelILi4EZZZNS0_12prelu_kernelERNS_14TensorIteratorEENKUlvE_clEvENKUlvE1_clEvEUlN3c108BFloat16ES7_E_St5arrayIPcLm3EEEEviT0_T1_.num_named_barrier, 0
	.set _ZN2at6native29vectorized_elementwise_kernelILi4EZZZNS0_12prelu_kernelERNS_14TensorIteratorEENKUlvE_clEvENKUlvE1_clEvEUlN3c108BFloat16ES7_E_St5arrayIPcLm3EEEEviT0_T1_.private_seg_size, 0
	.set _ZN2at6native29vectorized_elementwise_kernelILi4EZZZNS0_12prelu_kernelERNS_14TensorIteratorEENKUlvE_clEvENKUlvE1_clEvEUlN3c108BFloat16ES7_E_St5arrayIPcLm3EEEEviT0_T1_.uses_vcc, 1
	.set _ZN2at6native29vectorized_elementwise_kernelILi4EZZZNS0_12prelu_kernelERNS_14TensorIteratorEENKUlvE_clEvENKUlvE1_clEvEUlN3c108BFloat16ES7_E_St5arrayIPcLm3EEEEviT0_T1_.uses_flat_scratch, 0
	.set _ZN2at6native29vectorized_elementwise_kernelILi4EZZZNS0_12prelu_kernelERNS_14TensorIteratorEENKUlvE_clEvENKUlvE1_clEvEUlN3c108BFloat16ES7_E_St5arrayIPcLm3EEEEviT0_T1_.has_dyn_sized_stack, 0
	.set _ZN2at6native29vectorized_elementwise_kernelILi4EZZZNS0_12prelu_kernelERNS_14TensorIteratorEENKUlvE_clEvENKUlvE1_clEvEUlN3c108BFloat16ES7_E_St5arrayIPcLm3EEEEviT0_T1_.has_recursion, 0
	.set _ZN2at6native29vectorized_elementwise_kernelILi4EZZZNS0_12prelu_kernelERNS_14TensorIteratorEENKUlvE_clEvENKUlvE1_clEvEUlN3c108BFloat16ES7_E_St5arrayIPcLm3EEEEviT0_T1_.has_indirect_call, 0
	.section	.AMDGPU.csdata,"",@progbits
; Kernel info:
; codeLenInByte = 3220
; TotalNumSgprs: 18
; NumVgprs: 20
; ScratchSize: 0
; MemoryBound: 0
; FloatMode: 240
; IeeeMode: 1
; LDSByteSize: 0 bytes/workgroup (compile time only)
; SGPRBlocks: 0
; VGPRBlocks: 1
; NumSGPRsForWavesPerEU: 18
; NumVGPRsForWavesPerEU: 20
; NamedBarCnt: 0
; Occupancy: 16
; WaveLimiterHint : 1
; COMPUTE_PGM_RSRC2:SCRATCH_EN: 0
; COMPUTE_PGM_RSRC2:USER_SGPR: 2
; COMPUTE_PGM_RSRC2:TRAP_HANDLER: 0
; COMPUTE_PGM_RSRC2:TGID_X_EN: 1
; COMPUTE_PGM_RSRC2:TGID_Y_EN: 0
; COMPUTE_PGM_RSRC2:TGID_Z_EN: 0
; COMPUTE_PGM_RSRC2:TIDIG_COMP_CNT: 0
	.section	.text._ZN2at6native29vectorized_elementwise_kernelILi2EZZZNS0_12prelu_kernelERNS_14TensorIteratorEENKUlvE_clEvENKUlvE1_clEvEUlN3c108BFloat16ES7_E_St5arrayIPcLm3EEEEviT0_T1_,"axG",@progbits,_ZN2at6native29vectorized_elementwise_kernelILi2EZZZNS0_12prelu_kernelERNS_14TensorIteratorEENKUlvE_clEvENKUlvE1_clEvEUlN3c108BFloat16ES7_E_St5arrayIPcLm3EEEEviT0_T1_,comdat
	.globl	_ZN2at6native29vectorized_elementwise_kernelILi2EZZZNS0_12prelu_kernelERNS_14TensorIteratorEENKUlvE_clEvENKUlvE1_clEvEUlN3c108BFloat16ES7_E_St5arrayIPcLm3EEEEviT0_T1_ ; -- Begin function _ZN2at6native29vectorized_elementwise_kernelILi2EZZZNS0_12prelu_kernelERNS_14TensorIteratorEENKUlvE_clEvENKUlvE1_clEvEUlN3c108BFloat16ES7_E_St5arrayIPcLm3EEEEviT0_T1_
	.p2align	8
	.type	_ZN2at6native29vectorized_elementwise_kernelILi2EZZZNS0_12prelu_kernelERNS_14TensorIteratorEENKUlvE_clEvENKUlvE1_clEvEUlN3c108BFloat16ES7_E_St5arrayIPcLm3EEEEviT0_T1_,@function
_ZN2at6native29vectorized_elementwise_kernelILi2EZZZNS0_12prelu_kernelERNS_14TensorIteratorEENKUlvE_clEvENKUlvE1_clEvEUlN3c108BFloat16ES7_E_St5arrayIPcLm3EEEEviT0_T1_: ; @_ZN2at6native29vectorized_elementwise_kernelILi2EZZZNS0_12prelu_kernelERNS_14TensorIteratorEENKUlvE_clEvENKUlvE1_clEvEUlN3c108BFloat16ES7_E_St5arrayIPcLm3EEEEviT0_T1_
; %bb.0:
	s_clause 0x2
	s_load_b32 s3, s[0:1], 0x0
	s_load_b128 s[4:7], s[0:1], 0x8
	s_load_b64 s[8:9], s[0:1], 0x18
	s_wait_xcnt 0x0
	s_bfe_u32 s0, ttmp6, 0x4000c
	s_and_b32 s1, ttmp6, 15
	s_add_co_i32 s0, s0, 1
	s_getreg_b32 s2, hwreg(HW_REG_IB_STS2, 6, 4)
	s_mul_i32 s0, ttmp9, s0
	s_delay_alu instid0(SALU_CYCLE_1) | instskip(SKIP_2) | instid1(SALU_CYCLE_1)
	s_add_co_i32 s1, s1, s0
	s_cmp_eq_u32 s2, 0
	s_cselect_b32 s0, ttmp9, s1
	s_lshl_b32 s2, s0, 11
	s_wait_kmcnt 0x0
	s_sub_co_i32 s10, s3, s2
	s_mov_b32 s3, -1
	s_cmp_gt_i32 s10, 0x7ff
	s_cbranch_scc0 .LBB44_18
; %bb.1:
	s_ashr_i32 s3, s2, 31
	s_delay_alu instid0(SALU_CYCLE_1)
	s_lshl_b64 s[0:1], s[2:3], 1
	s_mov_b32 s3, exec_lo
	s_add_nc_u64 s[12:13], s[6:7], s[0:1]
	s_add_nc_u64 s[14:15], s[8:9], s[0:1]
	s_clause 0x7
	global_load_b32 v4, v0, s[12:13] scale_offset
	global_load_b32 v8, v0, s[12:13] offset:1024 scale_offset
	global_load_b32 v7, v0, s[12:13] offset:2048 scale_offset
	;; [unrolled: 1-line block ×3, first 2 shown]
	global_load_b32 v5, v0, s[14:15] scale_offset
	global_load_b32 v9, v0, s[14:15] offset:1024 scale_offset
	global_load_b32 v6, v0, s[14:15] offset:2048 scale_offset
	;; [unrolled: 1-line block ×3, first 2 shown]
	s_wait_loadcnt 0x7
	v_lshlrev_b32_e32 v10, 16, v4
	v_and_b32_e32 v1, 0xffff, v4
	s_wait_xcnt 0x0
	s_delay_alu instid0(VALU_DEP_2)
	v_cmpx_nlt_f32_e32 0, v10
	s_cbranch_execz .LBB44_3
; %bb.2:
	s_wait_loadcnt 0x3
	v_lshlrev_b32_e32 v1, 16, v5
	s_delay_alu instid0(VALU_DEP_1) | instskip(NEXT) | instid1(VALU_DEP_1)
	v_mul_f32_e32 v1, v10, v1
	v_bfe_u32 v10, v1, 16, 1
	v_cmp_o_f32_e32 vcc_lo, v1, v1
	s_delay_alu instid0(VALU_DEP_2) | instskip(NEXT) | instid1(VALU_DEP_1)
	v_add3_u32 v10, v1, v10, 0x7fff
	v_lshrrev_b32_e32 v10, 16, v10
	s_delay_alu instid0(VALU_DEP_1)
	v_cndmask_b32_e32 v1, 0x7fc0, v10, vcc_lo
.LBB44_3:
	s_or_b32 exec_lo, exec_lo, s3
	v_and_b32_e32 v4, 0xffff0000, v4
	s_mov_b32 s3, exec_lo
	s_delay_alu instid0(VALU_DEP_1)
	v_cmpx_nlt_f32_e32 0, v4
	s_cbranch_execz .LBB44_5
; %bb.4:
	s_wait_loadcnt 0x3
	v_and_b32_e32 v5, 0xffff0000, v5
	s_delay_alu instid0(VALU_DEP_1) | instskip(NEXT) | instid1(VALU_DEP_1)
	v_mul_f32_e32 v4, v4, v5
	v_bfe_u32 v5, v4, 16, 1
	v_cmp_o_f32_e32 vcc_lo, v4, v4
	s_delay_alu instid0(VALU_DEP_2) | instskip(NEXT) | instid1(VALU_DEP_1)
	v_add3_u32 v5, v4, v5, 0x7fff
	v_and_b32_e32 v5, 0xffff0000, v5
	s_delay_alu instid0(VALU_DEP_1)
	v_cndmask_b32_e32 v4, 0x7fc00000, v5, vcc_lo
.LBB44_5:
	s_or_b32 exec_lo, exec_lo, s3
	s_wait_loadcnt 0x6
	v_lshlrev_b32_e32 v10, 16, v8
	s_wait_loadcnt 0x3
	v_and_b32_e32 v5, 0xffff, v8
	s_mov_b32 s3, exec_lo
	s_delay_alu instid0(VALU_DEP_2)
	v_cmpx_nlt_f32_e32 0, v10
	s_cbranch_execz .LBB44_7
; %bb.6:
	s_wait_loadcnt 0x2
	v_lshlrev_b32_e32 v5, 16, v9
	s_delay_alu instid0(VALU_DEP_1) | instskip(NEXT) | instid1(VALU_DEP_1)
	v_mul_f32_e32 v5, v10, v5
	v_bfe_u32 v10, v5, 16, 1
	v_cmp_o_f32_e32 vcc_lo, v5, v5
	s_delay_alu instid0(VALU_DEP_2) | instskip(NEXT) | instid1(VALU_DEP_1)
	v_add3_u32 v10, v5, v10, 0x7fff
	v_lshrrev_b32_e32 v10, 16, v10
	s_delay_alu instid0(VALU_DEP_1)
	v_cndmask_b32_e32 v5, 0x7fc0, v10, vcc_lo
.LBB44_7:
	s_or_b32 exec_lo, exec_lo, s3
	v_and_b32_e32 v8, 0xffff0000, v8
	s_mov_b32 s3, exec_lo
	s_delay_alu instid0(VALU_DEP_1)
	v_cmpx_nlt_f32_e32 0, v8
	s_cbranch_execz .LBB44_9
; %bb.8:
	s_wait_loadcnt 0x2
	v_and_b32_e32 v9, 0xffff0000, v9
	s_delay_alu instid0(VALU_DEP_1) | instskip(NEXT) | instid1(VALU_DEP_1)
	v_mul_f32_e32 v8, v8, v9
	v_bfe_u32 v9, v8, 16, 1
	v_cmp_o_f32_e32 vcc_lo, v8, v8
	s_delay_alu instid0(VALU_DEP_2) | instskip(NEXT) | instid1(VALU_DEP_1)
	v_add3_u32 v9, v8, v9, 0x7fff
	v_and_b32_e32 v9, 0xffff0000, v9
	s_delay_alu instid0(VALU_DEP_1)
	v_cndmask_b32_e32 v8, 0x7fc00000, v9, vcc_lo
.LBB44_9:
	s_or_b32 exec_lo, exec_lo, s3
	v_lshlrev_b32_e32 v10, 16, v7
	s_wait_loadcnt 0x2
	v_and_b32_e32 v9, 0xffff, v7
	s_mov_b32 s3, exec_lo
	s_delay_alu instid0(VALU_DEP_2)
	v_cmpx_nlt_f32_e32 0, v10
	s_cbranch_execz .LBB44_11
; %bb.10:
	s_wait_loadcnt 0x1
	v_lshlrev_b32_e32 v9, 16, v6
	s_delay_alu instid0(VALU_DEP_1) | instskip(NEXT) | instid1(VALU_DEP_1)
	v_mul_f32_e32 v9, v10, v9
	v_bfe_u32 v10, v9, 16, 1
	s_delay_alu instid0(VALU_DEP_1) | instskip(NEXT) | instid1(VALU_DEP_1)
	v_add3_u32 v10, v9, v10, 0x7fff
	v_lshrrev_b32_e32 v10, 16, v10
	v_cmp_o_f32_e32 vcc_lo, v9, v9
	s_delay_alu instid0(VALU_DEP_2)
	v_cndmask_b32_e32 v9, 0x7fc0, v10, vcc_lo
.LBB44_11:
	s_or_b32 exec_lo, exec_lo, s3
	v_and_b32_e32 v7, 0xffff0000, v7
	s_mov_b32 s3, exec_lo
	s_delay_alu instid0(VALU_DEP_1)
	v_cmpx_nlt_f32_e32 0, v7
	s_cbranch_execz .LBB44_13
; %bb.12:
	s_wait_loadcnt 0x1
	v_and_b32_e32 v6, 0xffff0000, v6
	s_delay_alu instid0(VALU_DEP_1) | instskip(NEXT) | instid1(VALU_DEP_1)
	v_mul_f32_e32 v6, v7, v6
	v_bfe_u32 v7, v6, 16, 1
	v_cmp_o_f32_e32 vcc_lo, v6, v6
	s_delay_alu instid0(VALU_DEP_2) | instskip(NEXT) | instid1(VALU_DEP_1)
	v_add3_u32 v7, v6, v7, 0x7fff
	v_and_b32_e32 v7, 0xffff0000, v7
	s_delay_alu instid0(VALU_DEP_1)
	v_cndmask_b32_e32 v7, 0x7fc00000, v7, vcc_lo
.LBB44_13:
	s_or_b32 exec_lo, exec_lo, s3
	v_lshlrev_b32_e32 v10, 16, v3
	s_wait_loadcnt 0x1
	v_and_b32_e32 v6, 0xffff, v3
	s_mov_b32 s3, exec_lo
	s_delay_alu instid0(VALU_DEP_2)
	v_cmpx_nlt_f32_e32 0, v10
	s_cbranch_execz .LBB44_15
; %bb.14:
	s_wait_loadcnt 0x0
	v_lshlrev_b32_e32 v6, 16, v2
	s_delay_alu instid0(VALU_DEP_1) | instskip(NEXT) | instid1(VALU_DEP_1)
	v_mul_f32_e32 v6, v10, v6
	v_bfe_u32 v10, v6, 16, 1
	v_cmp_o_f32_e32 vcc_lo, v6, v6
	s_delay_alu instid0(VALU_DEP_2) | instskip(NEXT) | instid1(VALU_DEP_1)
	v_add3_u32 v10, v6, v10, 0x7fff
	v_lshrrev_b32_e32 v10, 16, v10
	s_delay_alu instid0(VALU_DEP_1)
	v_cndmask_b32_e32 v6, 0x7fc0, v10, vcc_lo
.LBB44_15:
	s_or_b32 exec_lo, exec_lo, s3
	v_and_b32_e32 v3, 0xffff0000, v3
	s_mov_b32 s3, 0
	s_mov_b32 s11, exec_lo
	s_delay_alu instid0(VALU_DEP_1)
	v_cmpx_nlt_f32_e32 0, v3
	s_cbranch_execz .LBB44_17
; %bb.16:
	s_wait_loadcnt 0x0
	v_and_b32_e32 v2, 0xffff0000, v2
	s_delay_alu instid0(VALU_DEP_1) | instskip(NEXT) | instid1(VALU_DEP_1)
	v_mul_f32_e32 v2, v3, v2
	v_bfe_u32 v3, v2, 16, 1
	v_cmp_o_f32_e32 vcc_lo, v2, v2
	s_delay_alu instid0(VALU_DEP_2) | instskip(NEXT) | instid1(VALU_DEP_1)
	v_add3_u32 v3, v2, v3, 0x7fff
	v_and_b32_e32 v3, 0xffff0000, v3
	s_delay_alu instid0(VALU_DEP_1)
	v_cndmask_b32_e32 v3, 0x7fc00000, v3, vcc_lo
.LBB44_17:
	s_or_b32 exec_lo, exec_lo, s11
	v_or_b32_e32 v1, v4, v1
	v_or_b32_e32 v4, v8, v5
	s_wait_loadcnt 0x0
	v_or_b32_e32 v2, v7, v9
	v_or_b32_e32 v3, v3, v6
	s_add_nc_u64 s[0:1], s[4:5], s[0:1]
	s_clause 0x3
	global_store_b32 v0, v1, s[0:1] scale_offset
	global_store_b32 v0, v4, s[0:1] offset:1024 scale_offset
	global_store_b32 v0, v2, s[0:1] offset:2048 scale_offset
	;; [unrolled: 1-line block ×3, first 2 shown]
.LBB44_18:
	s_and_b32 vcc_lo, exec_lo, s3
	s_cbranch_vccz .LBB44_73
; %bb.19:
	v_cmp_gt_i32_e32 vcc_lo, s10, v0
	s_wait_xcnt 0x3
	v_dual_mov_b32 v17, 0 :: v_dual_mov_b32 v1, 0
	s_wait_xcnt 0x1
	v_dual_mov_b32 v4, 0 :: v_dual_bitop2_b32 v2, s2, v0 bitop3:0x54
	s_wait_xcnt 0x0
	v_or_b32_e32 v3, 0x100, v0
	v_mov_b32_e32 v19, v0
	s_and_saveexec_b32 s0, vcc_lo
	s_cbranch_execz .LBB44_21
; %bb.20:
	s_clause 0x1
	global_load_u16 v5, v2, s[8:9] scale_offset
	global_load_u16 v4, v2, s[6:7] scale_offset
	v_or_b32_e32 v19, 0x100, v0
	s_wait_loadcnt 0x1
	v_lshlrev_b32_e32 v17, 16, v5
.LBB44_21:
	s_wait_xcnt 0x0
	s_or_b32 exec_lo, exec_lo, s0
	v_mov_b32_e32 v18, 0
	s_mov_b32 s1, exec_lo
	v_cmpx_gt_i32_e64 s10, v19
	s_cbranch_execz .LBB44_23
; %bb.22:
	v_add_nc_u32_e32 v5, s2, v19
	v_add_nc_u32_e32 v19, 0x100, v19
	s_clause 0x1
	global_load_u16 v6, v5, s[8:9] scale_offset
	global_load_u16 v1, v5, s[6:7] scale_offset
	s_wait_loadcnt 0x1
	v_lshlrev_b32_e32 v18, 16, v6
.LBB44_23:
	s_wait_xcnt 0x0
	s_or_b32 exec_lo, exec_lo, s1
	v_dual_mov_b32 v16, 0 :: v_dual_mov_b32 v5, 0
	v_mov_b32_e32 v6, 0
	s_mov_b32 s1, exec_lo
	v_cmpx_gt_i32_e64 s10, v19
	s_cbranch_execz .LBB44_25
; %bb.24:
	v_add_nc_u32_e32 v7, s2, v19
	v_add_nc_u32_e32 v19, 0x100, v19
	s_clause 0x1
	global_load_u16 v8, v7, s[8:9] scale_offset
	global_load_u16 v6, v7, s[6:7] scale_offset
	s_wait_loadcnt 0x1
	v_lshlrev_b32_e32 v16, 16, v8
.LBB44_25:
	s_wait_xcnt 0x0
	s_or_b32 exec_lo, exec_lo, s1
	v_mov_b32_e32 v15, 0
	s_mov_b32 s1, exec_lo
	v_cmpx_gt_i32_e64 s10, v19
	s_cbranch_execz .LBB44_27
; %bb.26:
	v_add_nc_u32_e32 v7, s2, v19
	v_add_nc_u32_e32 v19, 0x100, v19
	s_clause 0x1
	global_load_u16 v8, v7, s[8:9] scale_offset
	global_load_u16 v5, v7, s[6:7] scale_offset
	s_wait_loadcnt 0x1
	v_lshlrev_b32_e32 v15, 16, v8
.LBB44_27:
	s_wait_xcnt 0x0
	s_or_b32 exec_lo, exec_lo, s1
	v_dual_mov_b32 v14, 0 :: v_dual_mov_b32 v7, 0
	v_mov_b32_e32 v8, 0
	s_mov_b32 s1, exec_lo
	v_cmpx_gt_i32_e64 s10, v19
	s_cbranch_execz .LBB44_29
; %bb.28:
	v_add_nc_u32_e32 v9, s2, v19
	v_add_nc_u32_e32 v19, 0x100, v19
	s_clause 0x1
	global_load_u16 v10, v9, s[8:9] scale_offset
	global_load_u16 v8, v9, s[6:7] scale_offset
	s_wait_loadcnt 0x1
	v_lshlrev_b32_e32 v14, 16, v10
.LBB44_29:
	s_wait_xcnt 0x0
	s_or_b32 exec_lo, exec_lo, s1
	v_mov_b32_e32 v13, 0
	s_mov_b32 s1, exec_lo
	v_cmpx_gt_i32_e64 s10, v19
	s_cbranch_execz .LBB44_31
; %bb.30:
	v_add_nc_u32_e32 v9, s2, v19
	v_add_nc_u32_e32 v19, 0x100, v19
	s_clause 0x1
	global_load_u16 v10, v9, s[8:9] scale_offset
	global_load_u16 v7, v9, s[6:7] scale_offset
	s_wait_loadcnt 0x1
	v_lshlrev_b32_e32 v13, 16, v10
.LBB44_31:
	s_wait_xcnt 0x0
	s_or_b32 exec_lo, exec_lo, s1
	v_dual_mov_b32 v12, 0 :: v_dual_mov_b32 v9, 0
	v_mov_b32_e32 v10, 0
	s_mov_b32 s1, exec_lo
	v_cmpx_gt_i32_e64 s10, v19
	s_cbranch_execz .LBB44_33
; %bb.32:
	v_add_nc_u32_e32 v11, s2, v19
	v_add_nc_u32_e32 v19, 0x100, v19
	s_clause 0x1
	global_load_u16 v12, v11, s[8:9] scale_offset
	global_load_u16 v10, v11, s[6:7] scale_offset
	s_wait_loadcnt 0x1
	v_lshlrev_b32_e32 v12, 16, v12
.LBB44_33:
	s_wait_xcnt 0x0
	s_or_b32 exec_lo, exec_lo, s1
	v_mov_b32_e32 v11, 0
	s_mov_b32 s1, exec_lo
	v_cmpx_gt_i32_e64 s10, v19
	s_cbranch_execnz .LBB44_36
; %bb.34:
	s_or_b32 exec_lo, exec_lo, s1
	s_and_saveexec_b32 s1, vcc_lo
	s_cbranch_execnz .LBB44_37
.LBB44_35:
	s_or_b32 exec_lo, exec_lo, s1
	s_delay_alu instid0(SALU_CYCLE_1)
	s_mov_b32 s1, exec_lo
	v_cmpx_gt_i32_e64 s10, v3
	s_cbranch_execnz .LBB44_40
	s_branch .LBB44_43
.LBB44_36:
	v_add_nc_u32_e32 v11, s2, v19
	s_clause 0x1
	global_load_u16 v19, v11, s[8:9] scale_offset
	global_load_u16 v9, v11, s[6:7] scale_offset
	s_wait_loadcnt 0x1
	s_wait_xcnt 0x0
	v_lshlrev_b32_e32 v11, 16, v19
	s_or_b32 exec_lo, exec_lo, s1
	s_and_saveexec_b32 s1, vcc_lo
	s_cbranch_execz .LBB44_35
.LBB44_37:
	s_wait_loadcnt 0x0
	v_lshlrev_b32_e32 v19, 16, v4
	s_mov_b32 s3, exec_lo
	s_delay_alu instid0(VALU_DEP_1)
	v_cmpx_nlt_f32_e32 0, v19
; %bb.38:
	v_mul_f32_e32 v4, v17, v19
	s_delay_alu instid0(VALU_DEP_1) | instskip(NEXT) | instid1(VALU_DEP_1)
	v_bfe_u32 v17, v4, 16, 1
	v_add3_u32 v17, v4, v17, 0x7fff
	s_delay_alu instid0(VALU_DEP_1) | instskip(SKIP_1) | instid1(VALU_DEP_1)
	v_lshrrev_b32_e32 v17, 16, v17
	v_cmp_o_f32_e64 s0, v4, v4
	v_cndmask_b32_e64 v4, 0x7fc0, v17, s0
; %bb.39:
	s_or_b32 exec_lo, exec_lo, s3
	s_delay_alu instid0(SALU_CYCLE_1) | instskip(NEXT) | instid1(SALU_CYCLE_1)
	s_or_b32 exec_lo, exec_lo, s1
	s_mov_b32 s1, exec_lo
	v_cmpx_gt_i32_e64 s10, v3
	s_cbranch_execz .LBB44_43
.LBB44_40:
	s_wait_loadcnt 0x0
	v_lshlrev_b32_e32 v17, 16, v1
	s_mov_b32 s3, exec_lo
	s_delay_alu instid0(VALU_DEP_1)
	v_cmpx_nlt_f32_e32 0, v17
; %bb.41:
	v_mul_f32_e32 v1, v18, v17
	s_delay_alu instid0(VALU_DEP_1) | instskip(NEXT) | instid1(VALU_DEP_1)
	v_bfe_u32 v17, v1, 16, 1
	v_add3_u32 v17, v1, v17, 0x7fff
	s_delay_alu instid0(VALU_DEP_1) | instskip(SKIP_1) | instid1(VALU_DEP_1)
	v_lshrrev_b32_e32 v17, 16, v17
	v_cmp_o_f32_e64 s0, v1, v1
	v_cndmask_b32_e64 v1, 0x7fc0, v17, s0
; %bb.42:
	s_or_b32 exec_lo, exec_lo, s3
.LBB44_43:
	s_delay_alu instid0(SALU_CYCLE_1) | instskip(SKIP_2) | instid1(VALU_DEP_1)
	s_or_b32 exec_lo, exec_lo, s1
	v_or_b32_e32 v17, 0x200, v0
	s_mov_b32 s1, exec_lo
	v_cmpx_gt_i32_e64 s10, v17
	s_cbranch_execz .LBB44_47
; %bb.44:
	s_wait_loadcnt 0x0
	v_lshlrev_b32_e32 v17, 16, v6
	s_mov_b32 s3, exec_lo
	s_delay_alu instid0(VALU_DEP_1)
	v_cmpx_nlt_f32_e32 0, v17
; %bb.45:
	v_mul_f32_e32 v6, v16, v17
	s_delay_alu instid0(VALU_DEP_1) | instskip(NEXT) | instid1(VALU_DEP_1)
	v_bfe_u32 v16, v6, 16, 1
	v_add3_u32 v16, v6, v16, 0x7fff
	s_delay_alu instid0(VALU_DEP_1) | instskip(SKIP_1) | instid1(VALU_DEP_1)
	v_lshrrev_b32_e32 v16, 16, v16
	v_cmp_o_f32_e64 s0, v6, v6
	v_cndmask_b32_e64 v6, 0x7fc0, v16, s0
; %bb.46:
	s_or_b32 exec_lo, exec_lo, s3
.LBB44_47:
	s_delay_alu instid0(SALU_CYCLE_1) | instskip(SKIP_2) | instid1(VALU_DEP_1)
	s_or_b32 exec_lo, exec_lo, s1
	v_or_b32_e32 v16, 0x300, v0
	s_mov_b32 s1, exec_lo
	v_cmpx_gt_i32_e64 s10, v16
	s_cbranch_execz .LBB44_51
; %bb.48:
	s_wait_loadcnt 0x0
	v_lshlrev_b32_e32 v16, 16, v5
	s_mov_b32 s3, exec_lo
	s_delay_alu instid0(VALU_DEP_1)
	v_cmpx_nlt_f32_e32 0, v16
; %bb.49:
	v_mul_f32_e32 v5, v15, v16
	s_delay_alu instid0(VALU_DEP_1) | instskip(NEXT) | instid1(VALU_DEP_1)
	v_bfe_u32 v15, v5, 16, 1
	v_add3_u32 v15, v5, v15, 0x7fff
	s_delay_alu instid0(VALU_DEP_1) | instskip(SKIP_1) | instid1(VALU_DEP_1)
	v_lshrrev_b32_e32 v15, 16, v15
	v_cmp_o_f32_e64 s0, v5, v5
	v_cndmask_b32_e64 v5, 0x7fc0, v15, s0
; %bb.50:
	s_or_b32 exec_lo, exec_lo, s3
.LBB44_51:
	s_delay_alu instid0(SALU_CYCLE_1) | instskip(SKIP_2) | instid1(VALU_DEP_1)
	s_or_b32 exec_lo, exec_lo, s1
	v_or_b32_e32 v15, 0x400, v0
	s_mov_b32 s1, exec_lo
	v_cmpx_gt_i32_e64 s10, v15
	s_cbranch_execz .LBB44_55
; %bb.52:
	s_wait_loadcnt 0x0
	v_lshlrev_b32_e32 v15, 16, v8
	s_mov_b32 s3, exec_lo
	s_delay_alu instid0(VALU_DEP_1)
	v_cmpx_nlt_f32_e32 0, v15
; %bb.53:
	v_mul_f32_e32 v8, v14, v15
	s_delay_alu instid0(VALU_DEP_1) | instskip(NEXT) | instid1(VALU_DEP_1)
	v_bfe_u32 v14, v8, 16, 1
	v_add3_u32 v14, v8, v14, 0x7fff
	s_delay_alu instid0(VALU_DEP_1) | instskip(SKIP_1) | instid1(VALU_DEP_1)
	v_lshrrev_b32_e32 v14, 16, v14
	v_cmp_o_f32_e64 s0, v8, v8
	v_cndmask_b32_e64 v8, 0x7fc0, v14, s0
; %bb.54:
	s_or_b32 exec_lo, exec_lo, s3
.LBB44_55:
	s_delay_alu instid0(SALU_CYCLE_1) | instskip(SKIP_2) | instid1(VALU_DEP_1)
	s_or_b32 exec_lo, exec_lo, s1
	v_or_b32_e32 v14, 0x500, v0
	s_mov_b32 s1, exec_lo
	v_cmpx_gt_i32_e64 s10, v14
	s_cbranch_execz .LBB44_59
; %bb.56:
	s_wait_loadcnt 0x0
	v_lshlrev_b32_e32 v14, 16, v7
	s_mov_b32 s3, exec_lo
	s_delay_alu instid0(VALU_DEP_1)
	v_cmpx_nlt_f32_e32 0, v14
; %bb.57:
	v_mul_f32_e32 v7, v13, v14
	s_delay_alu instid0(VALU_DEP_1) | instskip(NEXT) | instid1(VALU_DEP_1)
	v_bfe_u32 v13, v7, 16, 1
	v_add3_u32 v13, v7, v13, 0x7fff
	s_delay_alu instid0(VALU_DEP_1) | instskip(SKIP_1) | instid1(VALU_DEP_1)
	v_lshrrev_b32_e32 v13, 16, v13
	v_cmp_o_f32_e64 s0, v7, v7
	v_cndmask_b32_e64 v7, 0x7fc0, v13, s0
; %bb.58:
	s_or_b32 exec_lo, exec_lo, s3
.LBB44_59:
	s_delay_alu instid0(SALU_CYCLE_1) | instskip(SKIP_2) | instid1(VALU_DEP_1)
	s_or_b32 exec_lo, exec_lo, s1
	v_or_b32_e32 v13, 0x600, v0
	s_mov_b32 s1, exec_lo
	v_cmpx_gt_i32_e64 s10, v13
	s_cbranch_execz .LBB44_63
; %bb.60:
	s_wait_loadcnt 0x0
	v_lshlrev_b32_e32 v13, 16, v10
	s_mov_b32 s3, exec_lo
	s_delay_alu instid0(VALU_DEP_1)
	v_cmpx_nlt_f32_e32 0, v13
; %bb.61:
	v_mul_f32_e32 v10, v12, v13
	s_delay_alu instid0(VALU_DEP_1) | instskip(NEXT) | instid1(VALU_DEP_1)
	v_bfe_u32 v12, v10, 16, 1
	v_add3_u32 v12, v10, v12, 0x7fff
	s_delay_alu instid0(VALU_DEP_1) | instskip(SKIP_1) | instid1(VALU_DEP_1)
	v_lshrrev_b32_e32 v12, 16, v12
	v_cmp_o_f32_e64 s0, v10, v10
	v_cndmask_b32_e64 v10, 0x7fc0, v12, s0
; %bb.62:
	s_or_b32 exec_lo, exec_lo, s3
.LBB44_63:
	s_delay_alu instid0(SALU_CYCLE_1) | instskip(SKIP_2) | instid1(VALU_DEP_1)
	s_or_b32 exec_lo, exec_lo, s1
	v_or_b32_e32 v12, 0x700, v0
	s_mov_b32 s1, exec_lo
	v_cmpx_gt_i32_e64 s10, v12
	s_cbranch_execnz .LBB44_74
; %bb.64:
	s_or_b32 exec_lo, exec_lo, s1
	s_and_saveexec_b32 s0, vcc_lo
	s_delay_alu instid0(SALU_CYCLE_1)
	s_xor_b32 s0, exec_lo, s0
	s_cbranch_execnz .LBB44_77
.LBB44_65:
	s_or_b32 exec_lo, exec_lo, s0
	s_delay_alu instid0(SALU_CYCLE_1)
	s_mov_b32 s0, exec_lo
	v_cmpx_gt_i32_e64 s10, v0
	s_cbranch_execnz .LBB44_78
.LBB44_66:
	s_or_b32 exec_lo, exec_lo, s0
	s_delay_alu instid0(SALU_CYCLE_1)
	s_mov_b32 s0, exec_lo
	v_cmpx_gt_i32_e64 s10, v0
	s_cbranch_execnz .LBB44_79
.LBB44_67:
	s_or_b32 exec_lo, exec_lo, s0
	s_delay_alu instid0(SALU_CYCLE_1)
	s_mov_b32 s0, exec_lo
	v_cmpx_gt_i32_e64 s10, v0
	s_cbranch_execnz .LBB44_80
.LBB44_68:
	s_or_b32 exec_lo, exec_lo, s0
	s_delay_alu instid0(SALU_CYCLE_1)
	s_mov_b32 s0, exec_lo
	v_cmpx_gt_i32_e64 s10, v0
	s_cbranch_execnz .LBB44_81
.LBB44_69:
	s_or_b32 exec_lo, exec_lo, s0
	s_delay_alu instid0(SALU_CYCLE_1)
	s_mov_b32 s0, exec_lo
	v_cmpx_gt_i32_e64 s10, v0
	s_cbranch_execnz .LBB44_82
.LBB44_70:
	s_or_b32 exec_lo, exec_lo, s0
	s_delay_alu instid0(SALU_CYCLE_1)
	s_mov_b32 s0, exec_lo
	v_cmpx_gt_i32_e64 s10, v0
	s_cbranch_execnz .LBB44_83
.LBB44_71:
	s_or_b32 exec_lo, exec_lo, s0
	s_delay_alu instid0(SALU_CYCLE_1)
	s_mov_b32 s0, exec_lo
	v_cmpx_gt_i32_e64 s10, v0
	s_cbranch_execz .LBB44_73
.LBB44_72:
	v_add_nc_u32_e32 v0, s2, v0
	s_wait_loadcnt 0x0
	global_store_b16 v0, v9, s[4:5] scale_offset
.LBB44_73:
	s_endpgm
.LBB44_74:
	s_wait_loadcnt 0x0
	v_lshlrev_b32_e32 v12, 16, v9
	s_mov_b32 s3, exec_lo
	s_delay_alu instid0(VALU_DEP_1)
	v_cmpx_nlt_f32_e32 0, v12
; %bb.75:
	v_mul_f32_e32 v9, v11, v12
	s_delay_alu instid0(VALU_DEP_1) | instskip(NEXT) | instid1(VALU_DEP_1)
	v_bfe_u32 v11, v9, 16, 1
	v_add3_u32 v11, v9, v11, 0x7fff
	s_delay_alu instid0(VALU_DEP_1) | instskip(SKIP_1) | instid1(VALU_DEP_1)
	v_lshrrev_b32_e32 v11, 16, v11
	v_cmp_o_f32_e64 s0, v9, v9
	v_cndmask_b32_e64 v9, 0x7fc0, v11, s0
; %bb.76:
	s_or_b32 exec_lo, exec_lo, s3
	s_delay_alu instid0(SALU_CYCLE_1) | instskip(SKIP_1) | instid1(SALU_CYCLE_1)
	s_or_b32 exec_lo, exec_lo, s1
	s_and_saveexec_b32 s0, vcc_lo
	s_xor_b32 s0, exec_lo, s0
	s_cbranch_execz .LBB44_65
.LBB44_77:
	v_mov_b32_e32 v0, v3
	s_wait_loadcnt 0x0
	global_store_b16 v2, v4, s[4:5] scale_offset
	s_wait_xcnt 0x0
	s_or_b32 exec_lo, exec_lo, s0
	s_delay_alu instid0(SALU_CYCLE_1)
	s_mov_b32 s0, exec_lo
	v_cmpx_gt_i32_e64 s10, v0
	s_cbranch_execz .LBB44_66
.LBB44_78:
	v_add_nc_u32_e32 v2, s2, v0
	v_add_nc_u32_e32 v0, 0x100, v0
	s_wait_loadcnt 0x0
	global_store_b16 v2, v1, s[4:5] scale_offset
	s_wait_xcnt 0x0
	s_or_b32 exec_lo, exec_lo, s0
	s_delay_alu instid0(SALU_CYCLE_1)
	s_mov_b32 s0, exec_lo
	v_cmpx_gt_i32_e64 s10, v0
	s_cbranch_execz .LBB44_67
.LBB44_79:
	s_wait_loadcnt 0x0
	v_add_nc_u32_e32 v1, s2, v0
	v_add_nc_u32_e32 v0, 0x100, v0
	global_store_b16 v1, v6, s[4:5] scale_offset
	s_wait_xcnt 0x0
	s_or_b32 exec_lo, exec_lo, s0
	s_delay_alu instid0(SALU_CYCLE_1)
	s_mov_b32 s0, exec_lo
	v_cmpx_gt_i32_e64 s10, v0
	s_cbranch_execz .LBB44_68
.LBB44_80:
	s_wait_loadcnt 0x0
	v_add_nc_u32_e32 v1, s2, v0
	v_add_nc_u32_e32 v0, 0x100, v0
	global_store_b16 v1, v5, s[4:5] scale_offset
	s_wait_xcnt 0x0
	s_or_b32 exec_lo, exec_lo, s0
	s_delay_alu instid0(SALU_CYCLE_1)
	s_mov_b32 s0, exec_lo
	v_cmpx_gt_i32_e64 s10, v0
	s_cbranch_execz .LBB44_69
.LBB44_81:
	s_wait_loadcnt 0x0
	v_add_nc_u32_e32 v1, s2, v0
	v_add_nc_u32_e32 v0, 0x100, v0
	global_store_b16 v1, v8, s[4:5] scale_offset
	s_wait_xcnt 0x0
	s_or_b32 exec_lo, exec_lo, s0
	s_delay_alu instid0(SALU_CYCLE_1)
	s_mov_b32 s0, exec_lo
	v_cmpx_gt_i32_e64 s10, v0
	s_cbranch_execz .LBB44_70
.LBB44_82:
	s_wait_loadcnt 0x0
	v_add_nc_u32_e32 v1, s2, v0
	v_add_nc_u32_e32 v0, 0x100, v0
	global_store_b16 v1, v7, s[4:5] scale_offset
	s_wait_xcnt 0x0
	s_or_b32 exec_lo, exec_lo, s0
	s_delay_alu instid0(SALU_CYCLE_1)
	s_mov_b32 s0, exec_lo
	v_cmpx_gt_i32_e64 s10, v0
	s_cbranch_execz .LBB44_71
.LBB44_83:
	s_wait_loadcnt 0x0
	v_add_nc_u32_e32 v1, s2, v0
	v_add_nc_u32_e32 v0, 0x100, v0
	global_store_b16 v1, v10, s[4:5] scale_offset
	s_wait_xcnt 0x0
	s_or_b32 exec_lo, exec_lo, s0
	s_delay_alu instid0(SALU_CYCLE_1)
	s_mov_b32 s0, exec_lo
	v_cmpx_gt_i32_e64 s10, v0
	s_cbranch_execnz .LBB44_72
	s_branch .LBB44_73
	.section	.rodata,"a",@progbits
	.p2align	6, 0x0
	.amdhsa_kernel _ZN2at6native29vectorized_elementwise_kernelILi2EZZZNS0_12prelu_kernelERNS_14TensorIteratorEENKUlvE_clEvENKUlvE1_clEvEUlN3c108BFloat16ES7_E_St5arrayIPcLm3EEEEviT0_T1_
		.amdhsa_group_segment_fixed_size 0
		.amdhsa_private_segment_fixed_size 0
		.amdhsa_kernarg_size 32
		.amdhsa_user_sgpr_count 2
		.amdhsa_user_sgpr_dispatch_ptr 0
		.amdhsa_user_sgpr_queue_ptr 0
		.amdhsa_user_sgpr_kernarg_segment_ptr 1
		.amdhsa_user_sgpr_dispatch_id 0
		.amdhsa_user_sgpr_kernarg_preload_length 0
		.amdhsa_user_sgpr_kernarg_preload_offset 0
		.amdhsa_user_sgpr_private_segment_size 0
		.amdhsa_wavefront_size32 1
		.amdhsa_uses_dynamic_stack 0
		.amdhsa_enable_private_segment 0
		.amdhsa_system_sgpr_workgroup_id_x 1
		.amdhsa_system_sgpr_workgroup_id_y 0
		.amdhsa_system_sgpr_workgroup_id_z 0
		.amdhsa_system_sgpr_workgroup_info 0
		.amdhsa_system_vgpr_workitem_id 0
		.amdhsa_next_free_vgpr 20
		.amdhsa_next_free_sgpr 16
		.amdhsa_named_barrier_count 0
		.amdhsa_reserve_vcc 1
		.amdhsa_float_round_mode_32 0
		.amdhsa_float_round_mode_16_64 0
		.amdhsa_float_denorm_mode_32 3
		.amdhsa_float_denorm_mode_16_64 3
		.amdhsa_fp16_overflow 0
		.amdhsa_memory_ordered 1
		.amdhsa_forward_progress 1
		.amdhsa_inst_pref_size 26
		.amdhsa_round_robin_scheduling 0
		.amdhsa_exception_fp_ieee_invalid_op 0
		.amdhsa_exception_fp_denorm_src 0
		.amdhsa_exception_fp_ieee_div_zero 0
		.amdhsa_exception_fp_ieee_overflow 0
		.amdhsa_exception_fp_ieee_underflow 0
		.amdhsa_exception_fp_ieee_inexact 0
		.amdhsa_exception_int_div_zero 0
	.end_amdhsa_kernel
	.section	.text._ZN2at6native29vectorized_elementwise_kernelILi2EZZZNS0_12prelu_kernelERNS_14TensorIteratorEENKUlvE_clEvENKUlvE1_clEvEUlN3c108BFloat16ES7_E_St5arrayIPcLm3EEEEviT0_T1_,"axG",@progbits,_ZN2at6native29vectorized_elementwise_kernelILi2EZZZNS0_12prelu_kernelERNS_14TensorIteratorEENKUlvE_clEvENKUlvE1_clEvEUlN3c108BFloat16ES7_E_St5arrayIPcLm3EEEEviT0_T1_,comdat
.Lfunc_end44:
	.size	_ZN2at6native29vectorized_elementwise_kernelILi2EZZZNS0_12prelu_kernelERNS_14TensorIteratorEENKUlvE_clEvENKUlvE1_clEvEUlN3c108BFloat16ES7_E_St5arrayIPcLm3EEEEviT0_T1_, .Lfunc_end44-_ZN2at6native29vectorized_elementwise_kernelILi2EZZZNS0_12prelu_kernelERNS_14TensorIteratorEENKUlvE_clEvENKUlvE1_clEvEUlN3c108BFloat16ES7_E_St5arrayIPcLm3EEEEviT0_T1_
                                        ; -- End function
	.set _ZN2at6native29vectorized_elementwise_kernelILi2EZZZNS0_12prelu_kernelERNS_14TensorIteratorEENKUlvE_clEvENKUlvE1_clEvEUlN3c108BFloat16ES7_E_St5arrayIPcLm3EEEEviT0_T1_.num_vgpr, 20
	.set _ZN2at6native29vectorized_elementwise_kernelILi2EZZZNS0_12prelu_kernelERNS_14TensorIteratorEENKUlvE_clEvENKUlvE1_clEvEUlN3c108BFloat16ES7_E_St5arrayIPcLm3EEEEviT0_T1_.num_agpr, 0
	.set _ZN2at6native29vectorized_elementwise_kernelILi2EZZZNS0_12prelu_kernelERNS_14TensorIteratorEENKUlvE_clEvENKUlvE1_clEvEUlN3c108BFloat16ES7_E_St5arrayIPcLm3EEEEviT0_T1_.numbered_sgpr, 16
	.set _ZN2at6native29vectorized_elementwise_kernelILi2EZZZNS0_12prelu_kernelERNS_14TensorIteratorEENKUlvE_clEvENKUlvE1_clEvEUlN3c108BFloat16ES7_E_St5arrayIPcLm3EEEEviT0_T1_.num_named_barrier, 0
	.set _ZN2at6native29vectorized_elementwise_kernelILi2EZZZNS0_12prelu_kernelERNS_14TensorIteratorEENKUlvE_clEvENKUlvE1_clEvEUlN3c108BFloat16ES7_E_St5arrayIPcLm3EEEEviT0_T1_.private_seg_size, 0
	.set _ZN2at6native29vectorized_elementwise_kernelILi2EZZZNS0_12prelu_kernelERNS_14TensorIteratorEENKUlvE_clEvENKUlvE1_clEvEUlN3c108BFloat16ES7_E_St5arrayIPcLm3EEEEviT0_T1_.uses_vcc, 1
	.set _ZN2at6native29vectorized_elementwise_kernelILi2EZZZNS0_12prelu_kernelERNS_14TensorIteratorEENKUlvE_clEvENKUlvE1_clEvEUlN3c108BFloat16ES7_E_St5arrayIPcLm3EEEEviT0_T1_.uses_flat_scratch, 0
	.set _ZN2at6native29vectorized_elementwise_kernelILi2EZZZNS0_12prelu_kernelERNS_14TensorIteratorEENKUlvE_clEvENKUlvE1_clEvEUlN3c108BFloat16ES7_E_St5arrayIPcLm3EEEEviT0_T1_.has_dyn_sized_stack, 0
	.set _ZN2at6native29vectorized_elementwise_kernelILi2EZZZNS0_12prelu_kernelERNS_14TensorIteratorEENKUlvE_clEvENKUlvE1_clEvEUlN3c108BFloat16ES7_E_St5arrayIPcLm3EEEEviT0_T1_.has_recursion, 0
	.set _ZN2at6native29vectorized_elementwise_kernelILi2EZZZNS0_12prelu_kernelERNS_14TensorIteratorEENKUlvE_clEvENKUlvE1_clEvEUlN3c108BFloat16ES7_E_St5arrayIPcLm3EEEEviT0_T1_.has_indirect_call, 0
	.section	.AMDGPU.csdata,"",@progbits
; Kernel info:
; codeLenInByte = 3268
; TotalNumSgprs: 18
; NumVgprs: 20
; ScratchSize: 0
; MemoryBound: 0
; FloatMode: 240
; IeeeMode: 1
; LDSByteSize: 0 bytes/workgroup (compile time only)
; SGPRBlocks: 0
; VGPRBlocks: 1
; NumSGPRsForWavesPerEU: 18
; NumVGPRsForWavesPerEU: 20
; NamedBarCnt: 0
; Occupancy: 16
; WaveLimiterHint : 1
; COMPUTE_PGM_RSRC2:SCRATCH_EN: 0
; COMPUTE_PGM_RSRC2:USER_SGPR: 2
; COMPUTE_PGM_RSRC2:TRAP_HANDLER: 0
; COMPUTE_PGM_RSRC2:TGID_X_EN: 1
; COMPUTE_PGM_RSRC2:TGID_Y_EN: 0
; COMPUTE_PGM_RSRC2:TGID_Z_EN: 0
; COMPUTE_PGM_RSRC2:TIDIG_COMP_CNT: 0
	.section	.text._ZN2at6native27unrolled_elementwise_kernelIZZZNS0_12prelu_kernelERNS_14TensorIteratorEENKUlvE_clEvENKUlvE1_clEvEUlN3c108BFloat16ES7_E_St5arrayIPcLm3EELi4E23TrivialOffsetCalculatorILi2EjESC_ILi1EjENS0_6memory15LoadWithoutCastENSF_16StoreWithoutCastEEEviT_T0_T2_T3_T4_T5_,"axG",@progbits,_ZN2at6native27unrolled_elementwise_kernelIZZZNS0_12prelu_kernelERNS_14TensorIteratorEENKUlvE_clEvENKUlvE1_clEvEUlN3c108BFloat16ES7_E_St5arrayIPcLm3EELi4E23TrivialOffsetCalculatorILi2EjESC_ILi1EjENS0_6memory15LoadWithoutCastENSF_16StoreWithoutCastEEEviT_T0_T2_T3_T4_T5_,comdat
	.globl	_ZN2at6native27unrolled_elementwise_kernelIZZZNS0_12prelu_kernelERNS_14TensorIteratorEENKUlvE_clEvENKUlvE1_clEvEUlN3c108BFloat16ES7_E_St5arrayIPcLm3EELi4E23TrivialOffsetCalculatorILi2EjESC_ILi1EjENS0_6memory15LoadWithoutCastENSF_16StoreWithoutCastEEEviT_T0_T2_T3_T4_T5_ ; -- Begin function _ZN2at6native27unrolled_elementwise_kernelIZZZNS0_12prelu_kernelERNS_14TensorIteratorEENKUlvE_clEvENKUlvE1_clEvEUlN3c108BFloat16ES7_E_St5arrayIPcLm3EELi4E23TrivialOffsetCalculatorILi2EjESC_ILi1EjENS0_6memory15LoadWithoutCastENSF_16StoreWithoutCastEEEviT_T0_T2_T3_T4_T5_
	.p2align	8
	.type	_ZN2at6native27unrolled_elementwise_kernelIZZZNS0_12prelu_kernelERNS_14TensorIteratorEENKUlvE_clEvENKUlvE1_clEvEUlN3c108BFloat16ES7_E_St5arrayIPcLm3EELi4E23TrivialOffsetCalculatorILi2EjESC_ILi1EjENS0_6memory15LoadWithoutCastENSF_16StoreWithoutCastEEEviT_T0_T2_T3_T4_T5_,@function
_ZN2at6native27unrolled_elementwise_kernelIZZZNS0_12prelu_kernelERNS_14TensorIteratorEENKUlvE_clEvENKUlvE1_clEvEUlN3c108BFloat16ES7_E_St5arrayIPcLm3EELi4E23TrivialOffsetCalculatorILi2EjESC_ILi1EjENS0_6memory15LoadWithoutCastENSF_16StoreWithoutCastEEEviT_T0_T2_T3_T4_T5_: ; @_ZN2at6native27unrolled_elementwise_kernelIZZZNS0_12prelu_kernelERNS_14TensorIteratorEENKUlvE_clEvENKUlvE1_clEvEUlN3c108BFloat16ES7_E_St5arrayIPcLm3EELi4E23TrivialOffsetCalculatorILi2EjESC_ILi1EjENS0_6memory15LoadWithoutCastENSF_16StoreWithoutCastEEEviT_T0_T2_T3_T4_T5_
; %bb.0:
	s_load_b32 s8, s[0:1], 0x0
	s_bfe_u32 s10, ttmp6, 0x4000c
	s_clause 0x1
	s_load_b128 s[4:7], s[0:1], 0x8
	s_load_b64 s[2:3], s[0:1], 0x18
	s_add_co_i32 s10, s10, 1
	s_and_b32 s9, ttmp6, 15
	s_wait_xcnt 0x0
	s_mul_i32 s1, ttmp9, s10
	s_getreg_b32 s0, hwreg(HW_REG_IB_STS2, 6, 4)
	s_add_co_i32 s9, s9, s1
	s_cmp_eq_u32 s0, 0
	v_dual_mov_b32 v8, 0 :: v_dual_mov_b32 v1, 0
	s_cselect_b32 s0, ttmp9, s9
	v_or_b32_e32 v2, 0x100, v0
	s_lshl_b32 s1, s0, 10
	s_delay_alu instid0(SALU_CYCLE_1) | instskip(SKIP_3) | instid1(SALU_CYCLE_1)
	v_dual_mov_b32 v4, 0 :: v_dual_bitop2_b32 v3, s1, v0 bitop3:0x54
	v_mov_b32_e32 v11, v0
	s_wait_kmcnt 0x0
	s_sub_co_i32 s8, s8, s1
	v_cmp_gt_i32_e32 vcc_lo, s8, v0
	s_and_saveexec_b32 s0, vcc_lo
	s_cbranch_execz .LBB45_2
; %bb.1:
	s_clause 0x1
	global_load_u16 v5, v3, s[2:3] scale_offset
	global_load_u16 v4, v3, s[6:7] scale_offset
	v_or_b32_e32 v11, 0x100, v0
	s_wait_loadcnt 0x1
	v_lshlrev_b32_e32 v8, 16, v5
.LBB45_2:
	s_wait_xcnt 0x0
	s_or_b32 exec_lo, exec_lo, s0
	v_mov_b32_e32 v10, 0
	s_mov_b32 s9, exec_lo
	v_cmpx_gt_i32_e64 s8, v11
	s_cbranch_execz .LBB45_4
; %bb.3:
	v_add_nc_u32_e32 v5, s1, v11
	v_add_nc_u32_e32 v11, 0x100, v11
	s_clause 0x1
	global_load_u16 v6, v5, s[2:3] scale_offset
	global_load_u16 v1, v5, s[6:7] scale_offset
	s_wait_loadcnt 0x1
	v_lshlrev_b32_e32 v10, 16, v6
.LBB45_4:
	s_wait_xcnt 0x0
	s_or_b32 exec_lo, exec_lo, s9
	v_dual_mov_b32 v9, 0 :: v_dual_mov_b32 v5, 0
	v_mov_b32_e32 v6, 0
	s_mov_b32 s9, exec_lo
	v_cmpx_gt_i32_e64 s8, v11
	s_cbranch_execz .LBB45_6
; %bb.5:
	v_add_nc_u32_e32 v7, s1, v11
	v_add_nc_u32_e32 v11, 0x100, v11
	s_clause 0x1
	global_load_u16 v9, v7, s[2:3] scale_offset
	global_load_u16 v6, v7, s[6:7] scale_offset
	s_wait_loadcnt 0x1
	v_lshlrev_b32_e32 v9, 16, v9
.LBB45_6:
	s_wait_xcnt 0x0
	s_or_b32 exec_lo, exec_lo, s9
	v_mov_b32_e32 v7, 0
	s_mov_b32 s9, exec_lo
	v_cmpx_gt_i32_e64 s8, v11
	s_cbranch_execnz .LBB45_9
; %bb.7:
	s_or_b32 exec_lo, exec_lo, s9
	s_and_saveexec_b32 s2, vcc_lo
	s_cbranch_execnz .LBB45_10
.LBB45_8:
	s_or_b32 exec_lo, exec_lo, s2
	s_delay_alu instid0(SALU_CYCLE_1)
	s_mov_b32 s2, exec_lo
	v_cmpx_gt_i32_e64 s8, v2
	s_cbranch_execnz .LBB45_13
	s_branch .LBB45_16
.LBB45_9:
	v_add_nc_u32_e32 v7, s1, v11
	s_clause 0x1
	global_load_u16 v11, v7, s[2:3] scale_offset
	global_load_u16 v5, v7, s[6:7] scale_offset
	s_wait_loadcnt 0x1
	s_wait_xcnt 0x0
	v_lshlrev_b32_e32 v7, 16, v11
	s_or_b32 exec_lo, exec_lo, s9
	s_and_saveexec_b32 s2, vcc_lo
	s_cbranch_execz .LBB45_8
.LBB45_10:
	s_wait_loadcnt 0x0
	v_lshlrev_b32_e32 v11, 16, v4
	s_mov_b32 s3, exec_lo
	s_delay_alu instid0(VALU_DEP_1)
	v_cmpx_nlt_f32_e32 0, v11
; %bb.11:
	v_mul_f32_e32 v4, v8, v11
	s_delay_alu instid0(VALU_DEP_1) | instskip(NEXT) | instid1(VALU_DEP_1)
	v_bfe_u32 v8, v4, 16, 1
	v_add3_u32 v8, v4, v8, 0x7fff
	s_delay_alu instid0(VALU_DEP_1) | instskip(SKIP_1) | instid1(VALU_DEP_1)
	v_lshrrev_b32_e32 v8, 16, v8
	v_cmp_o_f32_e64 s0, v4, v4
	v_cndmask_b32_e64 v4, 0x7fc0, v8, s0
; %bb.12:
	s_or_b32 exec_lo, exec_lo, s3
	s_delay_alu instid0(SALU_CYCLE_1) | instskip(NEXT) | instid1(SALU_CYCLE_1)
	s_or_b32 exec_lo, exec_lo, s2
	s_mov_b32 s2, exec_lo
	v_cmpx_gt_i32_e64 s8, v2
	s_cbranch_execz .LBB45_16
.LBB45_13:
	s_wait_loadcnt 0x0
	v_lshlrev_b32_e32 v8, 16, v1
	s_mov_b32 s3, exec_lo
	s_delay_alu instid0(VALU_DEP_1)
	v_cmpx_nlt_f32_e32 0, v8
; %bb.14:
	v_mul_f32_e32 v1, v10, v8
	s_delay_alu instid0(VALU_DEP_1) | instskip(NEXT) | instid1(VALU_DEP_1)
	v_bfe_u32 v8, v1, 16, 1
	v_add3_u32 v8, v1, v8, 0x7fff
	s_delay_alu instid0(VALU_DEP_1) | instskip(SKIP_1) | instid1(VALU_DEP_1)
	v_lshrrev_b32_e32 v8, 16, v8
	v_cmp_o_f32_e64 s0, v1, v1
	v_cndmask_b32_e64 v1, 0x7fc0, v8, s0
; %bb.15:
	s_or_b32 exec_lo, exec_lo, s3
.LBB45_16:
	s_delay_alu instid0(SALU_CYCLE_1) | instskip(SKIP_2) | instid1(VALU_DEP_1)
	s_or_b32 exec_lo, exec_lo, s2
	v_or_b32_e32 v8, 0x200, v0
	s_mov_b32 s2, exec_lo
	v_cmpx_gt_i32_e64 s8, v8
	s_cbranch_execz .LBB45_20
; %bb.17:
	s_wait_loadcnt 0x0
	v_lshlrev_b32_e32 v8, 16, v6
	s_mov_b32 s3, exec_lo
	s_delay_alu instid0(VALU_DEP_1)
	v_cmpx_nlt_f32_e32 0, v8
; %bb.18:
	v_mul_f32_e32 v6, v9, v8
	s_delay_alu instid0(VALU_DEP_1) | instskip(NEXT) | instid1(VALU_DEP_1)
	v_bfe_u32 v8, v6, 16, 1
	v_add3_u32 v8, v6, v8, 0x7fff
	s_delay_alu instid0(VALU_DEP_1) | instskip(SKIP_1) | instid1(VALU_DEP_1)
	v_lshrrev_b32_e32 v8, 16, v8
	v_cmp_o_f32_e64 s0, v6, v6
	v_cndmask_b32_e64 v6, 0x7fc0, v8, s0
; %bb.19:
	s_or_b32 exec_lo, exec_lo, s3
.LBB45_20:
	s_delay_alu instid0(SALU_CYCLE_1) | instskip(SKIP_2) | instid1(VALU_DEP_1)
	s_or_b32 exec_lo, exec_lo, s2
	v_or_b32_e32 v8, 0x300, v0
	s_mov_b32 s2, exec_lo
	v_cmpx_gt_i32_e64 s8, v8
	s_cbranch_execnz .LBB45_26
; %bb.21:
	s_or_b32 exec_lo, exec_lo, s2
	s_and_saveexec_b32 s0, vcc_lo
	s_delay_alu instid0(SALU_CYCLE_1)
	s_xor_b32 s0, exec_lo, s0
	s_cbranch_execnz .LBB45_29
.LBB45_22:
	s_or_b32 exec_lo, exec_lo, s0
	s_delay_alu instid0(SALU_CYCLE_1)
	s_mov_b32 s0, exec_lo
	v_cmpx_gt_i32_e64 s8, v0
	s_cbranch_execnz .LBB45_30
.LBB45_23:
	s_or_b32 exec_lo, exec_lo, s0
	s_delay_alu instid0(SALU_CYCLE_1)
	s_mov_b32 s0, exec_lo
	v_cmpx_gt_i32_e64 s8, v0
	s_cbranch_execnz .LBB45_31
.LBB45_24:
	s_or_b32 exec_lo, exec_lo, s0
	s_delay_alu instid0(SALU_CYCLE_1)
	s_mov_b32 s0, exec_lo
	v_cmpx_gt_i32_e64 s8, v0
	s_cbranch_execnz .LBB45_32
.LBB45_25:
	s_endpgm
.LBB45_26:
	s_wait_loadcnt 0x0
	v_lshlrev_b32_e32 v8, 16, v5
	s_mov_b32 s3, exec_lo
	s_delay_alu instid0(VALU_DEP_1)
	v_cmpx_nlt_f32_e32 0, v8
; %bb.27:
	v_mul_f32_e32 v5, v7, v8
	s_delay_alu instid0(VALU_DEP_1) | instskip(NEXT) | instid1(VALU_DEP_1)
	v_bfe_u32 v7, v5, 16, 1
	v_add3_u32 v7, v5, v7, 0x7fff
	s_delay_alu instid0(VALU_DEP_1) | instskip(SKIP_1) | instid1(VALU_DEP_1)
	v_lshrrev_b32_e32 v7, 16, v7
	v_cmp_o_f32_e64 s0, v5, v5
	v_cndmask_b32_e64 v5, 0x7fc0, v7, s0
; %bb.28:
	s_or_b32 exec_lo, exec_lo, s3
	s_delay_alu instid0(SALU_CYCLE_1) | instskip(SKIP_1) | instid1(SALU_CYCLE_1)
	s_or_b32 exec_lo, exec_lo, s2
	s_and_saveexec_b32 s0, vcc_lo
	s_xor_b32 s0, exec_lo, s0
	s_cbranch_execz .LBB45_22
.LBB45_29:
	v_mov_b32_e32 v0, v2
	s_wait_loadcnt 0x0
	global_store_b16 v3, v4, s[4:5] scale_offset
	s_wait_xcnt 0x0
	s_or_b32 exec_lo, exec_lo, s0
	s_delay_alu instid0(SALU_CYCLE_1)
	s_mov_b32 s0, exec_lo
	v_cmpx_gt_i32_e64 s8, v0
	s_cbranch_execz .LBB45_23
.LBB45_30:
	v_add_nc_u32_e32 v2, 0x100, v0
	s_delay_alu instid0(VALU_DEP_1) | instskip(SKIP_4) | instid1(SALU_CYCLE_1)
	v_dual_mov_b32 v0, v2 :: v_dual_add_nc_u32 v3, s1, v0
	s_wait_loadcnt 0x0
	global_store_b16 v3, v1, s[4:5] scale_offset
	s_wait_xcnt 0x0
	s_or_b32 exec_lo, exec_lo, s0
	s_mov_b32 s0, exec_lo
	v_cmpx_gt_i32_e64 s8, v0
	s_cbranch_execz .LBB45_24
.LBB45_31:
	s_wait_loadcnt 0x0
	v_add_nc_u32_e32 v1, 0x100, v0
	s_delay_alu instid0(VALU_DEP_1) | instskip(SKIP_3) | instid1(SALU_CYCLE_1)
	v_dual_add_nc_u32 v2, s1, v0 :: v_dual_mov_b32 v0, v1
	global_store_b16 v2, v6, s[4:5] scale_offset
	s_wait_xcnt 0x0
	s_or_b32 exec_lo, exec_lo, s0
	s_mov_b32 s0, exec_lo
	v_cmpx_gt_i32_e64 s8, v0
	s_cbranch_execz .LBB45_25
.LBB45_32:
	v_add_nc_u32_e32 v0, s1, v0
	s_wait_loadcnt 0x0
	global_store_b16 v0, v5, s[4:5] scale_offset
	s_endpgm
	.section	.rodata,"a",@progbits
	.p2align	6, 0x0
	.amdhsa_kernel _ZN2at6native27unrolled_elementwise_kernelIZZZNS0_12prelu_kernelERNS_14TensorIteratorEENKUlvE_clEvENKUlvE1_clEvEUlN3c108BFloat16ES7_E_St5arrayIPcLm3EELi4E23TrivialOffsetCalculatorILi2EjESC_ILi1EjENS0_6memory15LoadWithoutCastENSF_16StoreWithoutCastEEEviT_T0_T2_T3_T4_T5_
		.amdhsa_group_segment_fixed_size 0
		.amdhsa_private_segment_fixed_size 0
		.amdhsa_kernarg_size 36
		.amdhsa_user_sgpr_count 2
		.amdhsa_user_sgpr_dispatch_ptr 0
		.amdhsa_user_sgpr_queue_ptr 0
		.amdhsa_user_sgpr_kernarg_segment_ptr 1
		.amdhsa_user_sgpr_dispatch_id 0
		.amdhsa_user_sgpr_kernarg_preload_length 0
		.amdhsa_user_sgpr_kernarg_preload_offset 0
		.amdhsa_user_sgpr_private_segment_size 0
		.amdhsa_wavefront_size32 1
		.amdhsa_uses_dynamic_stack 0
		.amdhsa_enable_private_segment 0
		.amdhsa_system_sgpr_workgroup_id_x 1
		.amdhsa_system_sgpr_workgroup_id_y 0
		.amdhsa_system_sgpr_workgroup_id_z 0
		.amdhsa_system_sgpr_workgroup_info 0
		.amdhsa_system_vgpr_workitem_id 0
		.amdhsa_next_free_vgpr 12
		.amdhsa_next_free_sgpr 11
		.amdhsa_named_barrier_count 0
		.amdhsa_reserve_vcc 1
		.amdhsa_float_round_mode_32 0
		.amdhsa_float_round_mode_16_64 0
		.amdhsa_float_denorm_mode_32 3
		.amdhsa_float_denorm_mode_16_64 3
		.amdhsa_fp16_overflow 0
		.amdhsa_memory_ordered 1
		.amdhsa_forward_progress 1
		.amdhsa_inst_pref_size 10
		.amdhsa_round_robin_scheduling 0
		.amdhsa_exception_fp_ieee_invalid_op 0
		.amdhsa_exception_fp_denorm_src 0
		.amdhsa_exception_fp_ieee_div_zero 0
		.amdhsa_exception_fp_ieee_overflow 0
		.amdhsa_exception_fp_ieee_underflow 0
		.amdhsa_exception_fp_ieee_inexact 0
		.amdhsa_exception_int_div_zero 0
	.end_amdhsa_kernel
	.section	.text._ZN2at6native27unrolled_elementwise_kernelIZZZNS0_12prelu_kernelERNS_14TensorIteratorEENKUlvE_clEvENKUlvE1_clEvEUlN3c108BFloat16ES7_E_St5arrayIPcLm3EELi4E23TrivialOffsetCalculatorILi2EjESC_ILi1EjENS0_6memory15LoadWithoutCastENSF_16StoreWithoutCastEEEviT_T0_T2_T3_T4_T5_,"axG",@progbits,_ZN2at6native27unrolled_elementwise_kernelIZZZNS0_12prelu_kernelERNS_14TensorIteratorEENKUlvE_clEvENKUlvE1_clEvEUlN3c108BFloat16ES7_E_St5arrayIPcLm3EELi4E23TrivialOffsetCalculatorILi2EjESC_ILi1EjENS0_6memory15LoadWithoutCastENSF_16StoreWithoutCastEEEviT_T0_T2_T3_T4_T5_,comdat
.Lfunc_end45:
	.size	_ZN2at6native27unrolled_elementwise_kernelIZZZNS0_12prelu_kernelERNS_14TensorIteratorEENKUlvE_clEvENKUlvE1_clEvEUlN3c108BFloat16ES7_E_St5arrayIPcLm3EELi4E23TrivialOffsetCalculatorILi2EjESC_ILi1EjENS0_6memory15LoadWithoutCastENSF_16StoreWithoutCastEEEviT_T0_T2_T3_T4_T5_, .Lfunc_end45-_ZN2at6native27unrolled_elementwise_kernelIZZZNS0_12prelu_kernelERNS_14TensorIteratorEENKUlvE_clEvENKUlvE1_clEvEUlN3c108BFloat16ES7_E_St5arrayIPcLm3EELi4E23TrivialOffsetCalculatorILi2EjESC_ILi1EjENS0_6memory15LoadWithoutCastENSF_16StoreWithoutCastEEEviT_T0_T2_T3_T4_T5_
                                        ; -- End function
	.set _ZN2at6native27unrolled_elementwise_kernelIZZZNS0_12prelu_kernelERNS_14TensorIteratorEENKUlvE_clEvENKUlvE1_clEvEUlN3c108BFloat16ES7_E_St5arrayIPcLm3EELi4E23TrivialOffsetCalculatorILi2EjESC_ILi1EjENS0_6memory15LoadWithoutCastENSF_16StoreWithoutCastEEEviT_T0_T2_T3_T4_T5_.num_vgpr, 12
	.set _ZN2at6native27unrolled_elementwise_kernelIZZZNS0_12prelu_kernelERNS_14TensorIteratorEENKUlvE_clEvENKUlvE1_clEvEUlN3c108BFloat16ES7_E_St5arrayIPcLm3EELi4E23TrivialOffsetCalculatorILi2EjESC_ILi1EjENS0_6memory15LoadWithoutCastENSF_16StoreWithoutCastEEEviT_T0_T2_T3_T4_T5_.num_agpr, 0
	.set _ZN2at6native27unrolled_elementwise_kernelIZZZNS0_12prelu_kernelERNS_14TensorIteratorEENKUlvE_clEvENKUlvE1_clEvEUlN3c108BFloat16ES7_E_St5arrayIPcLm3EELi4E23TrivialOffsetCalculatorILi2EjESC_ILi1EjENS0_6memory15LoadWithoutCastENSF_16StoreWithoutCastEEEviT_T0_T2_T3_T4_T5_.numbered_sgpr, 11
	.set _ZN2at6native27unrolled_elementwise_kernelIZZZNS0_12prelu_kernelERNS_14TensorIteratorEENKUlvE_clEvENKUlvE1_clEvEUlN3c108BFloat16ES7_E_St5arrayIPcLm3EELi4E23TrivialOffsetCalculatorILi2EjESC_ILi1EjENS0_6memory15LoadWithoutCastENSF_16StoreWithoutCastEEEviT_T0_T2_T3_T4_T5_.num_named_barrier, 0
	.set _ZN2at6native27unrolled_elementwise_kernelIZZZNS0_12prelu_kernelERNS_14TensorIteratorEENKUlvE_clEvENKUlvE1_clEvEUlN3c108BFloat16ES7_E_St5arrayIPcLm3EELi4E23TrivialOffsetCalculatorILi2EjESC_ILi1EjENS0_6memory15LoadWithoutCastENSF_16StoreWithoutCastEEEviT_T0_T2_T3_T4_T5_.private_seg_size, 0
	.set _ZN2at6native27unrolled_elementwise_kernelIZZZNS0_12prelu_kernelERNS_14TensorIteratorEENKUlvE_clEvENKUlvE1_clEvEUlN3c108BFloat16ES7_E_St5arrayIPcLm3EELi4E23TrivialOffsetCalculatorILi2EjESC_ILi1EjENS0_6memory15LoadWithoutCastENSF_16StoreWithoutCastEEEviT_T0_T2_T3_T4_T5_.uses_vcc, 1
	.set _ZN2at6native27unrolled_elementwise_kernelIZZZNS0_12prelu_kernelERNS_14TensorIteratorEENKUlvE_clEvENKUlvE1_clEvEUlN3c108BFloat16ES7_E_St5arrayIPcLm3EELi4E23TrivialOffsetCalculatorILi2EjESC_ILi1EjENS0_6memory15LoadWithoutCastENSF_16StoreWithoutCastEEEviT_T0_T2_T3_T4_T5_.uses_flat_scratch, 0
	.set _ZN2at6native27unrolled_elementwise_kernelIZZZNS0_12prelu_kernelERNS_14TensorIteratorEENKUlvE_clEvENKUlvE1_clEvEUlN3c108BFloat16ES7_E_St5arrayIPcLm3EELi4E23TrivialOffsetCalculatorILi2EjESC_ILi1EjENS0_6memory15LoadWithoutCastENSF_16StoreWithoutCastEEEviT_T0_T2_T3_T4_T5_.has_dyn_sized_stack, 0
	.set _ZN2at6native27unrolled_elementwise_kernelIZZZNS0_12prelu_kernelERNS_14TensorIteratorEENKUlvE_clEvENKUlvE1_clEvEUlN3c108BFloat16ES7_E_St5arrayIPcLm3EELi4E23TrivialOffsetCalculatorILi2EjESC_ILi1EjENS0_6memory15LoadWithoutCastENSF_16StoreWithoutCastEEEviT_T0_T2_T3_T4_T5_.has_recursion, 0
	.set _ZN2at6native27unrolled_elementwise_kernelIZZZNS0_12prelu_kernelERNS_14TensorIteratorEENKUlvE_clEvENKUlvE1_clEvEUlN3c108BFloat16ES7_E_St5arrayIPcLm3EELi4E23TrivialOffsetCalculatorILi2EjESC_ILi1EjENS0_6memory15LoadWithoutCastENSF_16StoreWithoutCastEEEviT_T0_T2_T3_T4_T5_.has_indirect_call, 0
	.section	.AMDGPU.csdata,"",@progbits
; Kernel info:
; codeLenInByte = 1180
; TotalNumSgprs: 13
; NumVgprs: 12
; ScratchSize: 0
; MemoryBound: 0
; FloatMode: 240
; IeeeMode: 1
; LDSByteSize: 0 bytes/workgroup (compile time only)
; SGPRBlocks: 0
; VGPRBlocks: 0
; NumSGPRsForWavesPerEU: 13
; NumVGPRsForWavesPerEU: 12
; NamedBarCnt: 0
; Occupancy: 16
; WaveLimiterHint : 0
; COMPUTE_PGM_RSRC2:SCRATCH_EN: 0
; COMPUTE_PGM_RSRC2:USER_SGPR: 2
; COMPUTE_PGM_RSRC2:TRAP_HANDLER: 0
; COMPUTE_PGM_RSRC2:TGID_X_EN: 1
; COMPUTE_PGM_RSRC2:TGID_Y_EN: 0
; COMPUTE_PGM_RSRC2:TGID_Z_EN: 0
; COMPUTE_PGM_RSRC2:TIDIG_COMP_CNT: 0
	.section	.text._ZN2at6native32elementwise_kernel_manual_unrollILi128ELi8EZNS0_22gpu_kernel_impl_nocastIZZZNS0_12prelu_kernelERNS_14TensorIteratorEENKUlvE_clEvENKUlvE1_clEvEUlN3c108BFloat16ES8_E_EEvRNS_18TensorIteratorBaseERKT_EUlibE_EEviT1_,"axG",@progbits,_ZN2at6native32elementwise_kernel_manual_unrollILi128ELi8EZNS0_22gpu_kernel_impl_nocastIZZZNS0_12prelu_kernelERNS_14TensorIteratorEENKUlvE_clEvENKUlvE1_clEvEUlN3c108BFloat16ES8_E_EEvRNS_18TensorIteratorBaseERKT_EUlibE_EEviT1_,comdat
	.globl	_ZN2at6native32elementwise_kernel_manual_unrollILi128ELi8EZNS0_22gpu_kernel_impl_nocastIZZZNS0_12prelu_kernelERNS_14TensorIteratorEENKUlvE_clEvENKUlvE1_clEvEUlN3c108BFloat16ES8_E_EEvRNS_18TensorIteratorBaseERKT_EUlibE_EEviT1_ ; -- Begin function _ZN2at6native32elementwise_kernel_manual_unrollILi128ELi8EZNS0_22gpu_kernel_impl_nocastIZZZNS0_12prelu_kernelERNS_14TensorIteratorEENKUlvE_clEvENKUlvE1_clEvEUlN3c108BFloat16ES8_E_EEvRNS_18TensorIteratorBaseERKT_EUlibE_EEviT1_
	.p2align	8
	.type	_ZN2at6native32elementwise_kernel_manual_unrollILi128ELi8EZNS0_22gpu_kernel_impl_nocastIZZZNS0_12prelu_kernelERNS_14TensorIteratorEENKUlvE_clEvENKUlvE1_clEvEUlN3c108BFloat16ES8_E_EEvRNS_18TensorIteratorBaseERKT_EUlibE_EEviT1_,@function
_ZN2at6native32elementwise_kernel_manual_unrollILi128ELi8EZNS0_22gpu_kernel_impl_nocastIZZZNS0_12prelu_kernelERNS_14TensorIteratorEENKUlvE_clEvENKUlvE1_clEvEUlN3c108BFloat16ES8_E_EEvRNS_18TensorIteratorBaseERKT_EUlibE_EEviT1_: ; @_ZN2at6native32elementwise_kernel_manual_unrollILi128ELi8EZNS0_22gpu_kernel_impl_nocastIZZZNS0_12prelu_kernelERNS_14TensorIteratorEENKUlvE_clEvENKUlvE1_clEvEUlN3c108BFloat16ES8_E_EEvRNS_18TensorIteratorBaseERKT_EUlibE_EEviT1_
; %bb.0:
	s_clause 0x1
	s_load_b32 s26, s[0:1], 0x8
	s_load_b32 s33, s[0:1], 0x0
	s_bfe_u32 s2, ttmp6, 0x4000c
	s_and_b32 s3, ttmp6, 15
	s_add_co_i32 s2, s2, 1
	s_getreg_b32 s4, hwreg(HW_REG_IB_STS2, 6, 4)
	s_mul_i32 s2, ttmp9, s2
	s_add_nc_u64 s[12:13], s[0:1], 8
	s_add_co_i32 s3, s3, s2
	s_cmp_eq_u32 s4, 0
	s_mov_b32 s21, 0
	s_cselect_b32 s2, ttmp9, s3
	s_wait_xcnt 0x0
	s_mov_b32 s0, exec_lo
	v_lshl_or_b32 v0, s2, 10, v0
	s_delay_alu instid0(VALU_DEP_1) | instskip(SKIP_2) | instid1(SALU_CYCLE_1)
	v_or_b32_e32 v2, 0x380, v0
	s_wait_kmcnt 0x0
	s_add_co_i32 s27, s26, -1
	s_cmp_gt_u32 s27, 1
	s_cselect_b32 s28, -1, 0
	v_cmpx_le_i32_e64 s33, v2
	s_xor_b32 s29, exec_lo, s0
	s_cbranch_execz .LBB46_122
; %bb.1:
	s_clause 0x5
	s_load_b128 s[4:7], s[12:13], 0x4
	s_load_b64 s[16:17], s[12:13], 0x14
	s_load_b128 s[8:11], s[12:13], 0xc4
	s_load_b64 s[18:19], s[12:13], 0xd4
	s_load_b64 s[14:15], s[12:13], 0x198
	s_load_b128 s[0:3], s[12:13], 0x188
	s_cmp_lg_u32 s26, 0
	s_mov_b32 s23, s21
	s_cselect_b32 s34, -1, 0
	s_min_u32 s31, s27, 15
	s_cmp_gt_u32 s26, 1
	s_cselect_b32 s30, -1, 0
	s_wait_kmcnt 0x0
	s_mov_b32 s20, s5
	s_mov_b32 s22, s16
	s_mov_b32 s5, exec_lo
	v_cmpx_gt_i32_e64 s33, v0
	s_cbranch_execnz .LBB46_9
; %bb.2:
	s_or_b32 exec_lo, exec_lo, s5
	s_delay_alu instid0(SALU_CYCLE_1)
	s_mov_b32 s5, exec_lo
	v_cmpx_gt_i32_e64 s33, v0
	s_cbranch_execnz .LBB46_23
.LBB46_3:
	s_or_b32 exec_lo, exec_lo, s5
	s_delay_alu instid0(SALU_CYCLE_1)
	s_mov_b32 s5, exec_lo
	v_cmpx_gt_i32_e64 s33, v0
	s_cbranch_execnz .LBB46_37
.LBB46_4:
	s_or_b32 exec_lo, exec_lo, s5
	s_delay_alu instid0(SALU_CYCLE_1)
	s_mov_b32 s5, exec_lo
	v_cmpx_gt_i32_e64 s33, v0
	s_cbranch_execnz .LBB46_51
.LBB46_5:
	s_or_b32 exec_lo, exec_lo, s5
	s_delay_alu instid0(SALU_CYCLE_1)
	s_mov_b32 s5, exec_lo
	v_cmpx_gt_i32_e64 s33, v0
	s_cbranch_execnz .LBB46_65
.LBB46_6:
	s_or_b32 exec_lo, exec_lo, s5
	s_delay_alu instid0(SALU_CYCLE_1)
	s_mov_b32 s5, exec_lo
	v_cmpx_gt_i32_e64 s33, v0
	s_cbranch_execnz .LBB46_79
.LBB46_7:
	s_or_b32 exec_lo, exec_lo, s5
	s_delay_alu instid0(SALU_CYCLE_1)
	s_mov_b32 s5, exec_lo
	v_cmpx_gt_i32_e64 s33, v0
	s_cbranch_execnz .LBB46_93
.LBB46_8:
	s_or_b32 exec_lo, exec_lo, s5
	s_delay_alu instid0(SALU_CYCLE_1)
	s_mov_b32 s5, exec_lo
	v_cmpx_gt_i32_e64 s33, v0
	s_cbranch_execnz .LBB46_107
	s_branch .LBB46_121
.LBB46_9:
	s_and_not1_b32 vcc_lo, exec_lo, s28
	s_cbranch_vccnz .LBB46_15
; %bb.10:
	s_and_not1_b32 vcc_lo, exec_lo, s34
	s_cbranch_vccnz .LBB46_16
; %bb.11:
	v_dual_mov_b32 v4, 0 :: v_dual_mov_b32 v1, v0
	v_dual_mov_b32 v6, 0 :: v_dual_mov_b32 v5, 0
	s_add_co_i32 s16, s31, 1
	s_mov_b64 s[24:25], 0xffffffffffffffe8
	s_and_b32 s16, s16, 30
	s_add_nc_u64 s[24:25], s[12:13], s[24:25]
.LBB46_12:                              ; =>This Inner Loop Header: Depth=1
	s_clause 0x1
	s_load_b128 s[36:39], s[24:25], 0x1c
	s_load_b64 s[44:45], s[24:25], 0x2c
	s_add_co_i32 s16, s16, -2
	s_delay_alu instid0(SALU_CYCLE_1) | instskip(SKIP_2) | instid1(VALU_DEP_1)
	s_cmp_lg_u32 s16, 0
	s_wait_kmcnt 0x0
	v_mul_hi_u32 v2, s37, v1
	v_add_nc_u32_e32 v2, v1, v2
	s_delay_alu instid0(VALU_DEP_1) | instskip(NEXT) | instid1(VALU_DEP_1)
	v_lshrrev_b32_e32 v2, s38, v2
	v_mul_hi_u32 v3, s44, v2
	v_mul_lo_u32 v7, v2, s36
	s_clause 0x1
	s_load_b128 s[40:43], s[24:25], 0xdc
	s_load_b64 s[36:37], s[24:25], 0xec
	s_wait_xcnt 0x0
	s_add_nc_u64 s[24:25], s[24:25], 24
	s_delay_alu instid0(VALU_DEP_2) | instskip(NEXT) | instid1(VALU_DEP_2)
	v_add_nc_u32_e32 v3, v2, v3
	v_sub_nc_u32_e32 v7, v1, v7
	s_delay_alu instid0(VALU_DEP_2) | instskip(SKIP_1) | instid1(VALU_DEP_2)
	v_lshrrev_b32_e32 v1, s45, v3
	s_wait_kmcnt 0x0
	v_mad_u32 v4, v7, s40, v4
	s_delay_alu instid0(VALU_DEP_2) | instskip(SKIP_2) | instid1(VALU_DEP_3)
	v_mul_lo_u32 v3, v1, s39
	v_mad_u32 v5, v7, s42, v5
	v_mad_u32 v6, v7, s41, v6
	v_sub_nc_u32_e32 v2, v2, v3
	s_delay_alu instid0(VALU_DEP_1) | instskip(NEXT) | instid1(VALU_DEP_4)
	v_mad_u32 v4, v2, s43, v4
	v_mad_u32 v5, v2, s37, v5
	s_delay_alu instid0(VALU_DEP_4)
	v_mad_u32 v6, v2, s36, v6
	s_cbranch_scc1 .LBB46_12
; %bb.13:
	s_bitcmp1_b32 s31, 0
	s_cselect_b32 s16, -1, 0
	s_delay_alu instid0(SALU_CYCLE_1)
	s_and_b32 vcc_lo, exec_lo, s16
	s_cbranch_vccnz .LBB46_17
; %bb.14:
	s_clause 0x1
	s_load_b96 s[36:38], s[24:25], 0x1c
	s_load_b96 s[40:42], s[24:25], 0xdc
	s_wait_kmcnt 0x0
	v_mul_hi_u32 v2, s37, v1
	s_delay_alu instid0(VALU_DEP_1) | instskip(NEXT) | instid1(VALU_DEP_1)
	v_add_nc_u32_e32 v2, v1, v2
	v_lshrrev_b32_e32 v2, s38, v2
	s_delay_alu instid0(VALU_DEP_1) | instskip(NEXT) | instid1(VALU_DEP_1)
	v_mul_lo_u32 v2, v2, s36
	v_sub_nc_u32_e32 v1, v1, v2
	s_delay_alu instid0(VALU_DEP_1)
	v_mad_u32 v4, v1, s40, v4
	v_mad_u32 v6, v1, s41, v6
	;; [unrolled: 1-line block ×3, first 2 shown]
	s_cbranch_execz .LBB46_18
	s_branch .LBB46_20
.LBB46_15:
                                        ; implicit-def: $vgpr5
                                        ; implicit-def: $vgpr6
                                        ; implicit-def: $vgpr4
	s_branch .LBB46_18
.LBB46_16:
	v_dual_mov_b32 v5, 0 :: v_dual_mov_b32 v6, 0
	v_mov_b32_e32 v4, 0
.LBB46_17:
	s_cbranch_execnz .LBB46_20
.LBB46_18:
	v_mov_b32_e32 v1, 0
	s_and_not1_b32 vcc_lo, exec_lo, s30
	s_delay_alu instid0(VALU_DEP_1) | instskip(NEXT) | instid1(VALU_DEP_1)
	v_mul_u64_e32 v[2:3], s[20:21], v[0:1]
	v_add_nc_u32_e32 v2, v0, v3
	s_delay_alu instid0(VALU_DEP_1) | instskip(NEXT) | instid1(VALU_DEP_1)
	v_lshrrev_b32_e32 v2, s6, v2
	v_mul_lo_u32 v3, v2, s4
	s_delay_alu instid0(VALU_DEP_1) | instskip(NEXT) | instid1(VALU_DEP_1)
	v_sub_nc_u32_e32 v3, v0, v3
	v_mul_lo_u32 v4, v3, s8
	v_mul_lo_u32 v5, v3, s10
	;; [unrolled: 1-line block ×3, first 2 shown]
	s_cbranch_vccnz .LBB46_20
; %bb.19:
	v_mov_b32_e32 v3, v1
	s_delay_alu instid0(VALU_DEP_1) | instskip(NEXT) | instid1(VALU_DEP_1)
	v_mul_u64_e32 v[8:9], s[22:23], v[2:3]
	v_add_nc_u32_e32 v1, v2, v9
	s_delay_alu instid0(VALU_DEP_1) | instskip(NEXT) | instid1(VALU_DEP_1)
	v_lshrrev_b32_e32 v1, s17, v1
	v_mul_lo_u32 v1, v1, s7
	s_delay_alu instid0(VALU_DEP_1) | instskip(NEXT) | instid1(VALU_DEP_1)
	v_sub_nc_u32_e32 v1, v2, v1
	v_mad_u32 v4, v1, s11, v4
	v_mad_u32 v6, v1, s18, v6
	;; [unrolled: 1-line block ×3, first 2 shown]
.LBB46_20:
	global_load_u16 v1, v6, s[2:3]
	s_mov_b32 s16, exec_lo
	s_wait_loadcnt 0x0
	v_lshlrev_b32_e32 v2, 16, v1
	s_delay_alu instid0(VALU_DEP_1)
	v_cmpx_nlt_f32_e32 0, v2
	s_cbranch_execz .LBB46_22
; %bb.21:
	global_load_u16 v1, v5, s[14:15]
	s_wait_loadcnt 0x0
	v_lshlrev_b32_e32 v1, 16, v1
	s_delay_alu instid0(VALU_DEP_1) | instskip(NEXT) | instid1(VALU_DEP_1)
	v_mul_f32_e32 v1, v2, v1
	v_bfe_u32 v2, v1, 16, 1
	v_cmp_o_f32_e32 vcc_lo, v1, v1
	s_delay_alu instid0(VALU_DEP_2) | instskip(NEXT) | instid1(VALU_DEP_1)
	v_add3_u32 v2, v1, v2, 0x7fff
	v_lshrrev_b32_e32 v2, 16, v2
	s_delay_alu instid0(VALU_DEP_1)
	v_cndmask_b32_e32 v1, 0x7fc0, v2, vcc_lo
.LBB46_22:
	s_or_b32 exec_lo, exec_lo, s16
	v_add_nc_u32_e32 v0, 0x80, v0
	global_store_b16 v4, v1, s[0:1]
	s_wait_xcnt 0x0
	s_or_b32 exec_lo, exec_lo, s5
	s_delay_alu instid0(SALU_CYCLE_1)
	s_mov_b32 s5, exec_lo
	v_cmpx_gt_i32_e64 s33, v0
	s_cbranch_execz .LBB46_3
.LBB46_23:
	s_and_not1_b32 vcc_lo, exec_lo, s28
	s_cbranch_vccnz .LBB46_29
; %bb.24:
	s_and_not1_b32 vcc_lo, exec_lo, s34
	s_cbranch_vccnz .LBB46_30
; %bb.25:
	v_dual_mov_b32 v4, 0 :: v_dual_mov_b32 v1, v0
	v_dual_mov_b32 v6, 0 :: v_dual_mov_b32 v5, 0
	s_add_co_i32 s16, s31, 1
	s_mov_b64 s[24:25], 0xffffffffffffffe8
	s_and_b32 s16, s16, 30
	s_add_nc_u64 s[24:25], s[12:13], s[24:25]
.LBB46_26:                              ; =>This Inner Loop Header: Depth=1
	s_clause 0x1
	s_load_b128 s[36:39], s[24:25], 0x1c
	s_load_b64 s[44:45], s[24:25], 0x2c
	s_add_co_i32 s16, s16, -2
	s_delay_alu instid0(SALU_CYCLE_1) | instskip(SKIP_2) | instid1(VALU_DEP_1)
	s_cmp_eq_u32 s16, 0
	s_wait_kmcnt 0x0
	v_mul_hi_u32 v2, s37, v1
	v_add_nc_u32_e32 v2, v1, v2
	s_delay_alu instid0(VALU_DEP_1) | instskip(NEXT) | instid1(VALU_DEP_1)
	v_lshrrev_b32_e32 v2, s38, v2
	v_mul_hi_u32 v3, s44, v2
	v_mul_lo_u32 v7, v2, s36
	s_clause 0x1
	s_load_b128 s[40:43], s[24:25], 0xdc
	s_load_b64 s[36:37], s[24:25], 0xec
	s_wait_xcnt 0x0
	s_add_nc_u64 s[24:25], s[24:25], 24
	s_delay_alu instid0(VALU_DEP_2) | instskip(NEXT) | instid1(VALU_DEP_2)
	v_add_nc_u32_e32 v3, v2, v3
	v_sub_nc_u32_e32 v7, v1, v7
	s_delay_alu instid0(VALU_DEP_2) | instskip(SKIP_1) | instid1(VALU_DEP_2)
	v_lshrrev_b32_e32 v1, s45, v3
	s_wait_kmcnt 0x0
	v_mad_u32 v4, v7, s40, v4
	s_delay_alu instid0(VALU_DEP_2) | instskip(SKIP_2) | instid1(VALU_DEP_3)
	v_mul_lo_u32 v3, v1, s39
	v_mad_u32 v5, v7, s42, v5
	v_mad_u32 v6, v7, s41, v6
	v_sub_nc_u32_e32 v2, v2, v3
	s_delay_alu instid0(VALU_DEP_1) | instskip(NEXT) | instid1(VALU_DEP_4)
	v_mad_u32 v4, v2, s43, v4
	v_mad_u32 v5, v2, s37, v5
	s_delay_alu instid0(VALU_DEP_4)
	v_mad_u32 v6, v2, s36, v6
	s_cbranch_scc0 .LBB46_26
; %bb.27:
	s_bitcmp1_b32 s31, 0
	s_cselect_b32 s16, -1, 0
	s_delay_alu instid0(SALU_CYCLE_1)
	s_and_b32 vcc_lo, exec_lo, s16
	s_cbranch_vccnz .LBB46_31
; %bb.28:
	s_clause 0x1
	s_load_b96 s[36:38], s[24:25], 0x1c
	s_load_b96 s[40:42], s[24:25], 0xdc
	s_wait_kmcnt 0x0
	v_mul_hi_u32 v2, s37, v1
	s_delay_alu instid0(VALU_DEP_1) | instskip(NEXT) | instid1(VALU_DEP_1)
	v_add_nc_u32_e32 v2, v1, v2
	v_lshrrev_b32_e32 v2, s38, v2
	s_delay_alu instid0(VALU_DEP_1) | instskip(NEXT) | instid1(VALU_DEP_1)
	v_mul_lo_u32 v2, v2, s36
	v_sub_nc_u32_e32 v1, v1, v2
	s_delay_alu instid0(VALU_DEP_1)
	v_mad_u32 v4, v1, s40, v4
	v_mad_u32 v6, v1, s41, v6
	;; [unrolled: 1-line block ×3, first 2 shown]
	s_branch .LBB46_31
.LBB46_29:
                                        ; implicit-def: $vgpr5
                                        ; implicit-def: $vgpr6
                                        ; implicit-def: $vgpr4
	s_branch .LBB46_32
.LBB46_30:
	v_dual_mov_b32 v5, 0 :: v_dual_mov_b32 v6, 0
	v_mov_b32_e32 v4, 0
.LBB46_31:
	s_cbranch_execnz .LBB46_34
.LBB46_32:
	v_mov_b32_e32 v1, 0
	s_and_not1_b32 vcc_lo, exec_lo, s30
	s_delay_alu instid0(VALU_DEP_1) | instskip(NEXT) | instid1(VALU_DEP_1)
	v_mul_u64_e32 v[2:3], s[20:21], v[0:1]
	v_add_nc_u32_e32 v2, v0, v3
	s_delay_alu instid0(VALU_DEP_1) | instskip(NEXT) | instid1(VALU_DEP_1)
	v_lshrrev_b32_e32 v2, s6, v2
	v_mul_lo_u32 v3, v2, s4
	s_delay_alu instid0(VALU_DEP_1) | instskip(NEXT) | instid1(VALU_DEP_1)
	v_sub_nc_u32_e32 v3, v0, v3
	v_mul_lo_u32 v4, v3, s8
	v_mul_lo_u32 v5, v3, s10
	;; [unrolled: 1-line block ×3, first 2 shown]
	s_cbranch_vccnz .LBB46_34
; %bb.33:
	v_mov_b32_e32 v3, v1
	s_delay_alu instid0(VALU_DEP_1) | instskip(NEXT) | instid1(VALU_DEP_1)
	v_mul_u64_e32 v[8:9], s[22:23], v[2:3]
	v_add_nc_u32_e32 v1, v2, v9
	s_delay_alu instid0(VALU_DEP_1) | instskip(NEXT) | instid1(VALU_DEP_1)
	v_lshrrev_b32_e32 v1, s17, v1
	v_mul_lo_u32 v1, v1, s7
	s_delay_alu instid0(VALU_DEP_1) | instskip(NEXT) | instid1(VALU_DEP_1)
	v_sub_nc_u32_e32 v1, v2, v1
	v_mad_u32 v4, v1, s11, v4
	v_mad_u32 v6, v1, s18, v6
	;; [unrolled: 1-line block ×3, first 2 shown]
.LBB46_34:
	global_load_u16 v1, v6, s[2:3]
	s_mov_b32 s16, exec_lo
	s_wait_loadcnt 0x0
	v_lshlrev_b32_e32 v2, 16, v1
	s_wait_xcnt 0x0
	s_delay_alu instid0(VALU_DEP_1)
	v_cmpx_nlt_f32_e32 0, v2
	s_cbranch_execz .LBB46_36
; %bb.35:
	global_load_u16 v1, v5, s[14:15]
	s_wait_loadcnt 0x0
	v_lshlrev_b32_e32 v1, 16, v1
	s_delay_alu instid0(VALU_DEP_1) | instskip(NEXT) | instid1(VALU_DEP_1)
	v_mul_f32_e32 v1, v2, v1
	v_bfe_u32 v2, v1, 16, 1
	v_cmp_o_f32_e32 vcc_lo, v1, v1
	s_delay_alu instid0(VALU_DEP_2) | instskip(NEXT) | instid1(VALU_DEP_1)
	v_add3_u32 v2, v1, v2, 0x7fff
	v_lshrrev_b32_e32 v2, 16, v2
	s_delay_alu instid0(VALU_DEP_1)
	v_cndmask_b32_e32 v1, 0x7fc0, v2, vcc_lo
.LBB46_36:
	s_wait_xcnt 0x0
	s_or_b32 exec_lo, exec_lo, s16
	v_add_nc_u32_e32 v0, 0x80, v0
	global_store_b16 v4, v1, s[0:1]
	s_wait_xcnt 0x0
	s_or_b32 exec_lo, exec_lo, s5
	s_delay_alu instid0(SALU_CYCLE_1)
	s_mov_b32 s5, exec_lo
	v_cmpx_gt_i32_e64 s33, v0
	s_cbranch_execz .LBB46_4
.LBB46_37:
	s_and_not1_b32 vcc_lo, exec_lo, s28
	s_cbranch_vccnz .LBB46_43
; %bb.38:
	s_and_not1_b32 vcc_lo, exec_lo, s34
	s_cbranch_vccnz .LBB46_44
; %bb.39:
	v_dual_mov_b32 v4, 0 :: v_dual_mov_b32 v1, v0
	v_dual_mov_b32 v6, 0 :: v_dual_mov_b32 v5, 0
	s_add_co_i32 s16, s31, 1
	s_mov_b64 s[24:25], 0xffffffffffffffe8
	s_and_b32 s16, s16, 30
	s_add_nc_u64 s[24:25], s[12:13], s[24:25]
.LBB46_40:                              ; =>This Inner Loop Header: Depth=1
	s_clause 0x1
	s_load_b128 s[36:39], s[24:25], 0x1c
	s_load_b64 s[44:45], s[24:25], 0x2c
	s_add_co_i32 s16, s16, -2
	s_delay_alu instid0(SALU_CYCLE_1) | instskip(SKIP_2) | instid1(VALU_DEP_1)
	s_cmp_eq_u32 s16, 0
	s_wait_kmcnt 0x0
	v_mul_hi_u32 v2, s37, v1
	v_add_nc_u32_e32 v2, v1, v2
	s_delay_alu instid0(VALU_DEP_1) | instskip(NEXT) | instid1(VALU_DEP_1)
	v_lshrrev_b32_e32 v2, s38, v2
	v_mul_hi_u32 v3, s44, v2
	v_mul_lo_u32 v7, v2, s36
	s_clause 0x1
	s_load_b128 s[40:43], s[24:25], 0xdc
	s_load_b64 s[36:37], s[24:25], 0xec
	s_wait_xcnt 0x0
	s_add_nc_u64 s[24:25], s[24:25], 24
	s_delay_alu instid0(VALU_DEP_2) | instskip(NEXT) | instid1(VALU_DEP_2)
	v_add_nc_u32_e32 v3, v2, v3
	v_sub_nc_u32_e32 v7, v1, v7
	s_delay_alu instid0(VALU_DEP_2) | instskip(SKIP_1) | instid1(VALU_DEP_2)
	v_lshrrev_b32_e32 v1, s45, v3
	s_wait_kmcnt 0x0
	v_mad_u32 v4, v7, s40, v4
	s_delay_alu instid0(VALU_DEP_2) | instskip(SKIP_2) | instid1(VALU_DEP_3)
	v_mul_lo_u32 v3, v1, s39
	v_mad_u32 v5, v7, s42, v5
	v_mad_u32 v6, v7, s41, v6
	v_sub_nc_u32_e32 v2, v2, v3
	s_delay_alu instid0(VALU_DEP_1) | instskip(NEXT) | instid1(VALU_DEP_4)
	v_mad_u32 v4, v2, s43, v4
	v_mad_u32 v5, v2, s37, v5
	s_delay_alu instid0(VALU_DEP_4)
	v_mad_u32 v6, v2, s36, v6
	s_cbranch_scc0 .LBB46_40
; %bb.41:
	s_bitcmp1_b32 s31, 0
	s_cselect_b32 s16, -1, 0
	s_delay_alu instid0(SALU_CYCLE_1)
	s_and_b32 vcc_lo, exec_lo, s16
	s_cbranch_vccnz .LBB46_45
; %bb.42:
	s_clause 0x1
	s_load_b96 s[36:38], s[24:25], 0x1c
	s_load_b96 s[40:42], s[24:25], 0xdc
	s_wait_kmcnt 0x0
	v_mul_hi_u32 v2, s37, v1
	s_delay_alu instid0(VALU_DEP_1) | instskip(NEXT) | instid1(VALU_DEP_1)
	v_add_nc_u32_e32 v2, v1, v2
	v_lshrrev_b32_e32 v2, s38, v2
	s_delay_alu instid0(VALU_DEP_1) | instskip(NEXT) | instid1(VALU_DEP_1)
	v_mul_lo_u32 v2, v2, s36
	v_sub_nc_u32_e32 v1, v1, v2
	s_delay_alu instid0(VALU_DEP_1)
	v_mad_u32 v4, v1, s40, v4
	v_mad_u32 v6, v1, s41, v6
	;; [unrolled: 1-line block ×3, first 2 shown]
	s_branch .LBB46_45
.LBB46_43:
                                        ; implicit-def: $vgpr5
                                        ; implicit-def: $vgpr6
                                        ; implicit-def: $vgpr4
	s_branch .LBB46_46
.LBB46_44:
	v_dual_mov_b32 v5, 0 :: v_dual_mov_b32 v6, 0
	v_mov_b32_e32 v4, 0
.LBB46_45:
	s_cbranch_execnz .LBB46_48
.LBB46_46:
	v_mov_b32_e32 v1, 0
	s_and_not1_b32 vcc_lo, exec_lo, s30
	s_delay_alu instid0(VALU_DEP_1) | instskip(NEXT) | instid1(VALU_DEP_1)
	v_mul_u64_e32 v[2:3], s[20:21], v[0:1]
	v_add_nc_u32_e32 v2, v0, v3
	s_delay_alu instid0(VALU_DEP_1) | instskip(NEXT) | instid1(VALU_DEP_1)
	v_lshrrev_b32_e32 v2, s6, v2
	v_mul_lo_u32 v3, v2, s4
	s_delay_alu instid0(VALU_DEP_1) | instskip(NEXT) | instid1(VALU_DEP_1)
	v_sub_nc_u32_e32 v3, v0, v3
	v_mul_lo_u32 v4, v3, s8
	v_mul_lo_u32 v5, v3, s10
	;; [unrolled: 1-line block ×3, first 2 shown]
	s_cbranch_vccnz .LBB46_48
; %bb.47:
	v_mov_b32_e32 v3, v1
	s_delay_alu instid0(VALU_DEP_1) | instskip(NEXT) | instid1(VALU_DEP_1)
	v_mul_u64_e32 v[8:9], s[22:23], v[2:3]
	v_add_nc_u32_e32 v1, v2, v9
	s_delay_alu instid0(VALU_DEP_1) | instskip(NEXT) | instid1(VALU_DEP_1)
	v_lshrrev_b32_e32 v1, s17, v1
	v_mul_lo_u32 v1, v1, s7
	s_delay_alu instid0(VALU_DEP_1) | instskip(NEXT) | instid1(VALU_DEP_1)
	v_sub_nc_u32_e32 v1, v2, v1
	v_mad_u32 v4, v1, s11, v4
	v_mad_u32 v6, v1, s18, v6
	v_mad_u32 v5, v1, s19, v5
.LBB46_48:
	global_load_u16 v1, v6, s[2:3]
	s_mov_b32 s16, exec_lo
	s_wait_loadcnt 0x0
	v_lshlrev_b32_e32 v2, 16, v1
	s_wait_xcnt 0x0
	s_delay_alu instid0(VALU_DEP_1)
	v_cmpx_nlt_f32_e32 0, v2
	s_cbranch_execz .LBB46_50
; %bb.49:
	global_load_u16 v1, v5, s[14:15]
	s_wait_loadcnt 0x0
	v_lshlrev_b32_e32 v1, 16, v1
	s_delay_alu instid0(VALU_DEP_1) | instskip(NEXT) | instid1(VALU_DEP_1)
	v_mul_f32_e32 v1, v2, v1
	v_bfe_u32 v2, v1, 16, 1
	v_cmp_o_f32_e32 vcc_lo, v1, v1
	s_delay_alu instid0(VALU_DEP_2) | instskip(NEXT) | instid1(VALU_DEP_1)
	v_add3_u32 v2, v1, v2, 0x7fff
	v_lshrrev_b32_e32 v2, 16, v2
	s_delay_alu instid0(VALU_DEP_1)
	v_cndmask_b32_e32 v1, 0x7fc0, v2, vcc_lo
.LBB46_50:
	s_wait_xcnt 0x0
	s_or_b32 exec_lo, exec_lo, s16
	v_add_nc_u32_e32 v0, 0x80, v0
	global_store_b16 v4, v1, s[0:1]
	s_wait_xcnt 0x0
	s_or_b32 exec_lo, exec_lo, s5
	s_delay_alu instid0(SALU_CYCLE_1)
	s_mov_b32 s5, exec_lo
	v_cmpx_gt_i32_e64 s33, v0
	s_cbranch_execz .LBB46_5
.LBB46_51:
	s_and_not1_b32 vcc_lo, exec_lo, s28
	s_cbranch_vccnz .LBB46_57
; %bb.52:
	s_and_not1_b32 vcc_lo, exec_lo, s34
	s_cbranch_vccnz .LBB46_58
; %bb.53:
	v_dual_mov_b32 v4, 0 :: v_dual_mov_b32 v1, v0
	v_dual_mov_b32 v6, 0 :: v_dual_mov_b32 v5, 0
	s_add_co_i32 s16, s31, 1
	s_mov_b64 s[24:25], 0xffffffffffffffe8
	s_and_b32 s16, s16, 30
	s_add_nc_u64 s[24:25], s[12:13], s[24:25]
.LBB46_54:                              ; =>This Inner Loop Header: Depth=1
	s_clause 0x1
	s_load_b128 s[36:39], s[24:25], 0x1c
	s_load_b64 s[44:45], s[24:25], 0x2c
	s_add_co_i32 s16, s16, -2
	s_delay_alu instid0(SALU_CYCLE_1) | instskip(SKIP_2) | instid1(VALU_DEP_1)
	s_cmp_eq_u32 s16, 0
	s_wait_kmcnt 0x0
	v_mul_hi_u32 v2, s37, v1
	v_add_nc_u32_e32 v2, v1, v2
	s_delay_alu instid0(VALU_DEP_1) | instskip(NEXT) | instid1(VALU_DEP_1)
	v_lshrrev_b32_e32 v2, s38, v2
	v_mul_hi_u32 v3, s44, v2
	v_mul_lo_u32 v7, v2, s36
	s_clause 0x1
	s_load_b128 s[40:43], s[24:25], 0xdc
	s_load_b64 s[36:37], s[24:25], 0xec
	s_wait_xcnt 0x0
	s_add_nc_u64 s[24:25], s[24:25], 24
	s_delay_alu instid0(VALU_DEP_2) | instskip(NEXT) | instid1(VALU_DEP_2)
	v_add_nc_u32_e32 v3, v2, v3
	v_sub_nc_u32_e32 v7, v1, v7
	s_delay_alu instid0(VALU_DEP_2) | instskip(SKIP_1) | instid1(VALU_DEP_2)
	v_lshrrev_b32_e32 v1, s45, v3
	s_wait_kmcnt 0x0
	v_mad_u32 v4, v7, s40, v4
	s_delay_alu instid0(VALU_DEP_2) | instskip(SKIP_2) | instid1(VALU_DEP_3)
	v_mul_lo_u32 v3, v1, s39
	v_mad_u32 v5, v7, s42, v5
	v_mad_u32 v6, v7, s41, v6
	v_sub_nc_u32_e32 v2, v2, v3
	s_delay_alu instid0(VALU_DEP_1) | instskip(NEXT) | instid1(VALU_DEP_4)
	v_mad_u32 v4, v2, s43, v4
	v_mad_u32 v5, v2, s37, v5
	s_delay_alu instid0(VALU_DEP_4)
	v_mad_u32 v6, v2, s36, v6
	s_cbranch_scc0 .LBB46_54
; %bb.55:
	s_bitcmp1_b32 s31, 0
	s_cselect_b32 s16, -1, 0
	s_delay_alu instid0(SALU_CYCLE_1)
	s_and_b32 vcc_lo, exec_lo, s16
	s_cbranch_vccnz .LBB46_59
; %bb.56:
	s_clause 0x1
	s_load_b96 s[36:38], s[24:25], 0x1c
	s_load_b96 s[40:42], s[24:25], 0xdc
	s_wait_kmcnt 0x0
	v_mul_hi_u32 v2, s37, v1
	s_delay_alu instid0(VALU_DEP_1) | instskip(NEXT) | instid1(VALU_DEP_1)
	v_add_nc_u32_e32 v2, v1, v2
	v_lshrrev_b32_e32 v2, s38, v2
	s_delay_alu instid0(VALU_DEP_1) | instskip(NEXT) | instid1(VALU_DEP_1)
	v_mul_lo_u32 v2, v2, s36
	v_sub_nc_u32_e32 v1, v1, v2
	s_delay_alu instid0(VALU_DEP_1)
	v_mad_u32 v4, v1, s40, v4
	v_mad_u32 v6, v1, s41, v6
	;; [unrolled: 1-line block ×3, first 2 shown]
	s_branch .LBB46_59
.LBB46_57:
                                        ; implicit-def: $vgpr5
                                        ; implicit-def: $vgpr6
                                        ; implicit-def: $vgpr4
	s_branch .LBB46_60
.LBB46_58:
	v_dual_mov_b32 v5, 0 :: v_dual_mov_b32 v6, 0
	v_mov_b32_e32 v4, 0
.LBB46_59:
	s_cbranch_execnz .LBB46_62
.LBB46_60:
	v_mov_b32_e32 v1, 0
	s_and_not1_b32 vcc_lo, exec_lo, s30
	s_delay_alu instid0(VALU_DEP_1) | instskip(NEXT) | instid1(VALU_DEP_1)
	v_mul_u64_e32 v[2:3], s[20:21], v[0:1]
	v_add_nc_u32_e32 v2, v0, v3
	s_delay_alu instid0(VALU_DEP_1) | instskip(NEXT) | instid1(VALU_DEP_1)
	v_lshrrev_b32_e32 v2, s6, v2
	v_mul_lo_u32 v3, v2, s4
	s_delay_alu instid0(VALU_DEP_1) | instskip(NEXT) | instid1(VALU_DEP_1)
	v_sub_nc_u32_e32 v3, v0, v3
	v_mul_lo_u32 v4, v3, s8
	v_mul_lo_u32 v5, v3, s10
	;; [unrolled: 1-line block ×3, first 2 shown]
	s_cbranch_vccnz .LBB46_62
; %bb.61:
	v_mov_b32_e32 v3, v1
	s_delay_alu instid0(VALU_DEP_1) | instskip(NEXT) | instid1(VALU_DEP_1)
	v_mul_u64_e32 v[8:9], s[22:23], v[2:3]
	v_add_nc_u32_e32 v1, v2, v9
	s_delay_alu instid0(VALU_DEP_1) | instskip(NEXT) | instid1(VALU_DEP_1)
	v_lshrrev_b32_e32 v1, s17, v1
	v_mul_lo_u32 v1, v1, s7
	s_delay_alu instid0(VALU_DEP_1) | instskip(NEXT) | instid1(VALU_DEP_1)
	v_sub_nc_u32_e32 v1, v2, v1
	v_mad_u32 v4, v1, s11, v4
	v_mad_u32 v6, v1, s18, v6
	;; [unrolled: 1-line block ×3, first 2 shown]
.LBB46_62:
	global_load_u16 v1, v6, s[2:3]
	s_mov_b32 s16, exec_lo
	s_wait_loadcnt 0x0
	v_lshlrev_b32_e32 v2, 16, v1
	s_wait_xcnt 0x0
	s_delay_alu instid0(VALU_DEP_1)
	v_cmpx_nlt_f32_e32 0, v2
	s_cbranch_execz .LBB46_64
; %bb.63:
	global_load_u16 v1, v5, s[14:15]
	s_wait_loadcnt 0x0
	v_lshlrev_b32_e32 v1, 16, v1
	s_delay_alu instid0(VALU_DEP_1) | instskip(NEXT) | instid1(VALU_DEP_1)
	v_mul_f32_e32 v1, v2, v1
	v_bfe_u32 v2, v1, 16, 1
	v_cmp_o_f32_e32 vcc_lo, v1, v1
	s_delay_alu instid0(VALU_DEP_2) | instskip(NEXT) | instid1(VALU_DEP_1)
	v_add3_u32 v2, v1, v2, 0x7fff
	v_lshrrev_b32_e32 v2, 16, v2
	s_delay_alu instid0(VALU_DEP_1)
	v_cndmask_b32_e32 v1, 0x7fc0, v2, vcc_lo
.LBB46_64:
	s_wait_xcnt 0x0
	s_or_b32 exec_lo, exec_lo, s16
	v_add_nc_u32_e32 v0, 0x80, v0
	global_store_b16 v4, v1, s[0:1]
	s_wait_xcnt 0x0
	s_or_b32 exec_lo, exec_lo, s5
	s_delay_alu instid0(SALU_CYCLE_1)
	s_mov_b32 s5, exec_lo
	v_cmpx_gt_i32_e64 s33, v0
	s_cbranch_execz .LBB46_6
.LBB46_65:
	s_and_not1_b32 vcc_lo, exec_lo, s28
	s_cbranch_vccnz .LBB46_71
; %bb.66:
	s_and_not1_b32 vcc_lo, exec_lo, s34
	s_cbranch_vccnz .LBB46_72
; %bb.67:
	v_dual_mov_b32 v4, 0 :: v_dual_mov_b32 v1, v0
	v_dual_mov_b32 v6, 0 :: v_dual_mov_b32 v5, 0
	s_add_co_i32 s16, s31, 1
	s_mov_b64 s[24:25], 0xffffffffffffffe8
	s_and_b32 s16, s16, 30
	s_add_nc_u64 s[24:25], s[12:13], s[24:25]
.LBB46_68:                              ; =>This Inner Loop Header: Depth=1
	s_clause 0x1
	s_load_b128 s[36:39], s[24:25], 0x1c
	s_load_b64 s[44:45], s[24:25], 0x2c
	s_add_co_i32 s16, s16, -2
	s_delay_alu instid0(SALU_CYCLE_1) | instskip(SKIP_2) | instid1(VALU_DEP_1)
	s_cmp_eq_u32 s16, 0
	s_wait_kmcnt 0x0
	v_mul_hi_u32 v2, s37, v1
	v_add_nc_u32_e32 v2, v1, v2
	s_delay_alu instid0(VALU_DEP_1) | instskip(NEXT) | instid1(VALU_DEP_1)
	v_lshrrev_b32_e32 v2, s38, v2
	v_mul_hi_u32 v3, s44, v2
	v_mul_lo_u32 v7, v2, s36
	s_clause 0x1
	s_load_b128 s[40:43], s[24:25], 0xdc
	s_load_b64 s[36:37], s[24:25], 0xec
	s_wait_xcnt 0x0
	s_add_nc_u64 s[24:25], s[24:25], 24
	s_delay_alu instid0(VALU_DEP_2) | instskip(NEXT) | instid1(VALU_DEP_2)
	v_add_nc_u32_e32 v3, v2, v3
	v_sub_nc_u32_e32 v7, v1, v7
	s_delay_alu instid0(VALU_DEP_2) | instskip(SKIP_1) | instid1(VALU_DEP_2)
	v_lshrrev_b32_e32 v1, s45, v3
	s_wait_kmcnt 0x0
	v_mad_u32 v4, v7, s40, v4
	s_delay_alu instid0(VALU_DEP_2) | instskip(SKIP_2) | instid1(VALU_DEP_3)
	v_mul_lo_u32 v3, v1, s39
	v_mad_u32 v5, v7, s42, v5
	v_mad_u32 v6, v7, s41, v6
	v_sub_nc_u32_e32 v2, v2, v3
	s_delay_alu instid0(VALU_DEP_1) | instskip(NEXT) | instid1(VALU_DEP_4)
	v_mad_u32 v4, v2, s43, v4
	v_mad_u32 v5, v2, s37, v5
	s_delay_alu instid0(VALU_DEP_4)
	v_mad_u32 v6, v2, s36, v6
	s_cbranch_scc0 .LBB46_68
; %bb.69:
	s_bitcmp1_b32 s31, 0
	s_cselect_b32 s16, -1, 0
	s_delay_alu instid0(SALU_CYCLE_1)
	s_and_b32 vcc_lo, exec_lo, s16
	s_cbranch_vccnz .LBB46_73
; %bb.70:
	s_clause 0x1
	s_load_b96 s[36:38], s[24:25], 0x1c
	s_load_b96 s[40:42], s[24:25], 0xdc
	s_wait_kmcnt 0x0
	v_mul_hi_u32 v2, s37, v1
	s_delay_alu instid0(VALU_DEP_1) | instskip(NEXT) | instid1(VALU_DEP_1)
	v_add_nc_u32_e32 v2, v1, v2
	v_lshrrev_b32_e32 v2, s38, v2
	s_delay_alu instid0(VALU_DEP_1) | instskip(NEXT) | instid1(VALU_DEP_1)
	v_mul_lo_u32 v2, v2, s36
	v_sub_nc_u32_e32 v1, v1, v2
	s_delay_alu instid0(VALU_DEP_1)
	v_mad_u32 v4, v1, s40, v4
	v_mad_u32 v6, v1, s41, v6
	;; [unrolled: 1-line block ×3, first 2 shown]
	s_branch .LBB46_73
.LBB46_71:
                                        ; implicit-def: $vgpr5
                                        ; implicit-def: $vgpr6
                                        ; implicit-def: $vgpr4
	s_branch .LBB46_74
.LBB46_72:
	v_dual_mov_b32 v5, 0 :: v_dual_mov_b32 v6, 0
	v_mov_b32_e32 v4, 0
.LBB46_73:
	s_cbranch_execnz .LBB46_76
.LBB46_74:
	v_mov_b32_e32 v1, 0
	s_and_not1_b32 vcc_lo, exec_lo, s30
	s_delay_alu instid0(VALU_DEP_1) | instskip(NEXT) | instid1(VALU_DEP_1)
	v_mul_u64_e32 v[2:3], s[20:21], v[0:1]
	v_add_nc_u32_e32 v2, v0, v3
	s_delay_alu instid0(VALU_DEP_1) | instskip(NEXT) | instid1(VALU_DEP_1)
	v_lshrrev_b32_e32 v2, s6, v2
	v_mul_lo_u32 v3, v2, s4
	s_delay_alu instid0(VALU_DEP_1) | instskip(NEXT) | instid1(VALU_DEP_1)
	v_sub_nc_u32_e32 v3, v0, v3
	v_mul_lo_u32 v4, v3, s8
	v_mul_lo_u32 v5, v3, s10
	;; [unrolled: 1-line block ×3, first 2 shown]
	s_cbranch_vccnz .LBB46_76
; %bb.75:
	v_mov_b32_e32 v3, v1
	s_delay_alu instid0(VALU_DEP_1) | instskip(NEXT) | instid1(VALU_DEP_1)
	v_mul_u64_e32 v[8:9], s[22:23], v[2:3]
	v_add_nc_u32_e32 v1, v2, v9
	s_delay_alu instid0(VALU_DEP_1) | instskip(NEXT) | instid1(VALU_DEP_1)
	v_lshrrev_b32_e32 v1, s17, v1
	v_mul_lo_u32 v1, v1, s7
	s_delay_alu instid0(VALU_DEP_1) | instskip(NEXT) | instid1(VALU_DEP_1)
	v_sub_nc_u32_e32 v1, v2, v1
	v_mad_u32 v4, v1, s11, v4
	v_mad_u32 v6, v1, s18, v6
	;; [unrolled: 1-line block ×3, first 2 shown]
.LBB46_76:
	global_load_u16 v1, v6, s[2:3]
	s_mov_b32 s16, exec_lo
	s_wait_loadcnt 0x0
	v_lshlrev_b32_e32 v2, 16, v1
	s_wait_xcnt 0x0
	s_delay_alu instid0(VALU_DEP_1)
	v_cmpx_nlt_f32_e32 0, v2
	s_cbranch_execz .LBB46_78
; %bb.77:
	global_load_u16 v1, v5, s[14:15]
	s_wait_loadcnt 0x0
	v_lshlrev_b32_e32 v1, 16, v1
	s_delay_alu instid0(VALU_DEP_1) | instskip(NEXT) | instid1(VALU_DEP_1)
	v_mul_f32_e32 v1, v2, v1
	v_bfe_u32 v2, v1, 16, 1
	v_cmp_o_f32_e32 vcc_lo, v1, v1
	s_delay_alu instid0(VALU_DEP_2) | instskip(NEXT) | instid1(VALU_DEP_1)
	v_add3_u32 v2, v1, v2, 0x7fff
	v_lshrrev_b32_e32 v2, 16, v2
	s_delay_alu instid0(VALU_DEP_1)
	v_cndmask_b32_e32 v1, 0x7fc0, v2, vcc_lo
.LBB46_78:
	s_wait_xcnt 0x0
	s_or_b32 exec_lo, exec_lo, s16
	v_add_nc_u32_e32 v0, 0x80, v0
	global_store_b16 v4, v1, s[0:1]
	s_wait_xcnt 0x0
	s_or_b32 exec_lo, exec_lo, s5
	s_delay_alu instid0(SALU_CYCLE_1)
	s_mov_b32 s5, exec_lo
	v_cmpx_gt_i32_e64 s33, v0
	s_cbranch_execz .LBB46_7
.LBB46_79:
	s_and_not1_b32 vcc_lo, exec_lo, s28
	s_cbranch_vccnz .LBB46_85
; %bb.80:
	s_and_not1_b32 vcc_lo, exec_lo, s34
	s_cbranch_vccnz .LBB46_86
; %bb.81:
	v_dual_mov_b32 v4, 0 :: v_dual_mov_b32 v1, v0
	v_dual_mov_b32 v6, 0 :: v_dual_mov_b32 v5, 0
	s_add_co_i32 s16, s31, 1
	s_mov_b64 s[24:25], 0xffffffffffffffe8
	s_and_b32 s16, s16, 30
	s_add_nc_u64 s[24:25], s[12:13], s[24:25]
.LBB46_82:                              ; =>This Inner Loop Header: Depth=1
	s_clause 0x1
	s_load_b128 s[36:39], s[24:25], 0x1c
	s_load_b64 s[44:45], s[24:25], 0x2c
	s_add_co_i32 s16, s16, -2
	s_delay_alu instid0(SALU_CYCLE_1) | instskip(SKIP_2) | instid1(VALU_DEP_1)
	s_cmp_eq_u32 s16, 0
	s_wait_kmcnt 0x0
	v_mul_hi_u32 v2, s37, v1
	v_add_nc_u32_e32 v2, v1, v2
	s_delay_alu instid0(VALU_DEP_1) | instskip(NEXT) | instid1(VALU_DEP_1)
	v_lshrrev_b32_e32 v2, s38, v2
	v_mul_hi_u32 v3, s44, v2
	v_mul_lo_u32 v7, v2, s36
	s_clause 0x1
	s_load_b128 s[40:43], s[24:25], 0xdc
	s_load_b64 s[36:37], s[24:25], 0xec
	s_wait_xcnt 0x0
	s_add_nc_u64 s[24:25], s[24:25], 24
	s_delay_alu instid0(VALU_DEP_2) | instskip(NEXT) | instid1(VALU_DEP_2)
	v_add_nc_u32_e32 v3, v2, v3
	v_sub_nc_u32_e32 v7, v1, v7
	s_delay_alu instid0(VALU_DEP_2) | instskip(SKIP_1) | instid1(VALU_DEP_2)
	v_lshrrev_b32_e32 v1, s45, v3
	s_wait_kmcnt 0x0
	v_mad_u32 v4, v7, s40, v4
	s_delay_alu instid0(VALU_DEP_2) | instskip(SKIP_2) | instid1(VALU_DEP_3)
	v_mul_lo_u32 v3, v1, s39
	v_mad_u32 v5, v7, s42, v5
	v_mad_u32 v6, v7, s41, v6
	v_sub_nc_u32_e32 v2, v2, v3
	s_delay_alu instid0(VALU_DEP_1) | instskip(NEXT) | instid1(VALU_DEP_4)
	v_mad_u32 v4, v2, s43, v4
	v_mad_u32 v5, v2, s37, v5
	s_delay_alu instid0(VALU_DEP_4)
	v_mad_u32 v6, v2, s36, v6
	s_cbranch_scc0 .LBB46_82
; %bb.83:
	s_bitcmp1_b32 s31, 0
	s_cselect_b32 s16, -1, 0
	s_delay_alu instid0(SALU_CYCLE_1)
	s_and_b32 vcc_lo, exec_lo, s16
	s_cbranch_vccnz .LBB46_87
; %bb.84:
	s_clause 0x1
	s_load_b96 s[36:38], s[24:25], 0x1c
	s_load_b96 s[40:42], s[24:25], 0xdc
	s_wait_kmcnt 0x0
	v_mul_hi_u32 v2, s37, v1
	s_delay_alu instid0(VALU_DEP_1) | instskip(NEXT) | instid1(VALU_DEP_1)
	v_add_nc_u32_e32 v2, v1, v2
	v_lshrrev_b32_e32 v2, s38, v2
	s_delay_alu instid0(VALU_DEP_1) | instskip(NEXT) | instid1(VALU_DEP_1)
	v_mul_lo_u32 v2, v2, s36
	v_sub_nc_u32_e32 v1, v1, v2
	s_delay_alu instid0(VALU_DEP_1)
	v_mad_u32 v4, v1, s40, v4
	v_mad_u32 v6, v1, s41, v6
	;; [unrolled: 1-line block ×3, first 2 shown]
	s_branch .LBB46_87
.LBB46_85:
                                        ; implicit-def: $vgpr5
                                        ; implicit-def: $vgpr6
                                        ; implicit-def: $vgpr4
	s_branch .LBB46_88
.LBB46_86:
	v_dual_mov_b32 v5, 0 :: v_dual_mov_b32 v6, 0
	v_mov_b32_e32 v4, 0
.LBB46_87:
	s_cbranch_execnz .LBB46_90
.LBB46_88:
	v_mov_b32_e32 v1, 0
	s_and_not1_b32 vcc_lo, exec_lo, s30
	s_delay_alu instid0(VALU_DEP_1) | instskip(NEXT) | instid1(VALU_DEP_1)
	v_mul_u64_e32 v[2:3], s[20:21], v[0:1]
	v_add_nc_u32_e32 v2, v0, v3
	s_delay_alu instid0(VALU_DEP_1) | instskip(NEXT) | instid1(VALU_DEP_1)
	v_lshrrev_b32_e32 v2, s6, v2
	v_mul_lo_u32 v3, v2, s4
	s_delay_alu instid0(VALU_DEP_1) | instskip(NEXT) | instid1(VALU_DEP_1)
	v_sub_nc_u32_e32 v3, v0, v3
	v_mul_lo_u32 v4, v3, s8
	v_mul_lo_u32 v5, v3, s10
	;; [unrolled: 1-line block ×3, first 2 shown]
	s_cbranch_vccnz .LBB46_90
; %bb.89:
	v_mov_b32_e32 v3, v1
	s_delay_alu instid0(VALU_DEP_1) | instskip(NEXT) | instid1(VALU_DEP_1)
	v_mul_u64_e32 v[8:9], s[22:23], v[2:3]
	v_add_nc_u32_e32 v1, v2, v9
	s_delay_alu instid0(VALU_DEP_1) | instskip(NEXT) | instid1(VALU_DEP_1)
	v_lshrrev_b32_e32 v1, s17, v1
	v_mul_lo_u32 v1, v1, s7
	s_delay_alu instid0(VALU_DEP_1) | instskip(NEXT) | instid1(VALU_DEP_1)
	v_sub_nc_u32_e32 v1, v2, v1
	v_mad_u32 v4, v1, s11, v4
	v_mad_u32 v6, v1, s18, v6
	v_mad_u32 v5, v1, s19, v5
.LBB46_90:
	global_load_u16 v1, v6, s[2:3]
	s_mov_b32 s16, exec_lo
	s_wait_loadcnt 0x0
	v_lshlrev_b32_e32 v2, 16, v1
	s_wait_xcnt 0x0
	s_delay_alu instid0(VALU_DEP_1)
	v_cmpx_nlt_f32_e32 0, v2
	s_cbranch_execz .LBB46_92
; %bb.91:
	global_load_u16 v1, v5, s[14:15]
	s_wait_loadcnt 0x0
	v_lshlrev_b32_e32 v1, 16, v1
	s_delay_alu instid0(VALU_DEP_1) | instskip(NEXT) | instid1(VALU_DEP_1)
	v_mul_f32_e32 v1, v2, v1
	v_bfe_u32 v2, v1, 16, 1
	v_cmp_o_f32_e32 vcc_lo, v1, v1
	s_delay_alu instid0(VALU_DEP_2) | instskip(NEXT) | instid1(VALU_DEP_1)
	v_add3_u32 v2, v1, v2, 0x7fff
	v_lshrrev_b32_e32 v2, 16, v2
	s_delay_alu instid0(VALU_DEP_1)
	v_cndmask_b32_e32 v1, 0x7fc0, v2, vcc_lo
.LBB46_92:
	s_wait_xcnt 0x0
	s_or_b32 exec_lo, exec_lo, s16
	v_add_nc_u32_e32 v0, 0x80, v0
	global_store_b16 v4, v1, s[0:1]
	s_wait_xcnt 0x0
	s_or_b32 exec_lo, exec_lo, s5
	s_delay_alu instid0(SALU_CYCLE_1)
	s_mov_b32 s5, exec_lo
	v_cmpx_gt_i32_e64 s33, v0
	s_cbranch_execz .LBB46_8
.LBB46_93:
	s_and_not1_b32 vcc_lo, exec_lo, s28
	s_cbranch_vccnz .LBB46_99
; %bb.94:
	s_and_not1_b32 vcc_lo, exec_lo, s34
	s_cbranch_vccnz .LBB46_100
; %bb.95:
	v_dual_mov_b32 v4, 0 :: v_dual_mov_b32 v1, v0
	v_dual_mov_b32 v6, 0 :: v_dual_mov_b32 v5, 0
	s_add_co_i32 s16, s31, 1
	s_mov_b64 s[24:25], 0xffffffffffffffe8
	s_and_b32 s16, s16, 30
	s_add_nc_u64 s[24:25], s[12:13], s[24:25]
.LBB46_96:                              ; =>This Inner Loop Header: Depth=1
	s_clause 0x1
	s_load_b128 s[36:39], s[24:25], 0x1c
	s_load_b64 s[44:45], s[24:25], 0x2c
	s_add_co_i32 s16, s16, -2
	s_delay_alu instid0(SALU_CYCLE_1) | instskip(SKIP_2) | instid1(VALU_DEP_1)
	s_cmp_eq_u32 s16, 0
	s_wait_kmcnt 0x0
	v_mul_hi_u32 v2, s37, v1
	v_add_nc_u32_e32 v2, v1, v2
	s_delay_alu instid0(VALU_DEP_1) | instskip(NEXT) | instid1(VALU_DEP_1)
	v_lshrrev_b32_e32 v2, s38, v2
	v_mul_hi_u32 v3, s44, v2
	v_mul_lo_u32 v7, v2, s36
	s_clause 0x1
	s_load_b128 s[40:43], s[24:25], 0xdc
	s_load_b64 s[36:37], s[24:25], 0xec
	s_wait_xcnt 0x0
	s_add_nc_u64 s[24:25], s[24:25], 24
	s_delay_alu instid0(VALU_DEP_2) | instskip(NEXT) | instid1(VALU_DEP_2)
	v_add_nc_u32_e32 v3, v2, v3
	v_sub_nc_u32_e32 v7, v1, v7
	s_delay_alu instid0(VALU_DEP_2) | instskip(SKIP_1) | instid1(VALU_DEP_2)
	v_lshrrev_b32_e32 v1, s45, v3
	s_wait_kmcnt 0x0
	v_mad_u32 v4, v7, s40, v4
	s_delay_alu instid0(VALU_DEP_2) | instskip(SKIP_2) | instid1(VALU_DEP_3)
	v_mul_lo_u32 v3, v1, s39
	v_mad_u32 v5, v7, s42, v5
	v_mad_u32 v6, v7, s41, v6
	v_sub_nc_u32_e32 v2, v2, v3
	s_delay_alu instid0(VALU_DEP_1) | instskip(NEXT) | instid1(VALU_DEP_4)
	v_mad_u32 v4, v2, s43, v4
	v_mad_u32 v5, v2, s37, v5
	s_delay_alu instid0(VALU_DEP_4)
	v_mad_u32 v6, v2, s36, v6
	s_cbranch_scc0 .LBB46_96
; %bb.97:
	s_bitcmp1_b32 s31, 0
	s_cselect_b32 s16, -1, 0
	s_delay_alu instid0(SALU_CYCLE_1)
	s_and_b32 vcc_lo, exec_lo, s16
	s_cbranch_vccnz .LBB46_101
; %bb.98:
	s_clause 0x1
	s_load_b96 s[36:38], s[24:25], 0x1c
	s_load_b96 s[40:42], s[24:25], 0xdc
	s_wait_kmcnt 0x0
	v_mul_hi_u32 v2, s37, v1
	s_delay_alu instid0(VALU_DEP_1) | instskip(NEXT) | instid1(VALU_DEP_1)
	v_add_nc_u32_e32 v2, v1, v2
	v_lshrrev_b32_e32 v2, s38, v2
	s_delay_alu instid0(VALU_DEP_1) | instskip(NEXT) | instid1(VALU_DEP_1)
	v_mul_lo_u32 v2, v2, s36
	v_sub_nc_u32_e32 v1, v1, v2
	s_delay_alu instid0(VALU_DEP_1)
	v_mad_u32 v4, v1, s40, v4
	v_mad_u32 v6, v1, s41, v6
	;; [unrolled: 1-line block ×3, first 2 shown]
	s_branch .LBB46_101
.LBB46_99:
                                        ; implicit-def: $vgpr5
                                        ; implicit-def: $vgpr6
                                        ; implicit-def: $vgpr4
	s_branch .LBB46_102
.LBB46_100:
	v_dual_mov_b32 v5, 0 :: v_dual_mov_b32 v6, 0
	v_mov_b32_e32 v4, 0
.LBB46_101:
	s_cbranch_execnz .LBB46_104
.LBB46_102:
	v_mov_b32_e32 v1, 0
	s_and_not1_b32 vcc_lo, exec_lo, s30
	s_delay_alu instid0(VALU_DEP_1) | instskip(NEXT) | instid1(VALU_DEP_1)
	v_mul_u64_e32 v[2:3], s[20:21], v[0:1]
	v_add_nc_u32_e32 v2, v0, v3
	s_delay_alu instid0(VALU_DEP_1) | instskip(NEXT) | instid1(VALU_DEP_1)
	v_lshrrev_b32_e32 v2, s6, v2
	v_mul_lo_u32 v3, v2, s4
	s_delay_alu instid0(VALU_DEP_1) | instskip(NEXT) | instid1(VALU_DEP_1)
	v_sub_nc_u32_e32 v3, v0, v3
	v_mul_lo_u32 v4, v3, s8
	v_mul_lo_u32 v5, v3, s10
	;; [unrolled: 1-line block ×3, first 2 shown]
	s_cbranch_vccnz .LBB46_104
; %bb.103:
	v_mov_b32_e32 v3, v1
	s_delay_alu instid0(VALU_DEP_1) | instskip(NEXT) | instid1(VALU_DEP_1)
	v_mul_u64_e32 v[8:9], s[22:23], v[2:3]
	v_add_nc_u32_e32 v1, v2, v9
	s_delay_alu instid0(VALU_DEP_1) | instskip(NEXT) | instid1(VALU_DEP_1)
	v_lshrrev_b32_e32 v1, s17, v1
	v_mul_lo_u32 v1, v1, s7
	s_delay_alu instid0(VALU_DEP_1) | instskip(NEXT) | instid1(VALU_DEP_1)
	v_sub_nc_u32_e32 v1, v2, v1
	v_mad_u32 v4, v1, s11, v4
	v_mad_u32 v6, v1, s18, v6
	v_mad_u32 v5, v1, s19, v5
.LBB46_104:
	global_load_u16 v1, v6, s[2:3]
	s_mov_b32 s16, exec_lo
	s_wait_loadcnt 0x0
	v_lshlrev_b32_e32 v2, 16, v1
	s_wait_xcnt 0x0
	s_delay_alu instid0(VALU_DEP_1)
	v_cmpx_nlt_f32_e32 0, v2
	s_cbranch_execz .LBB46_106
; %bb.105:
	global_load_u16 v1, v5, s[14:15]
	s_wait_loadcnt 0x0
	v_lshlrev_b32_e32 v1, 16, v1
	s_delay_alu instid0(VALU_DEP_1) | instskip(NEXT) | instid1(VALU_DEP_1)
	v_mul_f32_e32 v1, v2, v1
	v_bfe_u32 v2, v1, 16, 1
	v_cmp_o_f32_e32 vcc_lo, v1, v1
	s_delay_alu instid0(VALU_DEP_2) | instskip(NEXT) | instid1(VALU_DEP_1)
	v_add3_u32 v2, v1, v2, 0x7fff
	v_lshrrev_b32_e32 v2, 16, v2
	s_delay_alu instid0(VALU_DEP_1)
	v_cndmask_b32_e32 v1, 0x7fc0, v2, vcc_lo
.LBB46_106:
	s_wait_xcnt 0x0
	s_or_b32 exec_lo, exec_lo, s16
	v_add_nc_u32_e32 v0, 0x80, v0
	global_store_b16 v4, v1, s[0:1]
	s_wait_xcnt 0x0
	s_or_b32 exec_lo, exec_lo, s5
	s_delay_alu instid0(SALU_CYCLE_1)
	s_mov_b32 s5, exec_lo
	v_cmpx_gt_i32_e64 s33, v0
	s_cbranch_execz .LBB46_121
.LBB46_107:
	s_and_not1_b32 vcc_lo, exec_lo, s28
	s_cbranch_vccnz .LBB46_113
; %bb.108:
	s_and_not1_b32 vcc_lo, exec_lo, s34
	s_cbranch_vccnz .LBB46_114
; %bb.109:
	v_dual_mov_b32 v4, 0 :: v_dual_mov_b32 v1, v0
	v_dual_mov_b32 v6, 0 :: v_dual_mov_b32 v5, 0
	s_add_co_i32 s16, s31, 1
	s_mov_b64 s[24:25], 0xffffffffffffffe8
	s_and_b32 s16, s16, 30
	s_add_nc_u64 s[24:25], s[12:13], s[24:25]
.LBB46_110:                             ; =>This Inner Loop Header: Depth=1
	s_clause 0x1
	s_load_b128 s[36:39], s[24:25], 0x1c
	s_load_b64 s[34:35], s[24:25], 0x2c
	s_add_co_i32 s16, s16, -2
	s_delay_alu instid0(SALU_CYCLE_1) | instskip(SKIP_2) | instid1(VALU_DEP_1)
	s_cmp_eq_u32 s16, 0
	s_wait_kmcnt 0x0
	v_mul_hi_u32 v2, s37, v1
	v_add_nc_u32_e32 v2, v1, v2
	s_delay_alu instid0(VALU_DEP_1) | instskip(NEXT) | instid1(VALU_DEP_1)
	v_lshrrev_b32_e32 v2, s38, v2
	v_mul_hi_u32 v3, s34, v2
	v_mul_lo_u32 v7, v2, s36
	s_clause 0x1
	s_load_b128 s[40:43], s[24:25], 0xdc
	s_load_b64 s[36:37], s[24:25], 0xec
	s_wait_xcnt 0x0
	s_add_nc_u64 s[24:25], s[24:25], 24
	s_delay_alu instid0(VALU_DEP_2) | instskip(NEXT) | instid1(VALU_DEP_2)
	v_add_nc_u32_e32 v3, v2, v3
	v_sub_nc_u32_e32 v7, v1, v7
	s_delay_alu instid0(VALU_DEP_2) | instskip(SKIP_1) | instid1(VALU_DEP_2)
	v_lshrrev_b32_e32 v1, s35, v3
	s_wait_kmcnt 0x0
	v_mad_u32 v4, v7, s40, v4
	s_delay_alu instid0(VALU_DEP_2) | instskip(SKIP_2) | instid1(VALU_DEP_3)
	v_mul_lo_u32 v3, v1, s39
	v_mad_u32 v5, v7, s42, v5
	v_mad_u32 v6, v7, s41, v6
	v_sub_nc_u32_e32 v2, v2, v3
	s_delay_alu instid0(VALU_DEP_1) | instskip(NEXT) | instid1(VALU_DEP_4)
	v_mad_u32 v4, v2, s43, v4
	v_mad_u32 v5, v2, s37, v5
	s_delay_alu instid0(VALU_DEP_4)
	v_mad_u32 v6, v2, s36, v6
	s_cbranch_scc0 .LBB46_110
; %bb.111:
	s_bitcmp1_b32 s31, 0
	s_cselect_b32 s16, -1, 0
	s_delay_alu instid0(SALU_CYCLE_1)
	s_and_b32 vcc_lo, exec_lo, s16
	s_cbranch_vccnz .LBB46_115
; %bb.112:
	s_clause 0x1
	s_load_b96 s[36:38], s[24:25], 0x1c
	s_load_b96 s[40:42], s[24:25], 0xdc
	s_wait_kmcnt 0x0
	v_mul_hi_u32 v2, s37, v1
	s_delay_alu instid0(VALU_DEP_1) | instskip(NEXT) | instid1(VALU_DEP_1)
	v_add_nc_u32_e32 v2, v1, v2
	v_lshrrev_b32_e32 v2, s38, v2
	s_delay_alu instid0(VALU_DEP_1) | instskip(NEXT) | instid1(VALU_DEP_1)
	v_mul_lo_u32 v2, v2, s36
	v_sub_nc_u32_e32 v1, v1, v2
	s_delay_alu instid0(VALU_DEP_1)
	v_mad_u32 v4, v1, s40, v4
	v_mad_u32 v6, v1, s41, v6
	;; [unrolled: 1-line block ×3, first 2 shown]
	s_branch .LBB46_115
.LBB46_113:
                                        ; implicit-def: $vgpr5
                                        ; implicit-def: $vgpr6
                                        ; implicit-def: $vgpr4
	s_branch .LBB46_116
.LBB46_114:
	v_dual_mov_b32 v5, 0 :: v_dual_mov_b32 v6, 0
	v_mov_b32_e32 v4, 0
.LBB46_115:
	s_cbranch_execnz .LBB46_118
.LBB46_116:
	v_mov_b32_e32 v1, 0
	s_and_not1_b32 vcc_lo, exec_lo, s30
	s_delay_alu instid0(VALU_DEP_1) | instskip(NEXT) | instid1(VALU_DEP_1)
	v_mul_u64_e32 v[2:3], s[20:21], v[0:1]
	v_add_nc_u32_e32 v2, v0, v3
	s_delay_alu instid0(VALU_DEP_1) | instskip(NEXT) | instid1(VALU_DEP_1)
	v_lshrrev_b32_e32 v2, s6, v2
	v_mul_lo_u32 v3, v2, s4
	s_delay_alu instid0(VALU_DEP_1) | instskip(NEXT) | instid1(VALU_DEP_1)
	v_sub_nc_u32_e32 v0, v0, v3
	v_mul_lo_u32 v4, v0, s8
	v_mul_lo_u32 v5, v0, s10
	;; [unrolled: 1-line block ×3, first 2 shown]
	s_cbranch_vccnz .LBB46_118
; %bb.117:
	v_mov_b32_e32 v3, v1
	s_delay_alu instid0(VALU_DEP_1) | instskip(NEXT) | instid1(VALU_DEP_1)
	v_mul_u64_e32 v[0:1], s[22:23], v[2:3]
	v_add_nc_u32_e32 v0, v2, v1
	s_delay_alu instid0(VALU_DEP_1) | instskip(NEXT) | instid1(VALU_DEP_1)
	v_lshrrev_b32_e32 v0, s17, v0
	v_mul_lo_u32 v0, v0, s7
	s_delay_alu instid0(VALU_DEP_1) | instskip(NEXT) | instid1(VALU_DEP_1)
	v_sub_nc_u32_e32 v0, v2, v0
	v_mad_u32 v4, v0, s11, v4
	v_mad_u32 v6, v0, s18, v6
	;; [unrolled: 1-line block ×3, first 2 shown]
.LBB46_118:
	global_load_u16 v0, v6, s[2:3]
	s_wait_xcnt 0x0
	s_mov_b32 s2, exec_lo
	s_wait_loadcnt 0x0
	v_lshlrev_b32_e32 v1, 16, v0
	s_delay_alu instid0(VALU_DEP_1)
	v_cmpx_nlt_f32_e32 0, v1
	s_cbranch_execz .LBB46_120
; %bb.119:
	global_load_u16 v0, v5, s[14:15]
	s_wait_loadcnt 0x0
	v_lshlrev_b32_e32 v0, 16, v0
	s_delay_alu instid0(VALU_DEP_1) | instskip(NEXT) | instid1(VALU_DEP_1)
	v_mul_f32_e32 v0, v1, v0
	v_bfe_u32 v1, v0, 16, 1
	v_cmp_o_f32_e32 vcc_lo, v0, v0
	s_delay_alu instid0(VALU_DEP_2) | instskip(NEXT) | instid1(VALU_DEP_1)
	v_add3_u32 v1, v0, v1, 0x7fff
	v_lshrrev_b32_e32 v1, 16, v1
	s_delay_alu instid0(VALU_DEP_1)
	v_cndmask_b32_e32 v0, 0x7fc0, v1, vcc_lo
.LBB46_120:
	s_wait_xcnt 0x0
	s_or_b32 exec_lo, exec_lo, s2
	global_store_b16 v4, v0, s[0:1]
.LBB46_121:
	s_wait_xcnt 0x0
	s_or_b32 exec_lo, exec_lo, s5
                                        ; implicit-def: $vgpr2
                                        ; implicit-def: $vgpr0
.LBB46_122:
	s_and_not1_saveexec_b32 s0, s29
	s_cbranch_execz .LBB46_129
; %bb.123:
	v_cndmask_b32_e64 v6, 0, 1, s28
	s_and_not1_b32 vcc_lo, exec_lo, s28
	s_cbranch_vccnz .LBB46_130
; %bb.124:
	s_cmp_lg_u32 s26, 0
	s_mov_b32 s2, 0
	s_cbranch_scc0 .LBB46_134
; %bb.125:
	s_min_u32 s3, s27, 15
	v_dual_mov_b32 v1, 0 :: v_dual_mov_b32 v5, v0
	v_dual_mov_b32 v4, 0 :: v_dual_mov_b32 v3, 0
	s_add_co_i32 s4, s3, 1
	s_mov_b64 s[0:1], 0xffffffffffffffe8
	s_and_b32 s4, s4, 30
	s_add_nc_u64 s[0:1], s[12:13], s[0:1]
.LBB46_126:                             ; =>This Inner Loop Header: Depth=1
	s_clause 0x1
	s_load_b128 s[8:11], s[0:1], 0x1c
	s_load_b64 s[6:7], s[0:1], 0x2c
	s_add_co_i32 s4, s4, -2
	s_delay_alu instid0(SALU_CYCLE_1) | instskip(SKIP_2) | instid1(VALU_DEP_1)
	s_cmp_lg_u32 s4, 0
	s_wait_kmcnt 0x0
	v_mul_hi_u32 v7, s9, v5
	v_add_nc_u32_e32 v7, v5, v7
	s_delay_alu instid0(VALU_DEP_1) | instskip(NEXT) | instid1(VALU_DEP_1)
	v_lshrrev_b32_e32 v7, s10, v7
	v_mul_hi_u32 v8, s6, v7
	v_mul_lo_u32 v9, v7, s8
	s_clause 0x1
	s_load_b128 s[16:19], s[0:1], 0xdc
	s_load_b64 s[8:9], s[0:1], 0xec
	s_wait_xcnt 0x0
	s_add_nc_u64 s[0:1], s[0:1], 24
	s_delay_alu instid0(VALU_DEP_1) | instskip(NEXT) | instid1(VALU_DEP_1)
	v_dual_add_nc_u32 v8, v7, v8 :: v_dual_sub_nc_u32 v9, v5, v9
	v_lshrrev_b32_e32 v5, s7, v8
	s_wait_kmcnt 0x0
	s_delay_alu instid0(VALU_DEP_2) | instskip(NEXT) | instid1(VALU_DEP_2)
	v_mad_u32 v1, v9, s16, v1
	v_mul_lo_u32 v8, v5, s11
	v_mad_u32 v3, v9, s18, v3
	v_mad_u32 v4, v9, s17, v4
	s_delay_alu instid0(VALU_DEP_3) | instskip(NEXT) | instid1(VALU_DEP_1)
	v_sub_nc_u32_e32 v7, v7, v8
	v_mad_u32 v1, v7, s19, v1
	s_delay_alu instid0(VALU_DEP_4) | instskip(NEXT) | instid1(VALU_DEP_4)
	v_mad_u32 v3, v7, s9, v3
	v_mad_u32 v4, v7, s8, v4
	s_cbranch_scc1 .LBB46_126
; %bb.127:
	s_bitcmp1_b32 s3, 0
	s_cselect_b32 s3, -1, 0
	s_delay_alu instid0(SALU_CYCLE_1)
	s_and_b32 vcc_lo, exec_lo, s3
	s_cbranch_vccnz .LBB46_131
; %bb.128:
	s_clause 0x1
	s_load_b96 s[4:6], s[0:1], 0x1c
	s_load_b96 s[8:10], s[0:1], 0xdc
	s_wait_kmcnt 0x0
	v_mul_hi_u32 v7, s5, v5
	s_delay_alu instid0(VALU_DEP_1) | instskip(NEXT) | instid1(VALU_DEP_1)
	v_add_nc_u32_e32 v7, v5, v7
	v_lshrrev_b32_e32 v7, s6, v7
	s_delay_alu instid0(VALU_DEP_1) | instskip(NEXT) | instid1(VALU_DEP_1)
	v_mul_lo_u32 v7, v7, s4
	v_sub_nc_u32_e32 v5, v5, v7
	s_delay_alu instid0(VALU_DEP_1)
	v_mad_u32 v1, v5, s8, v1
	v_mad_u32 v4, v5, s9, v4
	;; [unrolled: 1-line block ×3, first 2 shown]
	s_and_not1_b32 vcc_lo, exec_lo, s2
	s_cbranch_vccz .LBB46_132
	s_branch .LBB46_135
.LBB46_129:
	s_endpgm
.LBB46_130:
	s_mov_b32 s2, -1
                                        ; implicit-def: $vgpr3
                                        ; implicit-def: $vgpr4
                                        ; implicit-def: $vgpr1
.LBB46_131:
	s_delay_alu instid0(SALU_CYCLE_1)
	s_and_not1_b32 vcc_lo, exec_lo, s2
	s_cbranch_vccnz .LBB46_135
.LBB46_132:
	s_clause 0x1
	s_load_b96 s[0:2], s[12:13], 0x4
	s_load_b96 s[4:6], s[12:13], 0xc4
	s_cmp_lt_u32 s26, 2
	s_wait_kmcnt 0x0
	v_mul_hi_u32 v1, s1, v0
	s_delay_alu instid0(VALU_DEP_1) | instskip(NEXT) | instid1(VALU_DEP_1)
	v_add_nc_u32_e32 v1, v0, v1
	v_lshrrev_b32_e32 v5, s2, v1
	s_delay_alu instid0(VALU_DEP_1) | instskip(NEXT) | instid1(VALU_DEP_1)
	v_mul_lo_u32 v1, v5, s0
	v_sub_nc_u32_e32 v4, v0, v1
	s_delay_alu instid0(VALU_DEP_1)
	v_mul_lo_u32 v1, v4, s4
	v_mul_lo_u32 v3, v4, s6
	;; [unrolled: 1-line block ×3, first 2 shown]
	s_cbranch_scc1 .LBB46_135
; %bb.133:
	s_clause 0x1
	s_load_b96 s[0:2], s[12:13], 0x10
	s_load_b96 s[4:6], s[12:13], 0xd0
	s_wait_kmcnt 0x0
	v_mul_hi_u32 v7, s1, v5
	s_delay_alu instid0(VALU_DEP_1) | instskip(NEXT) | instid1(VALU_DEP_1)
	v_add_nc_u32_e32 v7, v5, v7
	v_lshrrev_b32_e32 v7, s2, v7
	s_delay_alu instid0(VALU_DEP_1) | instskip(NEXT) | instid1(VALU_DEP_1)
	v_mul_lo_u32 v7, v7, s0
	v_sub_nc_u32_e32 v5, v5, v7
	s_delay_alu instid0(VALU_DEP_1)
	v_mad_u32 v1, v5, s4, v1
	v_mad_u32 v4, v5, s5, v4
	;; [unrolled: 1-line block ×3, first 2 shown]
	s_branch .LBB46_135
.LBB46_134:
	v_dual_mov_b32 v3, 0 :: v_dual_mov_b32 v4, 0
	v_mov_b32_e32 v1, 0
	s_and_not1_b32 vcc_lo, exec_lo, s2
	s_cbranch_vccz .LBB46_132
.LBB46_135:
	v_cmp_ne_u32_e32 vcc_lo, 1, v6
	v_add_nc_u32_e32 v9, 0x80, v0
	s_cbranch_vccnz .LBB46_141
; %bb.136:
	s_cmp_lg_u32 s26, 0
	s_mov_b32 s2, 0
	s_cbranch_scc0 .LBB46_145
; %bb.137:
	s_min_u32 s3, s27, 15
	v_dual_mov_b32 v5, 0 :: v_dual_mov_b32 v10, v9
	v_dual_mov_b32 v8, 0 :: v_dual_mov_b32 v7, 0
	s_add_co_i32 s4, s3, 1
	s_mov_b64 s[0:1], 0xffffffffffffffe8
	s_and_b32 s4, s4, 30
	s_add_nc_u64 s[0:1], s[12:13], s[0:1]
.LBB46_138:                             ; =>This Inner Loop Header: Depth=1
	s_clause 0x1
	s_load_b128 s[8:11], s[0:1], 0x1c
	s_load_b64 s[6:7], s[0:1], 0x2c
	s_add_co_i32 s4, s4, -2
	s_delay_alu instid0(SALU_CYCLE_1) | instskip(SKIP_2) | instid1(VALU_DEP_1)
	s_cmp_lg_u32 s4, 0
	s_wait_kmcnt 0x0
	v_mul_hi_u32 v11, s9, v10
	v_add_nc_u32_e32 v11, v10, v11
	s_delay_alu instid0(VALU_DEP_1) | instskip(NEXT) | instid1(VALU_DEP_1)
	v_lshrrev_b32_e32 v11, s10, v11
	v_mul_hi_u32 v12, s6, v11
	v_mul_lo_u32 v13, v11, s8
	s_clause 0x1
	s_load_b128 s[16:19], s[0:1], 0xdc
	s_load_b64 s[8:9], s[0:1], 0xec
	s_wait_xcnt 0x0
	s_add_nc_u64 s[0:1], s[0:1], 24
	s_delay_alu instid0(VALU_DEP_1) | instskip(NEXT) | instid1(VALU_DEP_1)
	v_dual_add_nc_u32 v12, v11, v12 :: v_dual_sub_nc_u32 v13, v10, v13
	v_lshrrev_b32_e32 v10, s7, v12
	s_wait_kmcnt 0x0
	s_delay_alu instid0(VALU_DEP_2) | instskip(NEXT) | instid1(VALU_DEP_2)
	v_mad_u32 v5, v13, s16, v5
	v_mul_lo_u32 v12, v10, s11
	v_mad_u32 v7, v13, s18, v7
	v_mad_u32 v8, v13, s17, v8
	s_delay_alu instid0(VALU_DEP_3) | instskip(NEXT) | instid1(VALU_DEP_1)
	v_sub_nc_u32_e32 v11, v11, v12
	v_mad_u32 v5, v11, s19, v5
	s_delay_alu instid0(VALU_DEP_4) | instskip(NEXT) | instid1(VALU_DEP_4)
	v_mad_u32 v7, v11, s9, v7
	v_mad_u32 v8, v11, s8, v8
	s_cbranch_scc1 .LBB46_138
; %bb.139:
	s_bitcmp1_b32 s3, 0
	s_cselect_b32 s3, -1, 0
	s_delay_alu instid0(SALU_CYCLE_1)
	s_and_b32 vcc_lo, exec_lo, s3
	s_cbranch_vccnz .LBB46_142
; %bb.140:
	s_clause 0x1
	s_load_b96 s[4:6], s[0:1], 0x1c
	s_load_b96 s[8:10], s[0:1], 0xdc
	s_wait_kmcnt 0x0
	v_mul_hi_u32 v11, s5, v10
	s_delay_alu instid0(VALU_DEP_1) | instskip(NEXT) | instid1(VALU_DEP_1)
	v_add_nc_u32_e32 v11, v10, v11
	v_lshrrev_b32_e32 v11, s6, v11
	s_delay_alu instid0(VALU_DEP_1) | instskip(NEXT) | instid1(VALU_DEP_1)
	v_mul_lo_u32 v11, v11, s4
	v_sub_nc_u32_e32 v10, v10, v11
	s_delay_alu instid0(VALU_DEP_1)
	v_mad_u32 v5, v10, s8, v5
	v_mad_u32 v8, v10, s9, v8
	;; [unrolled: 1-line block ×3, first 2 shown]
	s_and_not1_b32 vcc_lo, exec_lo, s2
	s_cbranch_vccz .LBB46_143
	s_branch .LBB46_146
.LBB46_141:
	s_mov_b32 s2, -1
                                        ; implicit-def: $vgpr7
                                        ; implicit-def: $vgpr8
                                        ; implicit-def: $vgpr5
.LBB46_142:
	s_delay_alu instid0(SALU_CYCLE_1)
	s_and_not1_b32 vcc_lo, exec_lo, s2
	s_cbranch_vccnz .LBB46_146
.LBB46_143:
	s_clause 0x1
	s_load_b96 s[0:2], s[12:13], 0x4
	s_load_b96 s[4:6], s[12:13], 0xc4
	s_cmp_lt_u32 s26, 2
	s_wait_kmcnt 0x0
	v_mul_hi_u32 v5, s1, v9
	s_delay_alu instid0(VALU_DEP_1) | instskip(NEXT) | instid1(VALU_DEP_1)
	v_add_nc_u32_e32 v5, v9, v5
	v_lshrrev_b32_e32 v10, s2, v5
	s_delay_alu instid0(VALU_DEP_1) | instskip(NEXT) | instid1(VALU_DEP_1)
	v_mul_lo_u32 v5, v10, s0
	v_sub_nc_u32_e32 v8, v9, v5
	s_delay_alu instid0(VALU_DEP_1)
	v_mul_lo_u32 v5, v8, s4
	v_mul_lo_u32 v7, v8, s6
	;; [unrolled: 1-line block ×3, first 2 shown]
	s_cbranch_scc1 .LBB46_146
; %bb.144:
	s_clause 0x1
	s_load_b96 s[0:2], s[12:13], 0x10
	s_load_b96 s[4:6], s[12:13], 0xd0
	s_wait_kmcnt 0x0
	v_mul_hi_u32 v9, s1, v10
	s_delay_alu instid0(VALU_DEP_1) | instskip(NEXT) | instid1(VALU_DEP_1)
	v_add_nc_u32_e32 v9, v10, v9
	v_lshrrev_b32_e32 v9, s2, v9
	s_delay_alu instid0(VALU_DEP_1) | instskip(NEXT) | instid1(VALU_DEP_1)
	v_mul_lo_u32 v9, v9, s0
	v_sub_nc_u32_e32 v9, v10, v9
	s_delay_alu instid0(VALU_DEP_1)
	v_mad_u32 v5, v9, s4, v5
	v_mad_u32 v8, v9, s5, v8
	;; [unrolled: 1-line block ×3, first 2 shown]
	s_branch .LBB46_146
.LBB46_145:
	v_dual_mov_b32 v7, 0 :: v_dual_mov_b32 v8, 0
	v_mov_b32_e32 v5, 0
	s_and_not1_b32 vcc_lo, exec_lo, s2
	s_cbranch_vccz .LBB46_143
.LBB46_146:
	v_cmp_ne_u32_e32 vcc_lo, 1, v6
	v_add_nc_u32_e32 v12, 0x100, v0
	s_cbranch_vccnz .LBB46_152
; %bb.147:
	s_cmp_lg_u32 s26, 0
	s_mov_b32 s2, 0
	s_cbranch_scc0 .LBB46_156
; %bb.148:
	s_min_u32 s3, s27, 15
	v_dual_mov_b32 v9, 0 :: v_dual_mov_b32 v13, v12
	v_dual_mov_b32 v11, 0 :: v_dual_mov_b32 v10, 0
	s_add_co_i32 s4, s3, 1
	s_mov_b64 s[0:1], 0xffffffffffffffe8
	s_and_b32 s4, s4, 30
	s_add_nc_u64 s[0:1], s[12:13], s[0:1]
.LBB46_149:                             ; =>This Inner Loop Header: Depth=1
	s_clause 0x1
	s_load_b128 s[8:11], s[0:1], 0x1c
	s_load_b64 s[6:7], s[0:1], 0x2c
	s_add_co_i32 s4, s4, -2
	s_delay_alu instid0(SALU_CYCLE_1) | instskip(SKIP_2) | instid1(VALU_DEP_1)
	s_cmp_lg_u32 s4, 0
	s_wait_kmcnt 0x0
	v_mul_hi_u32 v14, s9, v13
	v_add_nc_u32_e32 v14, v13, v14
	s_delay_alu instid0(VALU_DEP_1) | instskip(NEXT) | instid1(VALU_DEP_1)
	v_lshrrev_b32_e32 v14, s10, v14
	v_mul_hi_u32 v15, s6, v14
	v_mul_lo_u32 v16, v14, s8
	s_clause 0x1
	s_load_b128 s[16:19], s[0:1], 0xdc
	s_load_b64 s[8:9], s[0:1], 0xec
	s_wait_xcnt 0x0
	s_add_nc_u64 s[0:1], s[0:1], 24
	s_delay_alu instid0(VALU_DEP_1) | instskip(NEXT) | instid1(VALU_DEP_1)
	v_dual_add_nc_u32 v15, v14, v15 :: v_dual_sub_nc_u32 v16, v13, v16
	v_lshrrev_b32_e32 v13, s7, v15
	s_wait_kmcnt 0x0
	s_delay_alu instid0(VALU_DEP_2) | instskip(NEXT) | instid1(VALU_DEP_2)
	v_mad_u32 v9, v16, s16, v9
	v_mul_lo_u32 v15, v13, s11
	v_mad_u32 v10, v16, s18, v10
	v_mad_u32 v11, v16, s17, v11
	s_delay_alu instid0(VALU_DEP_3) | instskip(NEXT) | instid1(VALU_DEP_1)
	v_sub_nc_u32_e32 v14, v14, v15
	v_mad_u32 v9, v14, s19, v9
	s_delay_alu instid0(VALU_DEP_4) | instskip(NEXT) | instid1(VALU_DEP_4)
	v_mad_u32 v10, v14, s9, v10
	v_mad_u32 v11, v14, s8, v11
	s_cbranch_scc1 .LBB46_149
; %bb.150:
	s_bitcmp1_b32 s3, 0
	s_cselect_b32 s3, -1, 0
	s_delay_alu instid0(SALU_CYCLE_1)
	s_and_b32 vcc_lo, exec_lo, s3
	s_cbranch_vccnz .LBB46_153
; %bb.151:
	s_clause 0x1
	s_load_b96 s[4:6], s[0:1], 0x1c
	s_load_b96 s[8:10], s[0:1], 0xdc
	s_wait_kmcnt 0x0
	v_mul_hi_u32 v14, s5, v13
	s_delay_alu instid0(VALU_DEP_1) | instskip(NEXT) | instid1(VALU_DEP_1)
	v_add_nc_u32_e32 v14, v13, v14
	v_lshrrev_b32_e32 v14, s6, v14
	s_delay_alu instid0(VALU_DEP_1) | instskip(NEXT) | instid1(VALU_DEP_1)
	v_mul_lo_u32 v14, v14, s4
	v_sub_nc_u32_e32 v13, v13, v14
	s_delay_alu instid0(VALU_DEP_1)
	v_mad_u32 v9, v13, s8, v9
	v_mad_u32 v11, v13, s9, v11
	;; [unrolled: 1-line block ×3, first 2 shown]
	s_and_not1_b32 vcc_lo, exec_lo, s2
	s_cbranch_vccz .LBB46_154
	s_branch .LBB46_157
.LBB46_152:
	s_mov_b32 s2, -1
                                        ; implicit-def: $vgpr10
                                        ; implicit-def: $vgpr11
                                        ; implicit-def: $vgpr9
.LBB46_153:
	s_delay_alu instid0(SALU_CYCLE_1)
	s_and_not1_b32 vcc_lo, exec_lo, s2
	s_cbranch_vccnz .LBB46_157
.LBB46_154:
	s_clause 0x1
	s_load_b96 s[0:2], s[12:13], 0x4
	s_load_b96 s[4:6], s[12:13], 0xc4
	s_cmp_lt_u32 s26, 2
	s_wait_kmcnt 0x0
	v_mul_hi_u32 v9, s1, v12
	s_delay_alu instid0(VALU_DEP_1) | instskip(NEXT) | instid1(VALU_DEP_1)
	v_add_nc_u32_e32 v9, v12, v9
	v_lshrrev_b32_e32 v13, s2, v9
	s_delay_alu instid0(VALU_DEP_1) | instskip(NEXT) | instid1(VALU_DEP_1)
	v_mul_lo_u32 v9, v13, s0
	v_sub_nc_u32_e32 v11, v12, v9
	s_delay_alu instid0(VALU_DEP_1)
	v_mul_lo_u32 v9, v11, s4
	v_mul_lo_u32 v10, v11, s6
	v_mul_lo_u32 v11, v11, s5
	s_cbranch_scc1 .LBB46_157
; %bb.155:
	s_clause 0x1
	s_load_b96 s[0:2], s[12:13], 0x10
	s_load_b96 s[4:6], s[12:13], 0xd0
	s_wait_kmcnt 0x0
	v_mul_hi_u32 v12, s1, v13
	s_delay_alu instid0(VALU_DEP_1) | instskip(NEXT) | instid1(VALU_DEP_1)
	v_add_nc_u32_e32 v12, v13, v12
	v_lshrrev_b32_e32 v12, s2, v12
	s_delay_alu instid0(VALU_DEP_1) | instskip(NEXT) | instid1(VALU_DEP_1)
	v_mul_lo_u32 v12, v12, s0
	v_sub_nc_u32_e32 v12, v13, v12
	s_delay_alu instid0(VALU_DEP_1)
	v_mad_u32 v9, v12, s4, v9
	v_mad_u32 v11, v12, s5, v11
	;; [unrolled: 1-line block ×3, first 2 shown]
	s_branch .LBB46_157
.LBB46_156:
	v_dual_mov_b32 v10, 0 :: v_dual_mov_b32 v11, 0
	v_mov_b32_e32 v9, 0
	s_and_not1_b32 vcc_lo, exec_lo, s2
	s_cbranch_vccz .LBB46_154
.LBB46_157:
	v_cmp_ne_u32_e32 vcc_lo, 1, v6
	v_add_nc_u32_e32 v15, 0x180, v0
	s_cbranch_vccnz .LBB46_163
; %bb.158:
	s_cmp_lg_u32 s26, 0
	s_mov_b32 s2, 0
	s_cbranch_scc0 .LBB46_167
; %bb.159:
	s_min_u32 s3, s27, 15
	v_dual_mov_b32 v12, 0 :: v_dual_mov_b32 v16, v15
	v_dual_mov_b32 v14, 0 :: v_dual_mov_b32 v13, 0
	s_add_co_i32 s4, s3, 1
	s_mov_b64 s[0:1], 0xffffffffffffffe8
	s_and_b32 s4, s4, 30
	s_add_nc_u64 s[0:1], s[12:13], s[0:1]
.LBB46_160:                             ; =>This Inner Loop Header: Depth=1
	s_clause 0x1
	s_load_b128 s[8:11], s[0:1], 0x1c
	s_load_b64 s[6:7], s[0:1], 0x2c
	s_add_co_i32 s4, s4, -2
	s_delay_alu instid0(SALU_CYCLE_1) | instskip(SKIP_2) | instid1(VALU_DEP_1)
	s_cmp_lg_u32 s4, 0
	s_wait_kmcnt 0x0
	v_mul_hi_u32 v17, s9, v16
	v_add_nc_u32_e32 v17, v16, v17
	s_delay_alu instid0(VALU_DEP_1) | instskip(NEXT) | instid1(VALU_DEP_1)
	v_lshrrev_b32_e32 v17, s10, v17
	v_mul_hi_u32 v18, s6, v17
	v_mul_lo_u32 v19, v17, s8
	s_clause 0x1
	s_load_b128 s[16:19], s[0:1], 0xdc
	s_load_b64 s[8:9], s[0:1], 0xec
	s_wait_xcnt 0x0
	s_add_nc_u64 s[0:1], s[0:1], 24
	s_delay_alu instid0(VALU_DEP_1) | instskip(NEXT) | instid1(VALU_DEP_1)
	v_dual_add_nc_u32 v18, v17, v18 :: v_dual_sub_nc_u32 v19, v16, v19
	v_lshrrev_b32_e32 v16, s7, v18
	s_wait_kmcnt 0x0
	s_delay_alu instid0(VALU_DEP_2) | instskip(NEXT) | instid1(VALU_DEP_2)
	v_mad_u32 v12, v19, s16, v12
	v_mul_lo_u32 v18, v16, s11
	v_mad_u32 v13, v19, s18, v13
	v_mad_u32 v14, v19, s17, v14
	s_delay_alu instid0(VALU_DEP_3) | instskip(NEXT) | instid1(VALU_DEP_1)
	v_sub_nc_u32_e32 v17, v17, v18
	v_mad_u32 v12, v17, s19, v12
	s_delay_alu instid0(VALU_DEP_4) | instskip(NEXT) | instid1(VALU_DEP_4)
	v_mad_u32 v13, v17, s9, v13
	v_mad_u32 v14, v17, s8, v14
	s_cbranch_scc1 .LBB46_160
; %bb.161:
	s_bitcmp1_b32 s3, 0
	s_cselect_b32 s3, -1, 0
	s_delay_alu instid0(SALU_CYCLE_1)
	s_and_b32 vcc_lo, exec_lo, s3
	s_cbranch_vccnz .LBB46_164
; %bb.162:
	s_clause 0x1
	s_load_b96 s[4:6], s[0:1], 0x1c
	s_load_b96 s[8:10], s[0:1], 0xdc
	s_wait_kmcnt 0x0
	v_mul_hi_u32 v17, s5, v16
	s_delay_alu instid0(VALU_DEP_1) | instskip(NEXT) | instid1(VALU_DEP_1)
	v_add_nc_u32_e32 v17, v16, v17
	v_lshrrev_b32_e32 v17, s6, v17
	s_delay_alu instid0(VALU_DEP_1) | instskip(NEXT) | instid1(VALU_DEP_1)
	v_mul_lo_u32 v17, v17, s4
	v_sub_nc_u32_e32 v16, v16, v17
	s_delay_alu instid0(VALU_DEP_1)
	v_mad_u32 v12, v16, s8, v12
	v_mad_u32 v14, v16, s9, v14
	;; [unrolled: 1-line block ×3, first 2 shown]
	s_and_not1_b32 vcc_lo, exec_lo, s2
	s_cbranch_vccz .LBB46_165
	s_branch .LBB46_168
.LBB46_163:
	s_mov_b32 s2, -1
                                        ; implicit-def: $vgpr13
                                        ; implicit-def: $vgpr14
                                        ; implicit-def: $vgpr12
.LBB46_164:
	s_delay_alu instid0(SALU_CYCLE_1)
	s_and_not1_b32 vcc_lo, exec_lo, s2
	s_cbranch_vccnz .LBB46_168
.LBB46_165:
	s_clause 0x1
	s_load_b96 s[0:2], s[12:13], 0x4
	s_load_b96 s[4:6], s[12:13], 0xc4
	s_cmp_lt_u32 s26, 2
	s_wait_kmcnt 0x0
	v_mul_hi_u32 v12, s1, v15
	s_delay_alu instid0(VALU_DEP_1) | instskip(NEXT) | instid1(VALU_DEP_1)
	v_add_nc_u32_e32 v12, v15, v12
	v_lshrrev_b32_e32 v16, s2, v12
	s_delay_alu instid0(VALU_DEP_1) | instskip(NEXT) | instid1(VALU_DEP_1)
	v_mul_lo_u32 v12, v16, s0
	v_sub_nc_u32_e32 v14, v15, v12
	s_delay_alu instid0(VALU_DEP_1)
	v_mul_lo_u32 v12, v14, s4
	v_mul_lo_u32 v13, v14, s6
	;; [unrolled: 1-line block ×3, first 2 shown]
	s_cbranch_scc1 .LBB46_168
; %bb.166:
	s_clause 0x1
	s_load_b96 s[0:2], s[12:13], 0x10
	s_load_b96 s[4:6], s[12:13], 0xd0
	s_wait_kmcnt 0x0
	v_mul_hi_u32 v15, s1, v16
	s_delay_alu instid0(VALU_DEP_1) | instskip(NEXT) | instid1(VALU_DEP_1)
	v_add_nc_u32_e32 v15, v16, v15
	v_lshrrev_b32_e32 v15, s2, v15
	s_delay_alu instid0(VALU_DEP_1) | instskip(NEXT) | instid1(VALU_DEP_1)
	v_mul_lo_u32 v15, v15, s0
	v_sub_nc_u32_e32 v15, v16, v15
	s_delay_alu instid0(VALU_DEP_1)
	v_mad_u32 v12, v15, s4, v12
	v_mad_u32 v14, v15, s5, v14
	;; [unrolled: 1-line block ×3, first 2 shown]
	s_branch .LBB46_168
.LBB46_167:
	v_dual_mov_b32 v13, 0 :: v_dual_mov_b32 v14, 0
	v_mov_b32_e32 v12, 0
	s_and_not1_b32 vcc_lo, exec_lo, s2
	s_cbranch_vccz .LBB46_165
.LBB46_168:
	v_cmp_ne_u32_e32 vcc_lo, 1, v6
	v_add_nc_u32_e32 v18, 0x200, v0
	s_cbranch_vccnz .LBB46_174
; %bb.169:
	s_cmp_lg_u32 s26, 0
	s_mov_b32 s2, 0
	s_cbranch_scc0 .LBB46_178
; %bb.170:
	s_min_u32 s3, s27, 15
	v_dual_mov_b32 v15, 0 :: v_dual_mov_b32 v19, v18
	v_dual_mov_b32 v17, 0 :: v_dual_mov_b32 v16, 0
	s_add_co_i32 s4, s3, 1
	s_mov_b64 s[0:1], 0xffffffffffffffe8
	s_and_b32 s4, s4, 30
	s_add_nc_u64 s[0:1], s[12:13], s[0:1]
.LBB46_171:                             ; =>This Inner Loop Header: Depth=1
	s_clause 0x1
	s_load_b128 s[8:11], s[0:1], 0x1c
	s_load_b64 s[6:7], s[0:1], 0x2c
	s_add_co_i32 s4, s4, -2
	s_delay_alu instid0(SALU_CYCLE_1) | instskip(SKIP_2) | instid1(VALU_DEP_1)
	s_cmp_lg_u32 s4, 0
	s_wait_kmcnt 0x0
	v_mul_hi_u32 v20, s9, v19
	v_add_nc_u32_e32 v20, v19, v20
	s_delay_alu instid0(VALU_DEP_1) | instskip(NEXT) | instid1(VALU_DEP_1)
	v_lshrrev_b32_e32 v20, s10, v20
	v_mul_hi_u32 v21, s6, v20
	v_mul_lo_u32 v22, v20, s8
	s_clause 0x1
	s_load_b128 s[16:19], s[0:1], 0xdc
	s_load_b64 s[8:9], s[0:1], 0xec
	s_wait_xcnt 0x0
	s_add_nc_u64 s[0:1], s[0:1], 24
	s_delay_alu instid0(VALU_DEP_1) | instskip(NEXT) | instid1(VALU_DEP_1)
	v_dual_add_nc_u32 v21, v20, v21 :: v_dual_sub_nc_u32 v22, v19, v22
	v_lshrrev_b32_e32 v19, s7, v21
	s_wait_kmcnt 0x0
	s_delay_alu instid0(VALU_DEP_2) | instskip(NEXT) | instid1(VALU_DEP_2)
	v_mad_u32 v15, v22, s16, v15
	v_mul_lo_u32 v21, v19, s11
	v_mad_u32 v16, v22, s18, v16
	v_mad_u32 v17, v22, s17, v17
	s_delay_alu instid0(VALU_DEP_3) | instskip(NEXT) | instid1(VALU_DEP_1)
	v_sub_nc_u32_e32 v20, v20, v21
	v_mad_u32 v15, v20, s19, v15
	s_delay_alu instid0(VALU_DEP_4) | instskip(NEXT) | instid1(VALU_DEP_4)
	v_mad_u32 v16, v20, s9, v16
	v_mad_u32 v17, v20, s8, v17
	s_cbranch_scc1 .LBB46_171
; %bb.172:
	s_bitcmp1_b32 s3, 0
	s_cselect_b32 s3, -1, 0
	s_delay_alu instid0(SALU_CYCLE_1)
	s_and_b32 vcc_lo, exec_lo, s3
	s_cbranch_vccnz .LBB46_175
; %bb.173:
	s_clause 0x1
	s_load_b96 s[4:6], s[0:1], 0x1c
	s_load_b96 s[8:10], s[0:1], 0xdc
	s_wait_kmcnt 0x0
	v_mul_hi_u32 v20, s5, v19
	s_delay_alu instid0(VALU_DEP_1) | instskip(NEXT) | instid1(VALU_DEP_1)
	v_add_nc_u32_e32 v20, v19, v20
	v_lshrrev_b32_e32 v20, s6, v20
	s_delay_alu instid0(VALU_DEP_1) | instskip(NEXT) | instid1(VALU_DEP_1)
	v_mul_lo_u32 v20, v20, s4
	v_sub_nc_u32_e32 v19, v19, v20
	s_delay_alu instid0(VALU_DEP_1)
	v_mad_u32 v15, v19, s8, v15
	v_mad_u32 v17, v19, s9, v17
	;; [unrolled: 1-line block ×3, first 2 shown]
	s_and_not1_b32 vcc_lo, exec_lo, s2
	s_cbranch_vccz .LBB46_176
	s_branch .LBB46_179
.LBB46_174:
	s_mov_b32 s2, -1
                                        ; implicit-def: $vgpr16
                                        ; implicit-def: $vgpr17
                                        ; implicit-def: $vgpr15
.LBB46_175:
	s_delay_alu instid0(SALU_CYCLE_1)
	s_and_not1_b32 vcc_lo, exec_lo, s2
	s_cbranch_vccnz .LBB46_179
.LBB46_176:
	s_clause 0x1
	s_load_b96 s[0:2], s[12:13], 0x4
	s_load_b96 s[4:6], s[12:13], 0xc4
	s_cmp_lt_u32 s26, 2
	s_wait_kmcnt 0x0
	v_mul_hi_u32 v15, s1, v18
	s_delay_alu instid0(VALU_DEP_1) | instskip(NEXT) | instid1(VALU_DEP_1)
	v_add_nc_u32_e32 v15, v18, v15
	v_lshrrev_b32_e32 v19, s2, v15
	s_delay_alu instid0(VALU_DEP_1) | instskip(NEXT) | instid1(VALU_DEP_1)
	v_mul_lo_u32 v15, v19, s0
	v_sub_nc_u32_e32 v17, v18, v15
	s_delay_alu instid0(VALU_DEP_1)
	v_mul_lo_u32 v15, v17, s4
	v_mul_lo_u32 v16, v17, s6
	;; [unrolled: 1-line block ×3, first 2 shown]
	s_cbranch_scc1 .LBB46_179
; %bb.177:
	s_clause 0x1
	s_load_b96 s[0:2], s[12:13], 0x10
	s_load_b96 s[4:6], s[12:13], 0xd0
	s_wait_kmcnt 0x0
	v_mul_hi_u32 v18, s1, v19
	s_delay_alu instid0(VALU_DEP_1) | instskip(NEXT) | instid1(VALU_DEP_1)
	v_add_nc_u32_e32 v18, v19, v18
	v_lshrrev_b32_e32 v18, s2, v18
	s_delay_alu instid0(VALU_DEP_1) | instskip(NEXT) | instid1(VALU_DEP_1)
	v_mul_lo_u32 v18, v18, s0
	v_sub_nc_u32_e32 v18, v19, v18
	s_delay_alu instid0(VALU_DEP_1)
	v_mad_u32 v15, v18, s4, v15
	v_mad_u32 v17, v18, s5, v17
	v_mad_u32 v16, v18, s6, v16
	s_branch .LBB46_179
.LBB46_178:
	v_dual_mov_b32 v16, 0 :: v_dual_mov_b32 v17, 0
	v_mov_b32_e32 v15, 0
	s_and_not1_b32 vcc_lo, exec_lo, s2
	s_cbranch_vccz .LBB46_176
.LBB46_179:
	v_cmp_ne_u32_e32 vcc_lo, 1, v6
	v_add_nc_u32_e32 v21, 0x280, v0
	s_cbranch_vccnz .LBB46_185
; %bb.180:
	s_cmp_lg_u32 s26, 0
	s_mov_b32 s2, 0
	s_cbranch_scc0 .LBB46_189
; %bb.181:
	s_min_u32 s3, s27, 15
	v_dual_mov_b32 v18, 0 :: v_dual_mov_b32 v22, v21
	v_dual_mov_b32 v20, 0 :: v_dual_mov_b32 v19, 0
	s_add_co_i32 s4, s3, 1
	s_mov_b64 s[0:1], 0xffffffffffffffe8
	s_and_b32 s4, s4, 30
	s_add_nc_u64 s[0:1], s[12:13], s[0:1]
.LBB46_182:                             ; =>This Inner Loop Header: Depth=1
	s_clause 0x1
	s_load_b128 s[8:11], s[0:1], 0x1c
	s_load_b64 s[6:7], s[0:1], 0x2c
	s_add_co_i32 s4, s4, -2
	s_delay_alu instid0(SALU_CYCLE_1) | instskip(SKIP_2) | instid1(VALU_DEP_1)
	s_cmp_lg_u32 s4, 0
	s_wait_kmcnt 0x0
	v_mul_hi_u32 v23, s9, v22
	v_add_nc_u32_e32 v23, v22, v23
	s_delay_alu instid0(VALU_DEP_1) | instskip(NEXT) | instid1(VALU_DEP_1)
	v_lshrrev_b32_e32 v23, s10, v23
	v_mul_hi_u32 v24, s6, v23
	v_mul_lo_u32 v25, v23, s8
	s_clause 0x1
	s_load_b128 s[16:19], s[0:1], 0xdc
	s_load_b64 s[8:9], s[0:1], 0xec
	s_wait_xcnt 0x0
	s_add_nc_u64 s[0:1], s[0:1], 24
	s_delay_alu instid0(VALU_DEP_1) | instskip(NEXT) | instid1(VALU_DEP_1)
	v_dual_add_nc_u32 v24, v23, v24 :: v_dual_sub_nc_u32 v25, v22, v25
	v_lshrrev_b32_e32 v22, s7, v24
	s_wait_kmcnt 0x0
	s_delay_alu instid0(VALU_DEP_2) | instskip(NEXT) | instid1(VALU_DEP_2)
	v_mad_u32 v18, v25, s16, v18
	v_mul_lo_u32 v24, v22, s11
	v_mad_u32 v19, v25, s18, v19
	v_mad_u32 v20, v25, s17, v20
	s_delay_alu instid0(VALU_DEP_3) | instskip(NEXT) | instid1(VALU_DEP_1)
	v_sub_nc_u32_e32 v23, v23, v24
	v_mad_u32 v18, v23, s19, v18
	s_delay_alu instid0(VALU_DEP_4) | instskip(NEXT) | instid1(VALU_DEP_4)
	v_mad_u32 v19, v23, s9, v19
	v_mad_u32 v20, v23, s8, v20
	s_cbranch_scc1 .LBB46_182
; %bb.183:
	s_bitcmp1_b32 s3, 0
	s_cselect_b32 s3, -1, 0
	s_delay_alu instid0(SALU_CYCLE_1)
	s_and_b32 vcc_lo, exec_lo, s3
	s_cbranch_vccnz .LBB46_186
; %bb.184:
	s_clause 0x1
	s_load_b96 s[4:6], s[0:1], 0x1c
	s_load_b96 s[8:10], s[0:1], 0xdc
	s_wait_kmcnt 0x0
	v_mul_hi_u32 v23, s5, v22
	s_delay_alu instid0(VALU_DEP_1) | instskip(NEXT) | instid1(VALU_DEP_1)
	v_add_nc_u32_e32 v23, v22, v23
	v_lshrrev_b32_e32 v23, s6, v23
	s_delay_alu instid0(VALU_DEP_1) | instskip(NEXT) | instid1(VALU_DEP_1)
	v_mul_lo_u32 v23, v23, s4
	v_sub_nc_u32_e32 v22, v22, v23
	s_delay_alu instid0(VALU_DEP_1)
	v_mad_u32 v18, v22, s8, v18
	v_mad_u32 v20, v22, s9, v20
	;; [unrolled: 1-line block ×3, first 2 shown]
	s_and_not1_b32 vcc_lo, exec_lo, s2
	s_cbranch_vccz .LBB46_187
	s_branch .LBB46_190
.LBB46_185:
	s_mov_b32 s2, -1
                                        ; implicit-def: $vgpr19
                                        ; implicit-def: $vgpr20
                                        ; implicit-def: $vgpr18
.LBB46_186:
	s_delay_alu instid0(SALU_CYCLE_1)
	s_and_not1_b32 vcc_lo, exec_lo, s2
	s_cbranch_vccnz .LBB46_190
.LBB46_187:
	s_clause 0x1
	s_load_b96 s[0:2], s[12:13], 0x4
	s_load_b96 s[4:6], s[12:13], 0xc4
	s_cmp_lt_u32 s26, 2
	s_wait_kmcnt 0x0
	v_mul_hi_u32 v18, s1, v21
	s_delay_alu instid0(VALU_DEP_1) | instskip(NEXT) | instid1(VALU_DEP_1)
	v_add_nc_u32_e32 v18, v21, v18
	v_lshrrev_b32_e32 v22, s2, v18
	s_delay_alu instid0(VALU_DEP_1) | instskip(NEXT) | instid1(VALU_DEP_1)
	v_mul_lo_u32 v18, v22, s0
	v_sub_nc_u32_e32 v20, v21, v18
	s_delay_alu instid0(VALU_DEP_1)
	v_mul_lo_u32 v18, v20, s4
	v_mul_lo_u32 v19, v20, s6
	;; [unrolled: 1-line block ×3, first 2 shown]
	s_cbranch_scc1 .LBB46_190
; %bb.188:
	s_clause 0x1
	s_load_b96 s[0:2], s[12:13], 0x10
	s_load_b96 s[4:6], s[12:13], 0xd0
	s_wait_kmcnt 0x0
	v_mul_hi_u32 v21, s1, v22
	s_delay_alu instid0(VALU_DEP_1) | instskip(NEXT) | instid1(VALU_DEP_1)
	v_add_nc_u32_e32 v21, v22, v21
	v_lshrrev_b32_e32 v21, s2, v21
	s_delay_alu instid0(VALU_DEP_1) | instskip(NEXT) | instid1(VALU_DEP_1)
	v_mul_lo_u32 v21, v21, s0
	v_sub_nc_u32_e32 v21, v22, v21
	s_delay_alu instid0(VALU_DEP_1)
	v_mad_u32 v18, v21, s4, v18
	v_mad_u32 v20, v21, s5, v20
	;; [unrolled: 1-line block ×3, first 2 shown]
	s_branch .LBB46_190
.LBB46_189:
	v_dual_mov_b32 v19, 0 :: v_dual_mov_b32 v20, 0
	v_mov_b32_e32 v18, 0
	s_and_not1_b32 vcc_lo, exec_lo, s2
	s_cbranch_vccz .LBB46_187
.LBB46_190:
	v_cmp_ne_u32_e32 vcc_lo, 1, v6
	v_add_nc_u32_e32 v23, 0x300, v0
	s_cbranch_vccnz .LBB46_196
; %bb.191:
	s_cmp_lg_u32 s26, 0
	s_mov_b32 s2, 0
	s_cbranch_scc0 .LBB46_200
; %bb.192:
	s_min_u32 s3, s27, 15
	v_dual_mov_b32 v0, 0 :: v_dual_mov_b32 v24, v23
	v_dual_mov_b32 v22, 0 :: v_dual_mov_b32 v21, 0
	s_add_co_i32 s4, s3, 1
	s_mov_b64 s[0:1], 0xffffffffffffffe8
	s_and_b32 s4, s4, 30
	s_add_nc_u64 s[0:1], s[12:13], s[0:1]
.LBB46_193:                             ; =>This Inner Loop Header: Depth=1
	s_clause 0x1
	s_load_b128 s[8:11], s[0:1], 0x1c
	s_load_b64 s[6:7], s[0:1], 0x2c
	s_add_co_i32 s4, s4, -2
	s_delay_alu instid0(SALU_CYCLE_1) | instskip(SKIP_2) | instid1(VALU_DEP_1)
	s_cmp_lg_u32 s4, 0
	s_wait_kmcnt 0x0
	v_mul_hi_u32 v25, s9, v24
	v_add_nc_u32_e32 v25, v24, v25
	s_delay_alu instid0(VALU_DEP_1) | instskip(NEXT) | instid1(VALU_DEP_1)
	v_lshrrev_b32_e32 v25, s10, v25
	v_mul_hi_u32 v26, s6, v25
	v_mul_lo_u32 v27, v25, s8
	s_clause 0x1
	s_load_b128 s[16:19], s[0:1], 0xdc
	s_load_b64 s[8:9], s[0:1], 0xec
	s_wait_xcnt 0x0
	s_add_nc_u64 s[0:1], s[0:1], 24
	s_delay_alu instid0(VALU_DEP_1) | instskip(NEXT) | instid1(VALU_DEP_1)
	v_dual_add_nc_u32 v26, v25, v26 :: v_dual_sub_nc_u32 v27, v24, v27
	v_lshrrev_b32_e32 v24, s7, v26
	s_wait_kmcnt 0x0
	s_delay_alu instid0(VALU_DEP_2) | instskip(NEXT) | instid1(VALU_DEP_2)
	v_mad_u32 v0, v27, s16, v0
	v_mul_lo_u32 v26, v24, s11
	v_mad_u32 v21, v27, s18, v21
	v_mad_u32 v22, v27, s17, v22
	s_delay_alu instid0(VALU_DEP_3) | instskip(NEXT) | instid1(VALU_DEP_1)
	v_sub_nc_u32_e32 v25, v25, v26
	v_mad_u32 v0, v25, s19, v0
	s_delay_alu instid0(VALU_DEP_4) | instskip(NEXT) | instid1(VALU_DEP_4)
	v_mad_u32 v21, v25, s9, v21
	v_mad_u32 v22, v25, s8, v22
	s_cbranch_scc1 .LBB46_193
; %bb.194:
	s_bitcmp1_b32 s3, 0
	s_cselect_b32 s3, -1, 0
	s_delay_alu instid0(SALU_CYCLE_1)
	s_and_b32 vcc_lo, exec_lo, s3
	s_cbranch_vccnz .LBB46_197
; %bb.195:
	s_clause 0x1
	s_load_b96 s[4:6], s[0:1], 0x1c
	s_load_b96 s[8:10], s[0:1], 0xdc
	s_wait_kmcnt 0x0
	v_mul_hi_u32 v25, s5, v24
	s_delay_alu instid0(VALU_DEP_1) | instskip(NEXT) | instid1(VALU_DEP_1)
	v_add_nc_u32_e32 v25, v24, v25
	v_lshrrev_b32_e32 v25, s6, v25
	s_delay_alu instid0(VALU_DEP_1) | instskip(NEXT) | instid1(VALU_DEP_1)
	v_mul_lo_u32 v25, v25, s4
	v_sub_nc_u32_e32 v24, v24, v25
	s_delay_alu instid0(VALU_DEP_1)
	v_mad_u32 v0, v24, s8, v0
	v_mad_u32 v22, v24, s9, v22
	;; [unrolled: 1-line block ×3, first 2 shown]
	s_and_not1_b32 vcc_lo, exec_lo, s2
	s_cbranch_vccz .LBB46_198
	s_branch .LBB46_201
.LBB46_196:
	s_mov_b32 s2, -1
                                        ; implicit-def: $vgpr21
                                        ; implicit-def: $vgpr22
                                        ; implicit-def: $vgpr0
.LBB46_197:
	s_delay_alu instid0(SALU_CYCLE_1)
	s_and_not1_b32 vcc_lo, exec_lo, s2
	s_cbranch_vccnz .LBB46_201
.LBB46_198:
	s_clause 0x1
	s_load_b96 s[0:2], s[12:13], 0x4
	s_load_b96 s[4:6], s[12:13], 0xc4
	s_cmp_lt_u32 s26, 2
	s_wait_kmcnt 0x0
	v_mul_hi_u32 v0, s1, v23
	s_delay_alu instid0(VALU_DEP_1) | instskip(NEXT) | instid1(VALU_DEP_1)
	v_add_nc_u32_e32 v0, v23, v0
	v_lshrrev_b32_e32 v24, s2, v0
	s_delay_alu instid0(VALU_DEP_1) | instskip(NEXT) | instid1(VALU_DEP_1)
	v_mul_lo_u32 v0, v24, s0
	v_sub_nc_u32_e32 v22, v23, v0
	s_delay_alu instid0(VALU_DEP_1)
	v_mul_lo_u32 v0, v22, s4
	v_mul_lo_u32 v21, v22, s6
	;; [unrolled: 1-line block ×3, first 2 shown]
	s_cbranch_scc1 .LBB46_201
; %bb.199:
	s_clause 0x1
	s_load_b96 s[0:2], s[12:13], 0x10
	s_load_b96 s[4:6], s[12:13], 0xd0
	s_wait_kmcnt 0x0
	v_mul_hi_u32 v23, s1, v24
	s_delay_alu instid0(VALU_DEP_1) | instskip(NEXT) | instid1(VALU_DEP_1)
	v_add_nc_u32_e32 v23, v24, v23
	v_lshrrev_b32_e32 v23, s2, v23
	s_delay_alu instid0(VALU_DEP_1) | instskip(NEXT) | instid1(VALU_DEP_1)
	v_mul_lo_u32 v23, v23, s0
	v_sub_nc_u32_e32 v23, v24, v23
	s_delay_alu instid0(VALU_DEP_1)
	v_mad_u32 v0, v23, s4, v0
	v_mad_u32 v22, v23, s5, v22
	;; [unrolled: 1-line block ×3, first 2 shown]
	s_branch .LBB46_201
.LBB46_200:
	v_dual_mov_b32 v21, 0 :: v_dual_mov_b32 v22, 0
	v_mov_b32_e32 v0, 0
	s_and_not1_b32 vcc_lo, exec_lo, s2
	s_cbranch_vccz .LBB46_198
.LBB46_201:
	v_cmp_ne_u32_e32 vcc_lo, 1, v6
	s_cbranch_vccnz .LBB46_207
; %bb.202:
	s_cmp_lg_u32 s26, 0
	s_mov_b32 s2, 0
	s_cbranch_scc0 .LBB46_211
; %bb.203:
	s_min_u32 s3, s27, 15
	v_dual_mov_b32 v6, 0 :: v_dual_mov_b32 v25, v2
	v_dual_mov_b32 v24, 0 :: v_dual_mov_b32 v23, 0
	s_add_co_i32 s4, s3, 1
	s_mov_b64 s[0:1], 0xffffffffffffffe8
	s_and_b32 s4, s4, 30
	s_add_nc_u64 s[0:1], s[12:13], s[0:1]
.LBB46_204:                             ; =>This Inner Loop Header: Depth=1
	s_clause 0x1
	s_load_b128 s[8:11], s[0:1], 0x1c
	s_load_b64 s[6:7], s[0:1], 0x2c
	s_add_co_i32 s4, s4, -2
	s_delay_alu instid0(SALU_CYCLE_1) | instskip(SKIP_2) | instid1(VALU_DEP_1)
	s_cmp_lg_u32 s4, 0
	s_wait_kmcnt 0x0
	v_mul_hi_u32 v26, s9, v25
	v_add_nc_u32_e32 v26, v25, v26
	s_delay_alu instid0(VALU_DEP_1) | instskip(NEXT) | instid1(VALU_DEP_1)
	v_lshrrev_b32_e32 v26, s10, v26
	v_mul_hi_u32 v27, s6, v26
	v_mul_lo_u32 v28, v26, s8
	s_clause 0x1
	s_load_b128 s[16:19], s[0:1], 0xdc
	s_load_b64 s[8:9], s[0:1], 0xec
	s_wait_xcnt 0x0
	s_add_nc_u64 s[0:1], s[0:1], 24
	s_delay_alu instid0(VALU_DEP_1) | instskip(NEXT) | instid1(VALU_DEP_1)
	v_dual_add_nc_u32 v27, v26, v27 :: v_dual_sub_nc_u32 v28, v25, v28
	v_lshrrev_b32_e32 v25, s7, v27
	s_wait_kmcnt 0x0
	s_delay_alu instid0(VALU_DEP_2) | instskip(NEXT) | instid1(VALU_DEP_2)
	v_mad_u32 v6, v28, s16, v6
	v_mul_lo_u32 v27, v25, s11
	v_mad_u32 v23, v28, s18, v23
	v_mad_u32 v24, v28, s17, v24
	s_delay_alu instid0(VALU_DEP_3) | instskip(NEXT) | instid1(VALU_DEP_1)
	v_sub_nc_u32_e32 v26, v26, v27
	v_mad_u32 v6, v26, s19, v6
	s_delay_alu instid0(VALU_DEP_4) | instskip(NEXT) | instid1(VALU_DEP_4)
	v_mad_u32 v23, v26, s9, v23
	v_mad_u32 v24, v26, s8, v24
	s_cbranch_scc1 .LBB46_204
; %bb.205:
	s_bitcmp1_b32 s3, 0
	s_cselect_b32 s3, -1, 0
	s_delay_alu instid0(SALU_CYCLE_1)
	s_and_b32 vcc_lo, exec_lo, s3
	s_cbranch_vccnz .LBB46_208
; %bb.206:
	s_clause 0x1
	s_load_b96 s[4:6], s[0:1], 0x1c
	s_load_b96 s[8:10], s[0:1], 0xdc
	s_wait_kmcnt 0x0
	v_mul_hi_u32 v26, s5, v25
	s_delay_alu instid0(VALU_DEP_1) | instskip(NEXT) | instid1(VALU_DEP_1)
	v_add_nc_u32_e32 v26, v25, v26
	v_lshrrev_b32_e32 v26, s6, v26
	s_delay_alu instid0(VALU_DEP_1) | instskip(NEXT) | instid1(VALU_DEP_1)
	v_mul_lo_u32 v26, v26, s4
	v_sub_nc_u32_e32 v25, v25, v26
	s_delay_alu instid0(VALU_DEP_1)
	v_mad_u32 v6, v25, s8, v6
	v_mad_u32 v24, v25, s9, v24
	;; [unrolled: 1-line block ×3, first 2 shown]
	s_and_not1_b32 vcc_lo, exec_lo, s2
	s_cbranch_vccz .LBB46_209
	s_branch .LBB46_212
.LBB46_207:
	s_mov_b32 s2, -1
                                        ; implicit-def: $vgpr23
                                        ; implicit-def: $vgpr24
                                        ; implicit-def: $vgpr6
.LBB46_208:
	s_delay_alu instid0(SALU_CYCLE_1)
	s_and_not1_b32 vcc_lo, exec_lo, s2
	s_cbranch_vccnz .LBB46_212
.LBB46_209:
	s_clause 0x1
	s_load_b96 s[0:2], s[12:13], 0x4
	s_load_b96 s[4:6], s[12:13], 0xc4
	s_cmp_lt_u32 s26, 2
	s_wait_kmcnt 0x0
	v_mul_hi_u32 v6, s1, v2
	s_delay_alu instid0(VALU_DEP_1) | instskip(NEXT) | instid1(VALU_DEP_1)
	v_add_nc_u32_e32 v6, v2, v6
	v_lshrrev_b32_e32 v25, s2, v6
	s_delay_alu instid0(VALU_DEP_1) | instskip(NEXT) | instid1(VALU_DEP_1)
	v_mul_lo_u32 v6, v25, s0
	v_sub_nc_u32_e32 v2, v2, v6
	s_delay_alu instid0(VALU_DEP_1)
	v_mul_lo_u32 v6, v2, s4
	v_mul_lo_u32 v23, v2, s6
	;; [unrolled: 1-line block ×3, first 2 shown]
	s_cbranch_scc1 .LBB46_212
; %bb.210:
	s_clause 0x1
	s_load_b96 s[0:2], s[12:13], 0x10
	s_load_b96 s[4:6], s[12:13], 0xd0
	s_wait_kmcnt 0x0
	v_mul_hi_u32 v2, s1, v25
	s_delay_alu instid0(VALU_DEP_1) | instskip(NEXT) | instid1(VALU_DEP_1)
	v_add_nc_u32_e32 v2, v25, v2
	v_lshrrev_b32_e32 v2, s2, v2
	s_delay_alu instid0(VALU_DEP_1) | instskip(NEXT) | instid1(VALU_DEP_1)
	v_mul_lo_u32 v2, v2, s0
	v_sub_nc_u32_e32 v2, v25, v2
	s_delay_alu instid0(VALU_DEP_1)
	v_mad_u32 v6, v2, s4, v6
	v_mad_u32 v24, v2, s5, v24
	;; [unrolled: 1-line block ×3, first 2 shown]
	s_branch .LBB46_212
.LBB46_211:
	v_dual_mov_b32 v23, 0 :: v_dual_mov_b32 v24, 0
	v_mov_b32_e32 v6, 0
	s_and_not1_b32 vcc_lo, exec_lo, s2
	s_cbranch_vccz .LBB46_209
.LBB46_212:
	s_clause 0x1
	s_load_b128 s[0:3], s[12:13], 0x188
	s_load_b64 s[4:5], s[12:13], 0x198
	s_mov_b32 s6, exec_lo
	s_wait_kmcnt 0x0
	global_load_u16 v2, v4, s[2:3]
	s_wait_loadcnt 0x0
	v_lshlrev_b32_e32 v4, 16, v2
	s_delay_alu instid0(VALU_DEP_1)
	v_cmpx_nlt_f32_e32 0, v4
	s_cbranch_execz .LBB46_214
; %bb.213:
	global_load_u16 v2, v3, s[4:5]
	s_wait_loadcnt 0x0
	v_lshlrev_b32_e32 v2, 16, v2
	s_delay_alu instid0(VALU_DEP_1) | instskip(SKIP_1) | instid1(VALU_DEP_1)
	v_mul_f32_e32 v2, v4, v2
	s_wait_xcnt 0x0
	v_bfe_u32 v3, v2, 16, 1
	v_cmp_o_f32_e32 vcc_lo, v2, v2
	s_delay_alu instid0(VALU_DEP_2) | instskip(NEXT) | instid1(VALU_DEP_1)
	v_add3_u32 v3, v2, v3, 0x7fff
	v_lshrrev_b32_e32 v3, 16, v3
	s_delay_alu instid0(VALU_DEP_1)
	v_cndmask_b32_e32 v2, 0x7fc0, v3, vcc_lo
.LBB46_214:
	s_or_b32 exec_lo, exec_lo, s6
	global_load_u16 v3, v8, s[2:3]
	s_mov_b32 s6, exec_lo
	s_wait_loadcnt 0x0
	v_lshlrev_b32_e32 v4, 16, v3
	s_wait_xcnt 0x0
	s_delay_alu instid0(VALU_DEP_1)
	v_cmpx_nlt_f32_e32 0, v4
	s_cbranch_execz .LBB46_216
; %bb.215:
	global_load_u16 v3, v7, s[4:5]
	s_wait_loadcnt 0x0
	v_lshlrev_b32_e32 v3, 16, v3
	s_delay_alu instid0(VALU_DEP_1) | instskip(NEXT) | instid1(VALU_DEP_1)
	v_mul_f32_e32 v3, v4, v3
	v_bfe_u32 v4, v3, 16, 1
	v_cmp_o_f32_e32 vcc_lo, v3, v3
	s_delay_alu instid0(VALU_DEP_2) | instskip(NEXT) | instid1(VALU_DEP_1)
	v_add3_u32 v4, v3, v4, 0x7fff
	v_lshrrev_b32_e32 v4, 16, v4
	s_delay_alu instid0(VALU_DEP_1)
	v_cndmask_b32_e32 v3, 0x7fc0, v4, vcc_lo
.LBB46_216:
	s_wait_xcnt 0x0
	s_or_b32 exec_lo, exec_lo, s6
	global_load_u16 v4, v11, s[2:3]
	s_mov_b32 s6, exec_lo
	s_wait_loadcnt 0x0
	v_lshlrev_b32_e32 v7, 16, v4
	s_wait_xcnt 0x0
	s_delay_alu instid0(VALU_DEP_1)
	v_cmpx_nlt_f32_e32 0, v7
	s_cbranch_execz .LBB46_218
; %bb.217:
	global_load_u16 v4, v10, s[4:5]
	s_wait_loadcnt 0x0
	v_lshlrev_b32_e32 v4, 16, v4
	s_delay_alu instid0(VALU_DEP_1) | instskip(NEXT) | instid1(VALU_DEP_1)
	v_mul_f32_e32 v4, v7, v4
	v_bfe_u32 v7, v4, 16, 1
	v_cmp_o_f32_e32 vcc_lo, v4, v4
	s_delay_alu instid0(VALU_DEP_2) | instskip(NEXT) | instid1(VALU_DEP_1)
	v_add3_u32 v7, v4, v7, 0x7fff
	v_lshrrev_b32_e32 v7, 16, v7
	s_delay_alu instid0(VALU_DEP_1)
	v_cndmask_b32_e32 v4, 0x7fc0, v7, vcc_lo
.LBB46_218:
	s_wait_xcnt 0x0
	;; [unrolled: 24-line block ×6, first 2 shown]
	s_or_b32 exec_lo, exec_lo, s6
	global_load_u16 v13, v24, s[2:3]
	s_wait_xcnt 0x0
	s_mov_b32 s2, exec_lo
	s_wait_loadcnt 0x0
	v_lshlrev_b32_e32 v14, 16, v13
	s_delay_alu instid0(VALU_DEP_1)
	v_cmpx_nlt_f32_e32 0, v14
	s_cbranch_execz .LBB46_228
; %bb.227:
	global_load_u16 v13, v23, s[4:5]
	s_wait_loadcnt 0x0
	v_lshlrev_b32_e32 v13, 16, v13
	s_delay_alu instid0(VALU_DEP_1) | instskip(NEXT) | instid1(VALU_DEP_1)
	v_mul_f32_e32 v13, v14, v13
	v_bfe_u32 v14, v13, 16, 1
	v_cmp_o_f32_e32 vcc_lo, v13, v13
	s_delay_alu instid0(VALU_DEP_2) | instskip(NEXT) | instid1(VALU_DEP_1)
	v_add3_u32 v14, v13, v14, 0x7fff
	v_lshrrev_b32_e32 v14, 16, v14
	s_delay_alu instid0(VALU_DEP_1)
	v_cndmask_b32_e32 v13, 0x7fc0, v14, vcc_lo
.LBB46_228:
	s_wait_xcnt 0x0
	s_or_b32 exec_lo, exec_lo, s2
	s_clause 0x7
	global_store_b16 v1, v2, s[0:1]
	global_store_b16 v5, v3, s[0:1]
	;; [unrolled: 1-line block ×8, first 2 shown]
	s_endpgm
	.section	.rodata,"a",@progbits
	.p2align	6, 0x0
	.amdhsa_kernel _ZN2at6native32elementwise_kernel_manual_unrollILi128ELi8EZNS0_22gpu_kernel_impl_nocastIZZZNS0_12prelu_kernelERNS_14TensorIteratorEENKUlvE_clEvENKUlvE1_clEvEUlN3c108BFloat16ES8_E_EEvRNS_18TensorIteratorBaseERKT_EUlibE_EEviT1_
		.amdhsa_group_segment_fixed_size 0
		.amdhsa_private_segment_fixed_size 0
		.amdhsa_kernarg_size 432
		.amdhsa_user_sgpr_count 2
		.amdhsa_user_sgpr_dispatch_ptr 0
		.amdhsa_user_sgpr_queue_ptr 0
		.amdhsa_user_sgpr_kernarg_segment_ptr 1
		.amdhsa_user_sgpr_dispatch_id 0
		.amdhsa_user_sgpr_kernarg_preload_length 0
		.amdhsa_user_sgpr_kernarg_preload_offset 0
		.amdhsa_user_sgpr_private_segment_size 0
		.amdhsa_wavefront_size32 1
		.amdhsa_uses_dynamic_stack 0
		.amdhsa_enable_private_segment 0
		.amdhsa_system_sgpr_workgroup_id_x 1
		.amdhsa_system_sgpr_workgroup_id_y 0
		.amdhsa_system_sgpr_workgroup_id_z 0
		.amdhsa_system_sgpr_workgroup_info 0
		.amdhsa_system_vgpr_workitem_id 0
		.amdhsa_next_free_vgpr 29
		.amdhsa_next_free_sgpr 46
		.amdhsa_named_barrier_count 0
		.amdhsa_reserve_vcc 1
		.amdhsa_float_round_mode_32 0
		.amdhsa_float_round_mode_16_64 0
		.amdhsa_float_denorm_mode_32 3
		.amdhsa_float_denorm_mode_16_64 3
		.amdhsa_fp16_overflow 0
		.amdhsa_memory_ordered 1
		.amdhsa_forward_progress 1
		.amdhsa_inst_pref_size 93
		.amdhsa_round_robin_scheduling 0
		.amdhsa_exception_fp_ieee_invalid_op 0
		.amdhsa_exception_fp_denorm_src 0
		.amdhsa_exception_fp_ieee_div_zero 0
		.amdhsa_exception_fp_ieee_overflow 0
		.amdhsa_exception_fp_ieee_underflow 0
		.amdhsa_exception_fp_ieee_inexact 0
		.amdhsa_exception_int_div_zero 0
	.end_amdhsa_kernel
	.section	.text._ZN2at6native32elementwise_kernel_manual_unrollILi128ELi8EZNS0_22gpu_kernel_impl_nocastIZZZNS0_12prelu_kernelERNS_14TensorIteratorEENKUlvE_clEvENKUlvE1_clEvEUlN3c108BFloat16ES8_E_EEvRNS_18TensorIteratorBaseERKT_EUlibE_EEviT1_,"axG",@progbits,_ZN2at6native32elementwise_kernel_manual_unrollILi128ELi8EZNS0_22gpu_kernel_impl_nocastIZZZNS0_12prelu_kernelERNS_14TensorIteratorEENKUlvE_clEvENKUlvE1_clEvEUlN3c108BFloat16ES8_E_EEvRNS_18TensorIteratorBaseERKT_EUlibE_EEviT1_,comdat
.Lfunc_end46:
	.size	_ZN2at6native32elementwise_kernel_manual_unrollILi128ELi8EZNS0_22gpu_kernel_impl_nocastIZZZNS0_12prelu_kernelERNS_14TensorIteratorEENKUlvE_clEvENKUlvE1_clEvEUlN3c108BFloat16ES8_E_EEvRNS_18TensorIteratorBaseERKT_EUlibE_EEviT1_, .Lfunc_end46-_ZN2at6native32elementwise_kernel_manual_unrollILi128ELi8EZNS0_22gpu_kernel_impl_nocastIZZZNS0_12prelu_kernelERNS_14TensorIteratorEENKUlvE_clEvENKUlvE1_clEvEUlN3c108BFloat16ES8_E_EEvRNS_18TensorIteratorBaseERKT_EUlibE_EEviT1_
                                        ; -- End function
	.set _ZN2at6native32elementwise_kernel_manual_unrollILi128ELi8EZNS0_22gpu_kernel_impl_nocastIZZZNS0_12prelu_kernelERNS_14TensorIteratorEENKUlvE_clEvENKUlvE1_clEvEUlN3c108BFloat16ES8_E_EEvRNS_18TensorIteratorBaseERKT_EUlibE_EEviT1_.num_vgpr, 29
	.set _ZN2at6native32elementwise_kernel_manual_unrollILi128ELi8EZNS0_22gpu_kernel_impl_nocastIZZZNS0_12prelu_kernelERNS_14TensorIteratorEENKUlvE_clEvENKUlvE1_clEvEUlN3c108BFloat16ES8_E_EEvRNS_18TensorIteratorBaseERKT_EUlibE_EEviT1_.num_agpr, 0
	.set _ZN2at6native32elementwise_kernel_manual_unrollILi128ELi8EZNS0_22gpu_kernel_impl_nocastIZZZNS0_12prelu_kernelERNS_14TensorIteratorEENKUlvE_clEvENKUlvE1_clEvEUlN3c108BFloat16ES8_E_EEvRNS_18TensorIteratorBaseERKT_EUlibE_EEviT1_.numbered_sgpr, 46
	.set _ZN2at6native32elementwise_kernel_manual_unrollILi128ELi8EZNS0_22gpu_kernel_impl_nocastIZZZNS0_12prelu_kernelERNS_14TensorIteratorEENKUlvE_clEvENKUlvE1_clEvEUlN3c108BFloat16ES8_E_EEvRNS_18TensorIteratorBaseERKT_EUlibE_EEviT1_.num_named_barrier, 0
	.set _ZN2at6native32elementwise_kernel_manual_unrollILi128ELi8EZNS0_22gpu_kernel_impl_nocastIZZZNS0_12prelu_kernelERNS_14TensorIteratorEENKUlvE_clEvENKUlvE1_clEvEUlN3c108BFloat16ES8_E_EEvRNS_18TensorIteratorBaseERKT_EUlibE_EEviT1_.private_seg_size, 0
	.set _ZN2at6native32elementwise_kernel_manual_unrollILi128ELi8EZNS0_22gpu_kernel_impl_nocastIZZZNS0_12prelu_kernelERNS_14TensorIteratorEENKUlvE_clEvENKUlvE1_clEvEUlN3c108BFloat16ES8_E_EEvRNS_18TensorIteratorBaseERKT_EUlibE_EEviT1_.uses_vcc, 1
	.set _ZN2at6native32elementwise_kernel_manual_unrollILi128ELi8EZNS0_22gpu_kernel_impl_nocastIZZZNS0_12prelu_kernelERNS_14TensorIteratorEENKUlvE_clEvENKUlvE1_clEvEUlN3c108BFloat16ES8_E_EEvRNS_18TensorIteratorBaseERKT_EUlibE_EEviT1_.uses_flat_scratch, 0
	.set _ZN2at6native32elementwise_kernel_manual_unrollILi128ELi8EZNS0_22gpu_kernel_impl_nocastIZZZNS0_12prelu_kernelERNS_14TensorIteratorEENKUlvE_clEvENKUlvE1_clEvEUlN3c108BFloat16ES8_E_EEvRNS_18TensorIteratorBaseERKT_EUlibE_EEviT1_.has_dyn_sized_stack, 0
	.set _ZN2at6native32elementwise_kernel_manual_unrollILi128ELi8EZNS0_22gpu_kernel_impl_nocastIZZZNS0_12prelu_kernelERNS_14TensorIteratorEENKUlvE_clEvENKUlvE1_clEvEUlN3c108BFloat16ES8_E_EEvRNS_18TensorIteratorBaseERKT_EUlibE_EEviT1_.has_recursion, 0
	.set _ZN2at6native32elementwise_kernel_manual_unrollILi128ELi8EZNS0_22gpu_kernel_impl_nocastIZZZNS0_12prelu_kernelERNS_14TensorIteratorEENKUlvE_clEvENKUlvE1_clEvEUlN3c108BFloat16ES8_E_EEvRNS_18TensorIteratorBaseERKT_EUlibE_EEviT1_.has_indirect_call, 0
	.section	.AMDGPU.csdata,"",@progbits
; Kernel info:
; codeLenInByte = 11880
; TotalNumSgprs: 48
; NumVgprs: 29
; ScratchSize: 0
; MemoryBound: 0
; FloatMode: 240
; IeeeMode: 1
; LDSByteSize: 0 bytes/workgroup (compile time only)
; SGPRBlocks: 0
; VGPRBlocks: 1
; NumSGPRsForWavesPerEU: 48
; NumVGPRsForWavesPerEU: 29
; NamedBarCnt: 0
; Occupancy: 16
; WaveLimiterHint : 1
; COMPUTE_PGM_RSRC2:SCRATCH_EN: 0
; COMPUTE_PGM_RSRC2:USER_SGPR: 2
; COMPUTE_PGM_RSRC2:TRAP_HANDLER: 0
; COMPUTE_PGM_RSRC2:TGID_X_EN: 1
; COMPUTE_PGM_RSRC2:TGID_Y_EN: 0
; COMPUTE_PGM_RSRC2:TGID_Z_EN: 0
; COMPUTE_PGM_RSRC2:TIDIG_COMP_CNT: 0
	.section	.text._ZN2at6native32elementwise_kernel_manual_unrollILi128ELi4EZNS0_15gpu_kernel_implIZZZNS0_12prelu_kernelERNS_14TensorIteratorEENKUlvE_clEvENKUlvE1_clEvEUlN3c108BFloat16ES8_E_EEvRNS_18TensorIteratorBaseERKT_EUlibE_EEviT1_,"axG",@progbits,_ZN2at6native32elementwise_kernel_manual_unrollILi128ELi4EZNS0_15gpu_kernel_implIZZZNS0_12prelu_kernelERNS_14TensorIteratorEENKUlvE_clEvENKUlvE1_clEvEUlN3c108BFloat16ES8_E_EEvRNS_18TensorIteratorBaseERKT_EUlibE_EEviT1_,comdat
	.globl	_ZN2at6native32elementwise_kernel_manual_unrollILi128ELi4EZNS0_15gpu_kernel_implIZZZNS0_12prelu_kernelERNS_14TensorIteratorEENKUlvE_clEvENKUlvE1_clEvEUlN3c108BFloat16ES8_E_EEvRNS_18TensorIteratorBaseERKT_EUlibE_EEviT1_ ; -- Begin function _ZN2at6native32elementwise_kernel_manual_unrollILi128ELi4EZNS0_15gpu_kernel_implIZZZNS0_12prelu_kernelERNS_14TensorIteratorEENKUlvE_clEvENKUlvE1_clEvEUlN3c108BFloat16ES8_E_EEvRNS_18TensorIteratorBaseERKT_EUlibE_EEviT1_
	.p2align	8
	.type	_ZN2at6native32elementwise_kernel_manual_unrollILi128ELi4EZNS0_15gpu_kernel_implIZZZNS0_12prelu_kernelERNS_14TensorIteratorEENKUlvE_clEvENKUlvE1_clEvEUlN3c108BFloat16ES8_E_EEvRNS_18TensorIteratorBaseERKT_EUlibE_EEviT1_,@function
_ZN2at6native32elementwise_kernel_manual_unrollILi128ELi4EZNS0_15gpu_kernel_implIZZZNS0_12prelu_kernelERNS_14TensorIteratorEENKUlvE_clEvENKUlvE1_clEvEUlN3c108BFloat16ES8_E_EEvRNS_18TensorIteratorBaseERKT_EUlibE_EEviT1_: ; @_ZN2at6native32elementwise_kernel_manual_unrollILi128ELi4EZNS0_15gpu_kernel_implIZZZNS0_12prelu_kernelERNS_14TensorIteratorEENKUlvE_clEvENKUlvE1_clEvEUlN3c108BFloat16ES8_E_EEvRNS_18TensorIteratorBaseERKT_EUlibE_EEviT1_
; %bb.0:
	v_mov_b32_e32 v1, 0
	s_bfe_u32 s4, ttmp6, 0x4000c
	s_load_b32 s16, s[0:1], 0x0
	s_add_co_i32 s13, s4, 1
	s_load_b128 s[4:7], s[0:1], 0x8
	s_clause 0x1
	global_load_u16 v2, v1, s[0:1] offset:45
	global_load_i8 v3, v1, s[0:1] offset:47
	s_clause 0x1
	s_load_b64 s[2:3], s[0:1], 0x18
	s_load_b96 s[8:10], s[0:1], 0x20
	s_and_b32 s12, ttmp6, 15
	s_wait_xcnt 0x0
	s_mul_i32 s0, ttmp9, s13
	s_getreg_b32 s14, hwreg(HW_REG_IB_STS2, 6, 4)
	s_add_co_i32 s12, s12, s0
	s_mov_b32 s15, 0
	s_wait_loadcnt 0x1
	v_readfirstlane_b32 s11, v2
	s_wait_loadcnt 0x0
	v_readfirstlane_b32 s1, v3
	s_lshr_b32 s13, s11, 8
	s_cmp_eq_u32 s14, 0
	s_cselect_b32 s0, ttmp9, s12
	s_mov_b32 s12, 0
	v_lshl_or_b32 v6, s0, 9, v0
	s_mov_b32 s0, exec_lo
	s_delay_alu instid0(VALU_DEP_1) | instskip(SKIP_1) | instid1(VALU_DEP_1)
	v_or_b32_e32 v0, 0x180, v6
	s_wait_kmcnt 0x0
	v_cmpx_le_i32_e64 s16, v0
	s_xor_b32 s14, exec_lo, s0
	s_cbranch_execz .LBB47_1555
; %bb.1:
	s_mov_b32 s23, -1
	s_mov_b32 s20, 0
	s_mov_b32 s18, 0
	;; [unrolled: 1-line block ×3, first 2 shown]
	s_mov_b32 s19, exec_lo
	v_cmpx_gt_i32_e64 s16, v6
	s_cbranch_execz .LBB47_384
; %bb.2:
	v_mul_lo_u32 v0, v6, s9
	s_and_b32 s0, s13, 0xff
	s_delay_alu instid0(SALU_CYCLE_1) | instskip(NEXT) | instid1(VALU_DEP_1)
	s_cmp_lt_i32 s0, 11
	v_ashrrev_i32_e32 v1, 31, v0
	s_delay_alu instid0(VALU_DEP_1)
	v_add_nc_u64_e32 v[0:1], s[6:7], v[0:1]
	s_cbranch_scc1 .LBB47_9
; %bb.3:
	s_and_b32 s15, 0xffff, s0
	s_delay_alu instid0(SALU_CYCLE_1)
	s_cmp_gt_i32 s15, 25
	s_cbranch_scc0 .LBB47_18
; %bb.4:
	s_cmp_gt_i32 s15, 28
	s_cbranch_scc0 .LBB47_30
; %bb.5:
	;; [unrolled: 3-line block ×4, first 2 shown]
	s_cmp_eq_u32 s15, 46
	s_mov_b32 s21, 0
	s_cbranch_scc0 .LBB47_39
; %bb.8:
	global_load_b32 v2, v[0:1], off
	s_mov_b32 s17, -1
	s_branch .LBB47_41
.LBB47_9:
                                        ; implicit-def: $vgpr2
	s_cbranch_execnz .LBB47_107
.LBB47_10:
	s_and_not1_b32 vcc_lo, exec_lo, s17
	s_cbranch_vccnz .LBB47_154
.LBB47_11:
	s_wait_xcnt 0x0
	v_mul_lo_u32 v0, v6, s10
	s_and_b32 s0, s1, 0xff
	s_delay_alu instid0(SALU_CYCLE_1) | instskip(NEXT) | instid1(VALU_DEP_1)
	s_cmp_lt_i32 s0, 11
	v_ashrrev_i32_e32 v1, 31, v0
	s_delay_alu instid0(VALU_DEP_1)
	v_add_nc_u64_e32 v[0:1], s[2:3], v[0:1]
	s_cbranch_scc1 .LBB47_19
; %bb.12:
	s_and_b32 s15, 0xffff, s0
	s_delay_alu instid0(SALU_CYCLE_1)
	s_cmp_gt_i32 s15, 25
	s_cbranch_scc0 .LBB47_31
; %bb.13:
	s_cmp_gt_i32 s15, 28
	s_cbranch_scc0 .LBB47_34
; %bb.14:
	;; [unrolled: 3-line block ×4, first 2 shown]
	s_cmp_eq_u32 s15, 46
	s_mov_b32 s22, 0
	s_cbranch_scc0 .LBB47_155
; %bb.17:
	global_load_b32 v3, v[0:1], off
	s_mov_b32 s21, -1
	s_mov_b32 s17, 0
	s_branch .LBB47_157
.LBB47_18:
                                        ; implicit-def: $vgpr2
	s_cbranch_execnz .LBB47_72
	s_branch .LBB47_106
.LBB47_19:
	s_mov_b32 s17, 0
	s_mov_b32 s21, 0
                                        ; implicit-def: $vgpr3
	s_cbranch_execnz .LBB47_333
.LBB47_20:
	s_and_not1_b32 vcc_lo, exec_lo, s21
	s_cbranch_vccnz .LBB47_381
.LBB47_21:
	s_wait_loadcnt 0x0
	v_lshlrev_b32_e32 v0, 16, v2
	s_mov_b32 s0, exec_lo
	s_delay_alu instid0(VALU_DEP_1)
	v_cmpx_nlt_f32_e32 0, v0
	s_cbranch_execz .LBB47_23
; %bb.22:
	v_lshlrev_b32_e32 v1, 16, v3
	s_delay_alu instid0(VALU_DEP_1) | instskip(NEXT) | instid1(VALU_DEP_1)
	v_mul_f32_e32 v0, v0, v1
	v_bfe_u32 v1, v0, 16, 1
	s_delay_alu instid0(VALU_DEP_1) | instskip(NEXT) | instid1(VALU_DEP_1)
	v_add3_u32 v1, v0, v1, 0x7fff
	v_lshrrev_b32_e32 v1, 16, v1
	v_cmp_o_f32_e32 vcc_lo, v0, v0
	s_delay_alu instid0(VALU_DEP_2)
	v_cndmask_b32_e32 v2, 0x7fc0, v1, vcc_lo
.LBB47_23:
	s_or_b32 exec_lo, exec_lo, s0
	v_mul_lo_u32 v0, v6, s8
	s_and_b32 s15, s11, 0xff
	s_delay_alu instid0(SALU_CYCLE_1) | instskip(NEXT) | instid1(VALU_DEP_1)
	s_cmp_lt_i32 s15, 11
	v_ashrrev_i32_e32 v1, 31, v0
	s_delay_alu instid0(VALU_DEP_1)
	v_add_nc_u64_e32 v[0:1], s[4:5], v[0:1]
	s_cbranch_scc1 .LBB47_32
; %bb.24:
	s_and_b32 s21, 0xffff, s15
	s_delay_alu instid0(SALU_CYCLE_1)
	s_cmp_gt_i32 s21, 25
	s_cbranch_scc0 .LBB47_35
; %bb.25:
	s_cmp_gt_i32 s21, 28
	s_cbranch_scc0 .LBB47_38
; %bb.26:
	;; [unrolled: 3-line block ×4, first 2 shown]
	s_mov_b32 s23, 0
	s_mov_b32 s0, -1
	s_cmp_eq_u32 s21, 46
	s_mov_b32 s22, 0
	s_cbranch_scc0 .LBB47_161
; %bb.29:
	v_and_b32_e32 v3, 0xffff, v2
	s_mov_b32 s22, -1
	s_mov_b32 s0, 0
	global_store_b32 v[0:1], v3, off
	s_branch .LBB47_161
.LBB47_30:
	s_mov_b32 s21, -1
                                        ; implicit-def: $vgpr2
	s_branch .LBB47_53
.LBB47_31:
	s_mov_b32 s22, -1
	s_mov_b32 s17, 0
	s_mov_b32 s21, 0
                                        ; implicit-def: $vgpr3
	s_branch .LBB47_297
.LBB47_32:
	s_mov_b32 s21, -1
	s_mov_b32 s0, 0
	s_mov_b32 s22, 0
	s_branch .LBB47_230
.LBB47_33:
	s_mov_b32 s21, -1
                                        ; implicit-def: $vgpr2
	s_branch .LBB47_48
.LBB47_34:
	s_mov_b32 s22, -1
	s_mov_b32 s17, 0
	s_mov_b32 s21, 0
                                        ; implicit-def: $vgpr3
	s_branch .LBB47_278
.LBB47_35:
	s_mov_b32 s23, -1
	s_mov_b32 s0, 0
	s_mov_b32 s22, 0
	s_branch .LBB47_188
.LBB47_36:
	s_mov_b32 s21, -1
	s_branch .LBB47_40
.LBB47_37:
	s_mov_b32 s22, -1
	s_mov_b32 s17, 0
	s_mov_b32 s21, 0
                                        ; implicit-def: $vgpr3
	s_branch .LBB47_273
.LBB47_38:
	s_mov_b32 s23, -1
	s_mov_b32 s0, 0
	s_mov_b32 s22, 0
	s_branch .LBB47_171
.LBB47_39:
	s_mov_b32 s18, -1
.LBB47_40:
                                        ; implicit-def: $vgpr2
.LBB47_41:
	s_and_b32 vcc_lo, exec_lo, s21
	s_cbranch_vccz .LBB47_47
; %bb.42:
	s_cmp_eq_u32 s15, 44
	s_cbranch_scc0 .LBB47_46
; %bb.43:
	s_wait_loadcnt 0x0
	global_load_u8 v2, v[0:1], off
	s_mov_b32 s18, 0
	s_mov_b32 s17, -1
	s_wait_loadcnt 0x0
	v_lshlrev_b32_e32 v3, 23, v2
	v_cmp_ne_u32_e32 vcc_lo, 0xff, v2
	s_delay_alu instid0(VALU_DEP_2) | instskip(SKIP_1) | instid1(VALU_DEP_2)
	v_cndmask_b32_e32 v3, 0x7f800001, v3, vcc_lo
	v_cmp_ne_u32_e32 vcc_lo, 0, v2
	v_cndmask_b32_e32 v2, 0x400000, v3, vcc_lo
	s_delay_alu instid0(VALU_DEP_1) | instskip(NEXT) | instid1(VALU_DEP_1)
	v_add_nc_u32_e32 v3, 0x7fff, v2
	v_lshrrev_b32_e32 v3, 16, v3
	v_cmp_o_f32_e32 vcc_lo, v2, v2
	s_delay_alu instid0(VALU_DEP_2)
	v_cndmask_b32_e32 v2, 0x7fc0, v3, vcc_lo
	s_branch .LBB47_47
.LBB47_44:
	s_mov_b32 s22, -1
	s_mov_b32 s17, 0
	s_branch .LBB47_156
.LBB47_45:
	s_mov_b32 s23, -1
	s_mov_b32 s0, 0
	s_mov_b32 s22, 0
	s_branch .LBB47_167
.LBB47_46:
	s_mov_b32 s18, -1
                                        ; implicit-def: $vgpr2
.LBB47_47:
	s_mov_b32 s21, 0
.LBB47_48:
	s_delay_alu instid0(SALU_CYCLE_1)
	s_and_b32 vcc_lo, exec_lo, s21
	s_cbranch_vccz .LBB47_52
; %bb.49:
	s_cmp_eq_u32 s15, 29
	s_cbranch_scc0 .LBB47_51
; %bb.50:
	s_wait_loadcnt 0x0
	global_load_b64 v[2:3], v[0:1], off
	s_mov_b32 s17, -1
	s_mov_b32 s18, 0
	s_mov_b32 s21, 0
	s_wait_loadcnt 0x0
	v_clz_i32_u32_e32 v4, v3
	s_delay_alu instid0(VALU_DEP_1) | instskip(NEXT) | instid1(VALU_DEP_1)
	v_min_u32_e32 v4, 32, v4
	v_lshlrev_b64_e32 v[2:3], v4, v[2:3]
	s_delay_alu instid0(VALU_DEP_1) | instskip(NEXT) | instid1(VALU_DEP_1)
	v_min_u32_e32 v2, 1, v2
	v_dual_sub_nc_u32 v3, 32, v4 :: v_dual_bitop2_b32 v2, v3, v2 bitop3:0x54
	s_delay_alu instid0(VALU_DEP_1) | instskip(NEXT) | instid1(VALU_DEP_1)
	v_cvt_f32_u32_e32 v2, v2
	v_ldexp_f32 v2, v2, v3
	s_delay_alu instid0(VALU_DEP_1) | instskip(NEXT) | instid1(VALU_DEP_1)
	v_bfe_u32 v3, v2, 16, 1
	v_add3_u32 v2, v2, v3, 0x7fff
	s_delay_alu instid0(VALU_DEP_1)
	v_lshrrev_b32_e32 v2, 16, v2
	s_branch .LBB47_53
.LBB47_51:
	s_mov_b32 s18, -1
                                        ; implicit-def: $vgpr2
.LBB47_52:
	s_mov_b32 s21, 0
.LBB47_53:
	s_delay_alu instid0(SALU_CYCLE_1)
	s_and_b32 vcc_lo, exec_lo, s21
	s_cbranch_vccz .LBB47_71
; %bb.54:
	s_cmp_lt_i32 s15, 27
	s_cbranch_scc1 .LBB47_57
; %bb.55:
	s_cmp_gt_i32 s15, 27
	s_cbranch_scc0 .LBB47_58
; %bb.56:
	s_wait_loadcnt 0x0
	global_load_b32 v2, v[0:1], off
	s_mov_b32 s17, 0
	s_wait_loadcnt 0x0
	v_cvt_f32_u32_e32 v2, v2
	s_delay_alu instid0(VALU_DEP_1) | instskip(NEXT) | instid1(VALU_DEP_1)
	v_bfe_u32 v3, v2, 16, 1
	v_add3_u32 v2, v2, v3, 0x7fff
	s_delay_alu instid0(VALU_DEP_1)
	v_lshrrev_b32_e32 v2, 16, v2
	s_branch .LBB47_59
.LBB47_57:
	s_mov_b32 s17, -1
                                        ; implicit-def: $vgpr2
	s_branch .LBB47_62
.LBB47_58:
	s_mov_b32 s17, -1
                                        ; implicit-def: $vgpr2
.LBB47_59:
	s_delay_alu instid0(SALU_CYCLE_1)
	s_and_not1_b32 vcc_lo, exec_lo, s17
	s_cbranch_vccnz .LBB47_61
; %bb.60:
	s_wait_loadcnt 0x0
	global_load_u16 v2, v[0:1], off
	s_wait_loadcnt 0x0
	v_cvt_f32_u32_e32 v2, v2
	s_delay_alu instid0(VALU_DEP_1) | instskip(NEXT) | instid1(VALU_DEP_1)
	v_bfe_u32 v3, v2, 16, 1
	v_add3_u32 v2, v2, v3, 0x7fff
	s_delay_alu instid0(VALU_DEP_1)
	v_lshrrev_b32_e32 v2, 16, v2
.LBB47_61:
	s_mov_b32 s17, 0
.LBB47_62:
	s_delay_alu instid0(SALU_CYCLE_1)
	s_and_not1_b32 vcc_lo, exec_lo, s17
	s_cbranch_vccnz .LBB47_70
; %bb.63:
	s_wait_loadcnt 0x0
	global_load_u8 v2, v[0:1], off
	s_mov_b32 s17, 0
	s_mov_b32 s21, exec_lo
	s_wait_loadcnt 0x0
	v_cmpx_lt_i16_e32 0x7f, v2
	s_xor_b32 s21, exec_lo, s21
	s_cbranch_execz .LBB47_83
; %bb.64:
	s_mov_b32 s17, -1
	s_mov_b32 s22, exec_lo
	v_cmpx_eq_u16_e32 0x80, v2
; %bb.65:
	s_xor_b32 s17, exec_lo, -1
; %bb.66:
	s_or_b32 exec_lo, exec_lo, s22
	s_delay_alu instid0(SALU_CYCLE_1)
	s_and_b32 s17, s17, exec_lo
	s_or_saveexec_b32 s21, s21
	v_mov_b32_e32 v3, 0x7f800001
	s_xor_b32 exec_lo, exec_lo, s21
	s_cbranch_execnz .LBB47_84
.LBB47_67:
	s_or_b32 exec_lo, exec_lo, s21
	s_and_saveexec_b32 s21, s17
	s_cbranch_execz .LBB47_69
.LBB47_68:
	v_and_b32_e32 v3, 0xffff, v2
	s_delay_alu instid0(VALU_DEP_1) | instskip(SKIP_1) | instid1(VALU_DEP_2)
	v_and_b32_e32 v4, 7, v3
	v_bfe_u32 v8, v3, 3, 4
	v_clz_i32_u32_e32 v5, v4
	s_delay_alu instid0(VALU_DEP_2) | instskip(NEXT) | instid1(VALU_DEP_2)
	v_cmp_eq_u32_e32 vcc_lo, 0, v8
	v_min_u32_e32 v5, 32, v5
	s_delay_alu instid0(VALU_DEP_1) | instskip(NEXT) | instid1(VALU_DEP_1)
	v_subrev_nc_u32_e32 v7, 28, v5
	v_dual_lshlrev_b32 v3, v7, v3 :: v_dual_sub_nc_u32 v5, 29, v5
	s_delay_alu instid0(VALU_DEP_1) | instskip(NEXT) | instid1(VALU_DEP_2)
	v_dual_lshlrev_b32 v2, 24, v2 :: v_dual_bitop2_b32 v3, 7, v3 bitop3:0x40
	v_cndmask_b32_e32 v5, v8, v5, vcc_lo
	s_delay_alu instid0(VALU_DEP_2) | instskip(NEXT) | instid1(VALU_DEP_3)
	v_cndmask_b32_e32 v3, v4, v3, vcc_lo
	v_and_b32_e32 v2, 0x80000000, v2
	s_delay_alu instid0(VALU_DEP_3) | instskip(NEXT) | instid1(VALU_DEP_3)
	v_lshl_add_u32 v4, v5, 23, 0x3b800000
	v_lshlrev_b32_e32 v3, 20, v3
	s_delay_alu instid0(VALU_DEP_1)
	v_or3_b32 v3, v2, v4, v3
.LBB47_69:
	s_or_b32 exec_lo, exec_lo, s21
	s_delay_alu instid0(VALU_DEP_1) | instskip(SKIP_1) | instid1(VALU_DEP_2)
	v_bfe_u32 v2, v3, 16, 1
	v_cmp_o_f32_e32 vcc_lo, v3, v3
	v_add3_u32 v2, v3, v2, 0x7fff
	s_delay_alu instid0(VALU_DEP_1) | instskip(NEXT) | instid1(VALU_DEP_1)
	v_lshrrev_b32_e32 v2, 16, v2
	v_cndmask_b32_e32 v2, 0x7fc0, v2, vcc_lo
.LBB47_70:
	s_mov_b32 s17, -1
.LBB47_71:
	s_branch .LBB47_106
.LBB47_72:
	s_cmp_gt_i32 s15, 22
	s_cbranch_scc0 .LBB47_82
; %bb.73:
	s_cmp_lt_i32 s15, 24
	s_cbranch_scc1 .LBB47_85
; %bb.74:
	s_cmp_gt_i32 s15, 24
	s_cbranch_scc0 .LBB47_86
; %bb.75:
	s_wait_loadcnt 0x0
	global_load_u8 v2, v[0:1], off
	s_mov_b32 s17, 0
	s_mov_b32 s21, exec_lo
	s_wait_loadcnt 0x0
	v_cmpx_lt_i16_e32 0x7f, v2
	s_xor_b32 s21, exec_lo, s21
	s_cbranch_execz .LBB47_98
; %bb.76:
	s_mov_b32 s17, -1
	s_mov_b32 s22, exec_lo
	v_cmpx_eq_u16_e32 0x80, v2
; %bb.77:
	s_xor_b32 s17, exec_lo, -1
; %bb.78:
	s_or_b32 exec_lo, exec_lo, s22
	s_delay_alu instid0(SALU_CYCLE_1)
	s_and_b32 s17, s17, exec_lo
	s_or_saveexec_b32 s21, s21
	v_mov_b32_e32 v3, 0x7f800001
	s_xor_b32 exec_lo, exec_lo, s21
	s_cbranch_execnz .LBB47_99
.LBB47_79:
	s_or_b32 exec_lo, exec_lo, s21
	s_and_saveexec_b32 s21, s17
	s_cbranch_execz .LBB47_81
.LBB47_80:
	v_and_b32_e32 v3, 0xffff, v2
	s_delay_alu instid0(VALU_DEP_1) | instskip(SKIP_1) | instid1(VALU_DEP_2)
	v_and_b32_e32 v4, 3, v3
	v_bfe_u32 v8, v3, 2, 5
	v_clz_i32_u32_e32 v5, v4
	s_delay_alu instid0(VALU_DEP_2) | instskip(NEXT) | instid1(VALU_DEP_2)
	v_cmp_eq_u32_e32 vcc_lo, 0, v8
	v_min_u32_e32 v5, 32, v5
	s_delay_alu instid0(VALU_DEP_1) | instskip(NEXT) | instid1(VALU_DEP_1)
	v_subrev_nc_u32_e32 v7, 29, v5
	v_dual_lshlrev_b32 v3, v7, v3 :: v_dual_sub_nc_u32 v5, 30, v5
	s_delay_alu instid0(VALU_DEP_1) | instskip(NEXT) | instid1(VALU_DEP_2)
	v_dual_lshlrev_b32 v2, 24, v2 :: v_dual_bitop2_b32 v3, 3, v3 bitop3:0x40
	v_cndmask_b32_e32 v5, v8, v5, vcc_lo
	s_delay_alu instid0(VALU_DEP_2) | instskip(NEXT) | instid1(VALU_DEP_3)
	v_cndmask_b32_e32 v3, v4, v3, vcc_lo
	v_and_b32_e32 v2, 0x80000000, v2
	s_delay_alu instid0(VALU_DEP_3) | instskip(NEXT) | instid1(VALU_DEP_3)
	v_lshl_add_u32 v4, v5, 23, 0x37800000
	v_lshlrev_b32_e32 v3, 21, v3
	s_delay_alu instid0(VALU_DEP_1)
	v_or3_b32 v3, v2, v4, v3
.LBB47_81:
	s_or_b32 exec_lo, exec_lo, s21
	s_delay_alu instid0(VALU_DEP_1) | instskip(SKIP_2) | instid1(VALU_DEP_2)
	v_bfe_u32 v2, v3, 16, 1
	v_cmp_o_f32_e32 vcc_lo, v3, v3
	s_mov_b32 s17, 0
	v_add3_u32 v2, v3, v2, 0x7fff
	s_delay_alu instid0(VALU_DEP_1) | instskip(NEXT) | instid1(VALU_DEP_1)
	v_lshrrev_b32_e32 v2, 16, v2
	v_cndmask_b32_e32 v2, 0x7fc0, v2, vcc_lo
	s_branch .LBB47_87
.LBB47_82:
	s_mov_b32 s21, -1
                                        ; implicit-def: $vgpr2
	s_branch .LBB47_93
.LBB47_83:
	s_or_saveexec_b32 s21, s21
	v_mov_b32_e32 v3, 0x7f800001
	s_xor_b32 exec_lo, exec_lo, s21
	s_cbranch_execz .LBB47_67
.LBB47_84:
	v_cmp_ne_u16_e32 vcc_lo, 0, v2
	v_mov_b32_e32 v3, 0
	s_and_not1_b32 s17, s17, exec_lo
	s_and_b32 s22, vcc_lo, exec_lo
	s_delay_alu instid0(SALU_CYCLE_1)
	s_or_b32 s17, s17, s22
	s_or_b32 exec_lo, exec_lo, s21
	s_and_saveexec_b32 s21, s17
	s_cbranch_execnz .LBB47_68
	s_branch .LBB47_69
.LBB47_85:
	s_mov_b32 s17, -1
                                        ; implicit-def: $vgpr2
	s_branch .LBB47_90
.LBB47_86:
	s_mov_b32 s17, -1
                                        ; implicit-def: $vgpr2
.LBB47_87:
	s_delay_alu instid0(SALU_CYCLE_1)
	s_and_b32 vcc_lo, exec_lo, s17
	s_cbranch_vccz .LBB47_89
; %bb.88:
	s_wait_loadcnt 0x0
	global_load_u8 v2, v[0:1], off
	s_wait_loadcnt 0x0
	v_lshlrev_b32_e32 v2, 24, v2
	s_delay_alu instid0(VALU_DEP_1) | instskip(NEXT) | instid1(VALU_DEP_1)
	v_and_b32_e32 v3, 0x7f000000, v2
	v_clz_i32_u32_e32 v4, v3
	v_add_nc_u32_e32 v7, 0x1000000, v3
	v_cmp_ne_u32_e32 vcc_lo, 0, v3
	s_delay_alu instid0(VALU_DEP_3) | instskip(NEXT) | instid1(VALU_DEP_1)
	v_min_u32_e32 v4, 32, v4
	v_sub_nc_u32_e64 v4, v4, 4 clamp
	s_delay_alu instid0(VALU_DEP_1) | instskip(NEXT) | instid1(VALU_DEP_1)
	v_dual_lshlrev_b32 v5, v4, v3 :: v_dual_lshlrev_b32 v4, 23, v4
	v_lshrrev_b32_e32 v5, 4, v5
	s_delay_alu instid0(VALU_DEP_1) | instskip(NEXT) | instid1(VALU_DEP_1)
	v_dual_sub_nc_u32 v4, v5, v4 :: v_dual_ashrrev_i32 v5, 8, v7
	v_add_nc_u32_e32 v4, 0x3c000000, v4
	s_delay_alu instid0(VALU_DEP_1) | instskip(NEXT) | instid1(VALU_DEP_1)
	v_and_or_b32 v4, 0x7f800000, v5, v4
	v_cndmask_b32_e32 v3, 0, v4, vcc_lo
	s_delay_alu instid0(VALU_DEP_1) | instskip(SKIP_1) | instid1(VALU_DEP_2)
	v_and_or_b32 v2, 0x80000000, v2, v3
	v_bfe_u32 v3, v3, 16, 1
	v_cmp_o_f32_e32 vcc_lo, v2, v2
	s_delay_alu instid0(VALU_DEP_2) | instskip(NEXT) | instid1(VALU_DEP_1)
	v_add3_u32 v3, v2, v3, 0x7fff
	v_lshrrev_b32_e32 v3, 16, v3
	s_delay_alu instid0(VALU_DEP_1)
	v_cndmask_b32_e32 v2, 0x7fc0, v3, vcc_lo
.LBB47_89:
	s_mov_b32 s17, 0
.LBB47_90:
	s_delay_alu instid0(SALU_CYCLE_1)
	s_and_not1_b32 vcc_lo, exec_lo, s17
	s_cbranch_vccnz .LBB47_92
; %bb.91:
	s_wait_loadcnt 0x0
	global_load_u8 v2, v[0:1], off
	s_wait_loadcnt 0x0
	v_lshlrev_b32_e32 v3, 25, v2
	v_lshlrev_b16 v2, 8, v2
	s_delay_alu instid0(VALU_DEP_1) | instskip(SKIP_1) | instid1(VALU_DEP_2)
	v_and_or_b32 v5, 0x7f00, v2, 0.5
	v_bfe_i32 v2, v2, 0, 16
	v_dual_add_f32 v5, -0.5, v5 :: v_dual_lshrrev_b32 v4, 4, v3
	v_cmp_gt_u32_e32 vcc_lo, 0x8000000, v3
	s_delay_alu instid0(VALU_DEP_2) | instskip(NEXT) | instid1(VALU_DEP_1)
	v_or_b32_e32 v4, 0x70000000, v4
	v_mul_f32_e32 v4, 0x7800000, v4
	s_delay_alu instid0(VALU_DEP_1) | instskip(NEXT) | instid1(VALU_DEP_1)
	v_cndmask_b32_e32 v3, v4, v5, vcc_lo
	v_and_or_b32 v2, 0x80000000, v2, v3
	v_bfe_u32 v3, v3, 16, 1
	s_delay_alu instid0(VALU_DEP_2) | instskip(NEXT) | instid1(VALU_DEP_2)
	v_cmp_o_f32_e32 vcc_lo, v2, v2
	v_add3_u32 v3, v2, v3, 0x7fff
	s_delay_alu instid0(VALU_DEP_1) | instskip(NEXT) | instid1(VALU_DEP_1)
	v_lshrrev_b32_e32 v3, 16, v3
	v_cndmask_b32_e32 v2, 0x7fc0, v3, vcc_lo
.LBB47_92:
	s_mov_b32 s21, 0
	s_mov_b32 s17, -1
.LBB47_93:
	s_and_not1_b32 vcc_lo, exec_lo, s21
	s_cbranch_vccnz .LBB47_106
; %bb.94:
	s_cmp_gt_i32 s15, 14
	s_cbranch_scc0 .LBB47_97
; %bb.95:
	s_cmp_eq_u32 s15, 15
	s_cbranch_scc0 .LBB47_100
; %bb.96:
	s_wait_loadcnt 0x0
	global_load_u16 v2, v[0:1], off
	s_mov_b32 s17, -1
	s_mov_b32 s18, 0
	s_branch .LBB47_101
.LBB47_97:
	s_mov_b32 s21, -1
                                        ; implicit-def: $vgpr2
	s_branch .LBB47_102
.LBB47_98:
	s_or_saveexec_b32 s21, s21
	v_mov_b32_e32 v3, 0x7f800001
	s_xor_b32 exec_lo, exec_lo, s21
	s_cbranch_execz .LBB47_79
.LBB47_99:
	v_cmp_ne_u16_e32 vcc_lo, 0, v2
	v_mov_b32_e32 v3, 0
	s_and_not1_b32 s17, s17, exec_lo
	s_and_b32 s22, vcc_lo, exec_lo
	s_delay_alu instid0(SALU_CYCLE_1)
	s_or_b32 s17, s17, s22
	s_or_b32 exec_lo, exec_lo, s21
	s_and_saveexec_b32 s21, s17
	s_cbranch_execnz .LBB47_80
	s_branch .LBB47_81
.LBB47_100:
	s_mov_b32 s18, -1
                                        ; implicit-def: $vgpr2
.LBB47_101:
	s_mov_b32 s21, 0
.LBB47_102:
	s_delay_alu instid0(SALU_CYCLE_1)
	s_and_b32 vcc_lo, exec_lo, s21
	s_cbranch_vccz .LBB47_106
; %bb.103:
	s_cmp_eq_u32 s15, 11
	s_cbranch_scc0 .LBB47_105
; %bb.104:
	s_wait_loadcnt 0x0
	global_load_u8 v2, v[0:1], off
	s_mov_b32 s18, 0
	s_mov_b32 s17, -1
	s_wait_loadcnt 0x0
	v_cmp_ne_u16_e32 vcc_lo, 0, v2
	v_cndmask_b32_e64 v2, 0, 1.0, vcc_lo
	s_delay_alu instid0(VALU_DEP_1)
	v_lshrrev_b32_e32 v2, 16, v2
	s_branch .LBB47_106
.LBB47_105:
	s_mov_b32 s18, -1
                                        ; implicit-def: $vgpr2
.LBB47_106:
	s_branch .LBB47_10
.LBB47_107:
	s_and_b32 s0, 0xffff, s0
	s_delay_alu instid0(SALU_CYCLE_1)
	s_cmp_lt_i32 s0, 5
	s_cbranch_scc1 .LBB47_112
; %bb.108:
	s_cmp_lt_i32 s0, 8
	s_cbranch_scc1 .LBB47_113
; %bb.109:
	;; [unrolled: 3-line block ×3, first 2 shown]
	s_cmp_gt_i32 s0, 9
	s_cbranch_scc0 .LBB47_115
; %bb.111:
	s_wait_loadcnt 0x0
	global_load_b64 v[2:3], v[0:1], off
	s_mov_b32 s15, 0
	s_wait_loadcnt 0x0
	v_cvt_f32_f64_e32 v2, v[2:3]
	s_delay_alu instid0(VALU_DEP_1) | instskip(SKIP_1) | instid1(VALU_DEP_2)
	v_bfe_u32 v3, v2, 16, 1
	v_cmp_o_f32_e32 vcc_lo, v2, v2
	v_add3_u32 v3, v2, v3, 0x7fff
	s_delay_alu instid0(VALU_DEP_1) | instskip(NEXT) | instid1(VALU_DEP_1)
	v_lshrrev_b32_e32 v3, 16, v3
	v_cndmask_b32_e32 v2, 0x7fc0, v3, vcc_lo
	s_branch .LBB47_116
.LBB47_112:
                                        ; implicit-def: $vgpr2
	s_branch .LBB47_134
.LBB47_113:
	s_mov_b32 s15, -1
                                        ; implicit-def: $vgpr2
	s_branch .LBB47_122
.LBB47_114:
	s_mov_b32 s15, -1
                                        ; implicit-def: $vgpr2
	s_branch .LBB47_119
.LBB47_115:
	s_mov_b32 s15, -1
                                        ; implicit-def: $vgpr2
.LBB47_116:
	s_delay_alu instid0(SALU_CYCLE_1)
	s_and_not1_b32 vcc_lo, exec_lo, s15
	s_cbranch_vccnz .LBB47_118
; %bb.117:
	s_wait_loadcnt 0x0
	global_load_b32 v2, v[0:1], off
	s_wait_loadcnt 0x0
	v_bfe_u32 v3, v2, 16, 1
	v_cmp_o_f32_e32 vcc_lo, v2, v2
	s_delay_alu instid0(VALU_DEP_2) | instskip(NEXT) | instid1(VALU_DEP_1)
	v_add3_u32 v3, v2, v3, 0x7fff
	v_lshrrev_b32_e32 v3, 16, v3
	s_delay_alu instid0(VALU_DEP_1)
	v_cndmask_b32_e32 v2, 0x7fc0, v3, vcc_lo
.LBB47_118:
	s_mov_b32 s15, 0
.LBB47_119:
	s_delay_alu instid0(SALU_CYCLE_1)
	s_and_not1_b32 vcc_lo, exec_lo, s15
	s_cbranch_vccnz .LBB47_121
; %bb.120:
	s_wait_loadcnt 0x0
	global_load_b32 v2, v[0:1], off
	s_wait_loadcnt 0x0
	v_cvt_f32_f16_e32 v3, v2
	v_cmp_o_f16_e32 vcc_lo, v2, v2
	s_delay_alu instid0(VALU_DEP_2) | instskip(NEXT) | instid1(VALU_DEP_1)
	v_bfe_u32 v4, v3, 16, 1
	v_add3_u32 v3, v3, v4, 0x7fff
	s_delay_alu instid0(VALU_DEP_1) | instskip(NEXT) | instid1(VALU_DEP_1)
	v_lshrrev_b32_e32 v3, 16, v3
	v_cndmask_b32_e32 v2, 0x7fc0, v3, vcc_lo
.LBB47_121:
	s_mov_b32 s15, 0
.LBB47_122:
	s_delay_alu instid0(SALU_CYCLE_1)
	s_and_not1_b32 vcc_lo, exec_lo, s15
	s_cbranch_vccnz .LBB47_133
; %bb.123:
	s_cmp_lt_i32 s0, 6
	s_cbranch_scc1 .LBB47_126
; %bb.124:
	s_cmp_gt_i32 s0, 6
	s_cbranch_scc0 .LBB47_127
; %bb.125:
	s_wait_loadcnt 0x0
	global_load_b64 v[2:3], v[0:1], off
	s_mov_b32 s15, 0
	s_wait_loadcnt 0x0
	v_cvt_f32_f64_e32 v2, v[2:3]
	s_delay_alu instid0(VALU_DEP_1) | instskip(SKIP_1) | instid1(VALU_DEP_2)
	v_bfe_u32 v3, v2, 16, 1
	v_cmp_o_f32_e32 vcc_lo, v2, v2
	v_add3_u32 v3, v2, v3, 0x7fff
	s_delay_alu instid0(VALU_DEP_1) | instskip(NEXT) | instid1(VALU_DEP_1)
	v_lshrrev_b32_e32 v3, 16, v3
	v_cndmask_b32_e32 v2, 0x7fc0, v3, vcc_lo
	s_branch .LBB47_128
.LBB47_126:
	s_mov_b32 s15, -1
                                        ; implicit-def: $vgpr2
	s_branch .LBB47_131
.LBB47_127:
	s_mov_b32 s15, -1
                                        ; implicit-def: $vgpr2
.LBB47_128:
	s_delay_alu instid0(SALU_CYCLE_1)
	s_and_not1_b32 vcc_lo, exec_lo, s15
	s_cbranch_vccnz .LBB47_130
; %bb.129:
	s_wait_loadcnt 0x0
	global_load_b32 v2, v[0:1], off
	s_wait_loadcnt 0x0
	v_bfe_u32 v3, v2, 16, 1
	v_cmp_o_f32_e32 vcc_lo, v2, v2
	s_delay_alu instid0(VALU_DEP_2) | instskip(NEXT) | instid1(VALU_DEP_1)
	v_add3_u32 v3, v2, v3, 0x7fff
	v_lshrrev_b32_e32 v3, 16, v3
	s_delay_alu instid0(VALU_DEP_1)
	v_cndmask_b32_e32 v2, 0x7fc0, v3, vcc_lo
.LBB47_130:
	s_mov_b32 s15, 0
.LBB47_131:
	s_delay_alu instid0(SALU_CYCLE_1)
	s_and_not1_b32 vcc_lo, exec_lo, s15
	s_cbranch_vccnz .LBB47_133
; %bb.132:
	s_wait_loadcnt 0x0
	global_load_u16 v2, v[0:1], off
	s_wait_loadcnt 0x0
	v_cvt_f32_f16_e32 v3, v2
	v_cmp_o_f16_e32 vcc_lo, v2, v2
	s_delay_alu instid0(VALU_DEP_2) | instskip(NEXT) | instid1(VALU_DEP_1)
	v_bfe_u32 v4, v3, 16, 1
	v_add3_u32 v3, v3, v4, 0x7fff
	s_delay_alu instid0(VALU_DEP_1) | instskip(NEXT) | instid1(VALU_DEP_1)
	v_lshrrev_b32_e32 v3, 16, v3
	v_cndmask_b32_e32 v2, 0x7fc0, v3, vcc_lo
.LBB47_133:
	s_cbranch_execnz .LBB47_153
.LBB47_134:
	s_cmp_lt_i32 s0, 2
	s_cbranch_scc1 .LBB47_138
; %bb.135:
	s_cmp_lt_i32 s0, 3
	s_cbranch_scc1 .LBB47_139
; %bb.136:
	s_cmp_gt_i32 s0, 3
	s_cbranch_scc0 .LBB47_140
; %bb.137:
	s_wait_loadcnt 0x0
	global_load_b64 v[2:3], v[0:1], off
	s_mov_b32 s15, 0
	s_wait_loadcnt 0x0
	v_xor_b32_e32 v4, v2, v3
	v_cls_i32_e32 v5, v3
	s_delay_alu instid0(VALU_DEP_2) | instskip(NEXT) | instid1(VALU_DEP_1)
	v_ashrrev_i32_e32 v4, 31, v4
	v_add_nc_u32_e32 v4, 32, v4
	s_delay_alu instid0(VALU_DEP_1) | instskip(NEXT) | instid1(VALU_DEP_1)
	v_add_min_u32_e64 v4, v5, -1, v4
	v_lshlrev_b64_e32 v[2:3], v4, v[2:3]
	s_delay_alu instid0(VALU_DEP_1) | instskip(NEXT) | instid1(VALU_DEP_1)
	v_min_u32_e32 v2, 1, v2
	v_dual_sub_nc_u32 v3, 32, v4 :: v_dual_bitop2_b32 v2, v3, v2 bitop3:0x54
	s_delay_alu instid0(VALU_DEP_1) | instskip(NEXT) | instid1(VALU_DEP_1)
	v_cvt_f32_i32_e32 v2, v2
	v_ldexp_f32 v2, v2, v3
	s_delay_alu instid0(VALU_DEP_1) | instskip(NEXT) | instid1(VALU_DEP_1)
	v_bfe_u32 v3, v2, 16, 1
	v_add3_u32 v2, v2, v3, 0x7fff
	s_delay_alu instid0(VALU_DEP_1)
	v_lshrrev_b32_e32 v2, 16, v2
	s_branch .LBB47_141
.LBB47_138:
	s_mov_b32 s15, -1
                                        ; implicit-def: $vgpr2
	s_branch .LBB47_147
.LBB47_139:
	s_mov_b32 s15, -1
                                        ; implicit-def: $vgpr2
	s_branch .LBB47_144
.LBB47_140:
	s_mov_b32 s15, -1
                                        ; implicit-def: $vgpr2
.LBB47_141:
	s_delay_alu instid0(SALU_CYCLE_1)
	s_and_not1_b32 vcc_lo, exec_lo, s15
	s_cbranch_vccnz .LBB47_143
; %bb.142:
	s_wait_loadcnt 0x0
	global_load_b32 v2, v[0:1], off
	s_wait_loadcnt 0x0
	v_cvt_f32_i32_e32 v2, v2
	s_delay_alu instid0(VALU_DEP_1) | instskip(NEXT) | instid1(VALU_DEP_1)
	v_bfe_u32 v3, v2, 16, 1
	v_add3_u32 v2, v2, v3, 0x7fff
	s_delay_alu instid0(VALU_DEP_1)
	v_lshrrev_b32_e32 v2, 16, v2
.LBB47_143:
	s_mov_b32 s15, 0
.LBB47_144:
	s_delay_alu instid0(SALU_CYCLE_1)
	s_and_not1_b32 vcc_lo, exec_lo, s15
	s_cbranch_vccnz .LBB47_146
; %bb.145:
	s_wait_loadcnt 0x0
	global_load_i16 v2, v[0:1], off
	s_wait_loadcnt 0x0
	v_cvt_f32_i32_e32 v2, v2
	s_delay_alu instid0(VALU_DEP_1) | instskip(NEXT) | instid1(VALU_DEP_1)
	v_bfe_u32 v3, v2, 16, 1
	v_add3_u32 v2, v2, v3, 0x7fff
	s_delay_alu instid0(VALU_DEP_1)
	v_lshrrev_b32_e32 v2, 16, v2
.LBB47_146:
	s_mov_b32 s15, 0
.LBB47_147:
	s_delay_alu instid0(SALU_CYCLE_1)
	s_and_not1_b32 vcc_lo, exec_lo, s15
	s_cbranch_vccnz .LBB47_153
; %bb.148:
	s_cmp_gt_i32 s0, 0
	s_mov_b32 s0, 0
	s_cbranch_scc0 .LBB47_150
; %bb.149:
	s_wait_loadcnt 0x0
	global_load_i8 v2, v[0:1], off
	s_wait_loadcnt 0x0
	v_cvt_f32_i32_e32 v2, v2
	s_delay_alu instid0(VALU_DEP_1) | instskip(NEXT) | instid1(VALU_DEP_1)
	v_bfe_u32 v3, v2, 16, 1
	v_add3_u32 v2, v2, v3, 0x7fff
	s_delay_alu instid0(VALU_DEP_1)
	v_lshrrev_b32_e32 v2, 16, v2
	s_branch .LBB47_151
.LBB47_150:
	s_mov_b32 s0, -1
                                        ; implicit-def: $vgpr2
.LBB47_151:
	s_delay_alu instid0(SALU_CYCLE_1)
	s_and_not1_b32 vcc_lo, exec_lo, s0
	s_cbranch_vccnz .LBB47_153
; %bb.152:
	global_load_u8 v0, v[0:1], off
	s_wait_loadcnt 0x0
	v_cvt_f32_ubyte0_e32 v0, v0
	s_delay_alu instid0(VALU_DEP_1) | instskip(NEXT) | instid1(VALU_DEP_1)
	v_bfe_u32 v1, v0, 16, 1
	v_add3_u32 v0, v0, v1, 0x7fff
	s_delay_alu instid0(VALU_DEP_1)
	v_lshrrev_b32_e32 v2, 16, v0
.LBB47_153:
	s_branch .LBB47_11
.LBB47_154:
	s_mov_b32 s0, 0
	s_mov_b32 s17, 0
	s_branch .LBB47_382
.LBB47_155:
	s_mov_b32 s17, -1
.LBB47_156:
	s_mov_b32 s21, 0
                                        ; implicit-def: $vgpr3
.LBB47_157:
	s_and_b32 vcc_lo, exec_lo, s22
	s_cbranch_vccz .LBB47_272
; %bb.158:
	s_cmp_eq_u32 s15, 44
	s_cbranch_scc0 .LBB47_271
; %bb.159:
	s_wait_loadcnt 0x0
	global_load_u8 v3, v[0:1], off
	s_mov_b32 s17, 0
	s_mov_b32 s21, -1
	s_wait_loadcnt 0x0
	v_lshlrev_b32_e32 v4, 23, v3
	v_cmp_ne_u32_e32 vcc_lo, 0xff, v3
	s_delay_alu instid0(VALU_DEP_2) | instskip(SKIP_1) | instid1(VALU_DEP_2)
	v_cndmask_b32_e32 v4, 0x7f800001, v4, vcc_lo
	v_cmp_ne_u32_e32 vcc_lo, 0, v3
	v_cndmask_b32_e32 v3, 0x400000, v4, vcc_lo
	s_delay_alu instid0(VALU_DEP_1) | instskip(NEXT) | instid1(VALU_DEP_1)
	v_add_nc_u32_e32 v4, 0x7fff, v3
	v_lshrrev_b32_e32 v4, 16, v4
	v_cmp_o_f32_e32 vcc_lo, v3, v3
	s_delay_alu instid0(VALU_DEP_2)
	v_cndmask_b32_e32 v3, 0x7fc0, v4, vcc_lo
	s_branch .LBB47_272
.LBB47_160:
	s_mov_b32 s23, -1
	s_mov_b32 s0, 0
	s_mov_b32 s22, 0
.LBB47_161:
	s_and_b32 vcc_lo, exec_lo, s23
	s_cbranch_vccz .LBB47_166
; %bb.162:
	s_cmp_eq_u32 s21, 44
	s_mov_b32 s0, -1
	s_cbranch_scc0 .LBB47_166
; %bb.163:
	s_wait_xcnt 0x0
	v_and_b32_e32 v3, 0xffff, v2
	v_mov_b32_e32 v4, 0xff
	s_mov_b32 s22, exec_lo
	s_delay_alu instid0(VALU_DEP_2) | instskip(NEXT) | instid1(VALU_DEP_1)
	v_bfe_u32 v5, v3, 7, 8
	v_cmpx_ne_u32_e32 0xff, v5
	s_cbranch_execz .LBB47_165
; %bb.164:
	v_dual_lshlrev_b32 v4, 16, v3 :: v_dual_bitop2_b32 v7, 64, v3 bitop3:0x40
	v_lshrrev_b32_e32 v3, 7, v3
	s_delay_alu instid0(VALU_DEP_2) | instskip(NEXT) | instid1(VALU_DEP_3)
	v_and_or_b32 v4, 0x3f0000, v4, v5
	v_cmp_ne_u32_e32 vcc_lo, 0, v7
	s_delay_alu instid0(VALU_DEP_2) | instskip(SKIP_1) | instid1(SALU_CYCLE_1)
	v_cmp_ne_u32_e64 s0, 0, v4
	s_and_b32 s0, vcc_lo, s0
	v_cndmask_b32_e64 v4, 0, 1, s0
	s_delay_alu instid0(VALU_DEP_1)
	v_add_nc_u32_e32 v4, v3, v4
.LBB47_165:
	s_or_b32 exec_lo, exec_lo, s22
	s_mov_b32 s22, -1
	s_mov_b32 s0, 0
	global_store_b8 v[0:1], v4, off
.LBB47_166:
	s_mov_b32 s23, 0
.LBB47_167:
	s_delay_alu instid0(SALU_CYCLE_1)
	s_and_b32 vcc_lo, exec_lo, s23
	s_cbranch_vccz .LBB47_170
; %bb.168:
	s_cmp_eq_u32 s21, 29
	s_mov_b32 s0, -1
	s_cbranch_scc0 .LBB47_170
; %bb.169:
	s_wait_xcnt 0x0
	v_lshlrev_b32_e32 v3, 16, v2
	s_mov_b32 s22, -1
	s_mov_b32 s0, 0
	s_mov_b32 s23, 0
	s_delay_alu instid0(VALU_DEP_1) | instskip(NEXT) | instid1(VALU_DEP_1)
	v_trunc_f32_e32 v3, v3
	v_mul_f32_e32 v4, 0x2f800000, v3
	s_delay_alu instid0(VALU_DEP_1) | instskip(NEXT) | instid1(VALU_DEP_1)
	v_floor_f32_e32 v4, v4
	v_fmamk_f32 v3, v4, 0xcf800000, v3
	v_cvt_u32_f32_e32 v5, v4
	s_delay_alu instid0(VALU_DEP_2)
	v_cvt_u32_f32_e32 v4, v3
	global_store_b64 v[0:1], v[4:5], off
	s_branch .LBB47_171
.LBB47_170:
	s_mov_b32 s23, 0
.LBB47_171:
	s_delay_alu instid0(SALU_CYCLE_1)
	s_and_b32 vcc_lo, exec_lo, s23
	s_cbranch_vccz .LBB47_187
; %bb.172:
	s_cmp_lt_i32 s21, 27
	s_mov_b32 s22, -1
	s_cbranch_scc1 .LBB47_178
; %bb.173:
	s_cmp_gt_i32 s21, 27
	s_cbranch_scc0 .LBB47_175
; %bb.174:
	s_wait_xcnt 0x0
	v_lshlrev_b32_e32 v3, 16, v2
	s_mov_b32 s22, 0
	s_delay_alu instid0(VALU_DEP_1)
	v_cvt_u32_f32_e32 v3, v3
	global_store_b32 v[0:1], v3, off
.LBB47_175:
	s_and_not1_b32 vcc_lo, exec_lo, s22
	s_cbranch_vccnz .LBB47_177
; %bb.176:
	s_wait_xcnt 0x0
	v_lshlrev_b32_e32 v3, 16, v2
	s_delay_alu instid0(VALU_DEP_1)
	v_cvt_u32_f32_e32 v3, v3
	global_store_b16 v[0:1], v3, off
.LBB47_177:
	s_mov_b32 s22, 0
.LBB47_178:
	s_delay_alu instid0(SALU_CYCLE_1)
	s_and_not1_b32 vcc_lo, exec_lo, s22
	s_cbranch_vccnz .LBB47_186
; %bb.179:
	s_wait_xcnt 0x0
	v_lshlrev_b32_e32 v5, 16, v2
	v_mov_b32_e32 v7, 0x80
	s_mov_b32 s22, exec_lo
	s_delay_alu instid0(VALU_DEP_2) | instskip(NEXT) | instid1(VALU_DEP_1)
	v_and_b32_e32 v4, 0x7fffffff, v5
	v_cmpx_gt_u32_e32 0x43800000, v4
	s_cbranch_execz .LBB47_185
; %bb.180:
	v_and_b32_e32 v3, 0xffff, v2
	v_cmp_lt_u32_e32 vcc_lo, 0x3bffffff, v4
	s_mov_b32 s23, 0
                                        ; implicit-def: $vgpr4
	s_and_saveexec_b32 s24, vcc_lo
	s_delay_alu instid0(SALU_CYCLE_1)
	s_xor_b32 s24, exec_lo, s24
	s_cbranch_execz .LBB47_413
; %bb.181:
	v_bfe_u32 v4, v3, 4, 1
	s_mov_b32 s23, exec_lo
	s_delay_alu instid0(VALU_DEP_1) | instskip(NEXT) | instid1(VALU_DEP_1)
	v_add3_u32 v4, v5, v4, 0x487ffff
                                        ; implicit-def: $vgpr5
	v_lshrrev_b32_e32 v4, 20, v4
	s_and_not1_saveexec_b32 s24, s24
	s_cbranch_execnz .LBB47_414
.LBB47_182:
	s_or_b32 exec_lo, exec_lo, s24
	v_mov_b32_e32 v7, 0
	s_and_saveexec_b32 s24, s23
.LBB47_183:
	v_lshrrev_b32_e32 v3, 8, v3
	s_delay_alu instid0(VALU_DEP_1)
	v_and_or_b32 v7, 0x80, v3, v4
.LBB47_184:
	s_or_b32 exec_lo, exec_lo, s24
.LBB47_185:
	s_delay_alu instid0(SALU_CYCLE_1)
	s_or_b32 exec_lo, exec_lo, s22
	global_store_b8 v[0:1], v7, off
.LBB47_186:
	s_mov_b32 s22, -1
.LBB47_187:
	s_mov_b32 s23, 0
.LBB47_188:
	s_delay_alu instid0(SALU_CYCLE_1)
	s_and_b32 vcc_lo, exec_lo, s23
	s_cbranch_vccz .LBB47_229
; %bb.189:
	s_cmp_gt_i32 s21, 22
	s_mov_b32 s23, -1
	s_cbranch_scc0 .LBB47_221
; %bb.190:
	s_cmp_lt_i32 s21, 24
	s_mov_b32 s22, -1
	s_cbranch_scc1 .LBB47_210
; %bb.191:
	s_cmp_gt_i32 s21, 24
	s_cbranch_scc0 .LBB47_199
; %bb.192:
	s_wait_xcnt 0x0
	v_lshlrev_b32_e32 v5, 16, v2
	v_mov_b32_e32 v7, 0x80
	s_mov_b32 s22, exec_lo
	s_delay_alu instid0(VALU_DEP_2) | instskip(NEXT) | instid1(VALU_DEP_1)
	v_and_b32_e32 v4, 0x7fffffff, v5
	v_cmpx_gt_u32_e32 0x47800000, v4
	s_cbranch_execz .LBB47_198
; %bb.193:
	v_and_b32_e32 v3, 0xffff, v2
	v_cmp_lt_u32_e32 vcc_lo, 0x37ffffff, v4
	s_mov_b32 s23, 0
                                        ; implicit-def: $vgpr4
	s_and_saveexec_b32 s24, vcc_lo
	s_delay_alu instid0(SALU_CYCLE_1)
	s_xor_b32 s24, exec_lo, s24
	s_cbranch_execz .LBB47_532
; %bb.194:
	v_bfe_u32 v4, v3, 5, 1
	s_mov_b32 s23, exec_lo
	s_delay_alu instid0(VALU_DEP_1) | instskip(NEXT) | instid1(VALU_DEP_1)
	v_add3_u32 v4, v5, v4, 0x88fffff
                                        ; implicit-def: $vgpr5
	v_lshrrev_b32_e32 v4, 21, v4
	s_and_not1_saveexec_b32 s24, s24
	s_cbranch_execnz .LBB47_533
.LBB47_195:
	s_or_b32 exec_lo, exec_lo, s24
	v_mov_b32_e32 v7, 0
	s_and_saveexec_b32 s24, s23
.LBB47_196:
	v_lshrrev_b32_e32 v3, 8, v3
	s_delay_alu instid0(VALU_DEP_1)
	v_and_or_b32 v7, 0x80, v3, v4
.LBB47_197:
	s_or_b32 exec_lo, exec_lo, s24
.LBB47_198:
	s_delay_alu instid0(SALU_CYCLE_1)
	s_or_b32 exec_lo, exec_lo, s22
	s_mov_b32 s22, 0
	global_store_b8 v[0:1], v7, off
.LBB47_199:
	s_and_b32 vcc_lo, exec_lo, s22
	s_cbranch_vccz .LBB47_209
; %bb.200:
	s_wait_xcnt 0x0
	v_lshlrev_b32_e32 v5, 16, v2
	v_and_b32_e32 v3, 0xffff, v2
	s_mov_b32 s22, exec_lo
                                        ; implicit-def: $vgpr4
	s_delay_alu instid0(VALU_DEP_2) | instskip(NEXT) | instid1(VALU_DEP_1)
	v_and_b32_e32 v7, 0x7fffffff, v5
	v_cmpx_gt_u32_e32 0x43f00000, v7
	s_xor_b32 s22, exec_lo, s22
	s_cbranch_execz .LBB47_206
; %bb.201:
	s_mov_b32 s23, exec_lo
                                        ; implicit-def: $vgpr4
	v_cmpx_lt_u32_e32 0x3c7fffff, v7
	s_xor_b32 s23, exec_lo, s23
; %bb.202:
	v_bfe_u32 v4, v3, 4, 1
	s_delay_alu instid0(VALU_DEP_1) | instskip(NEXT) | instid1(VALU_DEP_1)
	v_add3_u32 v4, v5, v4, 0x407ffff
	v_and_b32_e32 v5, 0xff00000, v4
	v_lshrrev_b32_e32 v4, 20, v4
	s_delay_alu instid0(VALU_DEP_2) | instskip(NEXT) | instid1(VALU_DEP_2)
	v_cmp_ne_u32_e32 vcc_lo, 0x7f00000, v5
                                        ; implicit-def: $vgpr5
	v_cndmask_b32_e32 v4, 0x7e, v4, vcc_lo
; %bb.203:
	s_and_not1_saveexec_b32 s23, s23
; %bb.204:
	v_add_f32_e64 v4, 0x46800000, |v5|
; %bb.205:
	s_or_b32 exec_lo, exec_lo, s23
                                        ; implicit-def: $vgpr7
.LBB47_206:
	s_and_not1_saveexec_b32 s22, s22
; %bb.207:
	v_mov_b32_e32 v4, 0x7f
	v_cmp_lt_u32_e32 vcc_lo, 0x7f800000, v7
	s_delay_alu instid0(VALU_DEP_2)
	v_cndmask_b32_e32 v4, 0x7e, v4, vcc_lo
; %bb.208:
	s_or_b32 exec_lo, exec_lo, s22
	v_lshrrev_b32_e32 v3, 8, v3
	s_delay_alu instid0(VALU_DEP_1)
	v_and_or_b32 v3, 0x80, v3, v4
	global_store_b8 v[0:1], v3, off
.LBB47_209:
	s_mov_b32 s22, 0
.LBB47_210:
	s_delay_alu instid0(SALU_CYCLE_1)
	s_and_not1_b32 vcc_lo, exec_lo, s22
	s_cbranch_vccnz .LBB47_220
; %bb.211:
	s_wait_xcnt 0x0
	v_lshlrev_b32_e32 v5, 16, v2
	v_and_b32_e32 v3, 0xffff, v2
	s_mov_b32 s22, exec_lo
                                        ; implicit-def: $vgpr4
	s_delay_alu instid0(VALU_DEP_2) | instskip(NEXT) | instid1(VALU_DEP_1)
	v_and_b32_e32 v7, 0x7fffffff, v5
	v_cmpx_gt_u32_e32 0x47800000, v7
	s_xor_b32 s22, exec_lo, s22
	s_cbranch_execz .LBB47_217
; %bb.212:
	s_mov_b32 s23, exec_lo
                                        ; implicit-def: $vgpr4
	v_cmpx_lt_u32_e32 0x387fffff, v7
	s_xor_b32 s23, exec_lo, s23
; %bb.213:
	v_bfe_u32 v4, v3, 5, 1
	s_delay_alu instid0(VALU_DEP_1) | instskip(NEXT) | instid1(VALU_DEP_1)
	v_add3_u32 v4, v5, v4, 0x80fffff
                                        ; implicit-def: $vgpr5
	v_lshrrev_b32_e32 v4, 21, v4
; %bb.214:
	s_and_not1_saveexec_b32 s23, s23
; %bb.215:
	v_add_f32_e64 v4, 0x43000000, |v5|
; %bb.216:
	s_or_b32 exec_lo, exec_lo, s23
                                        ; implicit-def: $vgpr7
.LBB47_217:
	s_and_not1_saveexec_b32 s22, s22
; %bb.218:
	v_mov_b32_e32 v4, 0x7f
	v_cmp_lt_u32_e32 vcc_lo, 0x7f800000, v7
	s_delay_alu instid0(VALU_DEP_2)
	v_cndmask_b32_e32 v4, 0x7c, v4, vcc_lo
; %bb.219:
	s_or_b32 exec_lo, exec_lo, s22
	v_lshrrev_b32_e32 v3, 8, v3
	s_delay_alu instid0(VALU_DEP_1)
	v_and_or_b32 v3, 0x80, v3, v4
	global_store_b8 v[0:1], v3, off
.LBB47_220:
	s_mov_b32 s23, 0
	s_mov_b32 s22, -1
.LBB47_221:
	s_and_not1_b32 vcc_lo, exec_lo, s23
	s_cbranch_vccnz .LBB47_229
; %bb.222:
	s_cmp_gt_i32 s21, 14
	s_mov_b32 s23, -1
	s_cbranch_scc0 .LBB47_226
; %bb.223:
	s_cmp_eq_u32 s21, 15
	s_mov_b32 s0, -1
	s_cbranch_scc0 .LBB47_225
; %bb.224:
	s_mov_b32 s22, -1
	s_mov_b32 s0, 0
	global_store_b16 v[0:1], v2, off
.LBB47_225:
	s_mov_b32 s23, 0
.LBB47_226:
	s_delay_alu instid0(SALU_CYCLE_1)
	s_and_b32 vcc_lo, exec_lo, s23
	s_cbranch_vccz .LBB47_229
; %bb.227:
	s_cmp_eq_u32 s21, 11
	s_mov_b32 s0, -1
	s_cbranch_scc0 .LBB47_229
; %bb.228:
	s_wait_xcnt 0x0
	v_and_b32_e32 v3, 0x7fff, v2
	s_mov_b32 s0, 0
	s_mov_b32 s22, -1
	s_delay_alu instid0(VALU_DEP_1)
	v_cmp_ne_u16_e32 vcc_lo, 0, v3
	v_cndmask_b32_e64 v3, 0, 1, vcc_lo
	global_store_b8 v[0:1], v3, off
.LBB47_229:
	s_mov_b32 s21, 0
.LBB47_230:
	s_delay_alu instid0(SALU_CYCLE_1)
	s_and_b32 vcc_lo, exec_lo, s21
	s_cbranch_vccz .LBB47_269
; %bb.231:
	s_and_b32 s15, 0xffff, s15
	s_mov_b32 s21, -1
	s_cmp_lt_i32 s15, 5
	s_cbranch_scc1 .LBB47_252
; %bb.232:
	s_cmp_lt_i32 s15, 8
	s_cbranch_scc1 .LBB47_242
; %bb.233:
	s_cmp_lt_i32 s15, 9
	s_cbranch_scc1 .LBB47_239
; %bb.234:
	s_cmp_gt_i32 s15, 9
	s_cbranch_scc0 .LBB47_236
; %bb.235:
	s_wait_xcnt 0x0
	v_dual_mov_b32 v10, 0 :: v_dual_lshlrev_b32 v3, 16, v2
	s_mov_b32 s21, 0
	s_delay_alu instid0(VALU_DEP_1) | instskip(NEXT) | instid1(VALU_DEP_2)
	v_cvt_f64_f32_e32 v[8:9], v3
	v_mov_b32_e32 v11, v10
	global_store_b128 v[0:1], v[8:11], off
.LBB47_236:
	s_and_not1_b32 vcc_lo, exec_lo, s21
	s_cbranch_vccnz .LBB47_238
; %bb.237:
	s_wait_xcnt 0x0
	v_dual_mov_b32 v5, 0 :: v_dual_lshlrev_b32 v4, 16, v2
	global_store_b64 v[0:1], v[4:5], off
.LBB47_238:
	s_mov_b32 s21, 0
.LBB47_239:
	s_delay_alu instid0(SALU_CYCLE_1)
	s_and_not1_b32 vcc_lo, exec_lo, s21
	s_cbranch_vccnz .LBB47_241
; %bb.240:
	s_wait_xcnt 0x0
	v_lshlrev_b32_e32 v3, 16, v2
	s_delay_alu instid0(VALU_DEP_1) | instskip(NEXT) | instid1(VALU_DEP_1)
	v_cvt_f16_f32_e32 v3, v3
	v_and_b32_e32 v3, 0xffff, v3
	global_store_b32 v[0:1], v3, off
.LBB47_241:
	s_mov_b32 s21, 0
.LBB47_242:
	s_delay_alu instid0(SALU_CYCLE_1)
	s_and_not1_b32 vcc_lo, exec_lo, s21
	s_cbranch_vccnz .LBB47_251
; %bb.243:
	s_cmp_lt_i32 s15, 6
	s_mov_b32 s21, -1
	s_cbranch_scc1 .LBB47_249
; %bb.244:
	s_cmp_gt_i32 s15, 6
	s_cbranch_scc0 .LBB47_246
; %bb.245:
	s_wait_xcnt 0x0
	v_lshlrev_b32_e32 v3, 16, v2
	s_mov_b32 s21, 0
	s_delay_alu instid0(VALU_DEP_1)
	v_cvt_f64_f32_e32 v[4:5], v3
	global_store_b64 v[0:1], v[4:5], off
.LBB47_246:
	s_and_not1_b32 vcc_lo, exec_lo, s21
	s_cbranch_vccnz .LBB47_248
; %bb.247:
	s_wait_xcnt 0x0
	v_lshlrev_b32_e32 v3, 16, v2
	global_store_b32 v[0:1], v3, off
.LBB47_248:
	s_mov_b32 s21, 0
.LBB47_249:
	s_delay_alu instid0(SALU_CYCLE_1)
	s_and_not1_b32 vcc_lo, exec_lo, s21
	s_cbranch_vccnz .LBB47_251
; %bb.250:
	s_wait_xcnt 0x0
	v_lshlrev_b32_e32 v3, 16, v2
	s_delay_alu instid0(VALU_DEP_1)
	v_cvt_f16_f32_e32 v3, v3
	global_store_b16 v[0:1], v3, off
.LBB47_251:
	s_mov_b32 s21, 0
.LBB47_252:
	s_delay_alu instid0(SALU_CYCLE_1)
	s_and_not1_b32 vcc_lo, exec_lo, s21
	s_cbranch_vccnz .LBB47_268
; %bb.253:
	s_cmp_lt_i32 s15, 2
	s_mov_b32 s21, -1
	s_cbranch_scc1 .LBB47_263
; %bb.254:
	s_cmp_lt_i32 s15, 3
	s_cbranch_scc1 .LBB47_260
; %bb.255:
	s_cmp_gt_i32 s15, 3
	s_cbranch_scc0 .LBB47_257
; %bb.256:
	s_wait_xcnt 0x0
	v_lshlrev_b32_e32 v3, 16, v2
	s_mov_b32 s21, 0
	s_delay_alu instid0(VALU_DEP_1) | instskip(NEXT) | instid1(VALU_DEP_1)
	v_trunc_f32_e32 v3, v3
	v_mul_f32_e64 v4, 0x2f800000, |v3|
	s_delay_alu instid0(VALU_DEP_1) | instskip(SKIP_1) | instid1(VALU_DEP_2)
	v_floor_f32_e32 v5, v4
	v_ashrrev_i32_e32 v4, 31, v3
	v_fma_f32 v7, 0xcf800000, v5, |v3|
	v_cvt_u32_f32_e32 v3, v5
	s_delay_alu instid0(VALU_DEP_3) | instskip(NEXT) | instid1(VALU_DEP_3)
	v_mov_b32_e32 v5, v4
	v_cvt_u32_f32_e32 v7, v7
	s_delay_alu instid0(VALU_DEP_3) | instskip(NEXT) | instid1(VALU_DEP_2)
	v_xor_b32_e32 v9, v3, v4
	v_xor_b32_e32 v8, v7, v4
	s_delay_alu instid0(VALU_DEP_1)
	v_sub_nc_u64_e32 v[4:5], v[8:9], v[4:5]
	global_store_b64 v[0:1], v[4:5], off
.LBB47_257:
	s_and_not1_b32 vcc_lo, exec_lo, s21
	s_cbranch_vccnz .LBB47_259
; %bb.258:
	s_wait_xcnt 0x0
	v_lshlrev_b32_e32 v3, 16, v2
	s_delay_alu instid0(VALU_DEP_1)
	v_cvt_i32_f32_e32 v3, v3
	global_store_b32 v[0:1], v3, off
.LBB47_259:
	s_mov_b32 s21, 0
.LBB47_260:
	s_delay_alu instid0(SALU_CYCLE_1)
	s_and_not1_b32 vcc_lo, exec_lo, s21
	s_cbranch_vccnz .LBB47_262
; %bb.261:
	s_wait_xcnt 0x0
	v_lshlrev_b32_e32 v3, 16, v2
	s_delay_alu instid0(VALU_DEP_1)
	v_cvt_i32_f32_e32 v3, v3
	global_store_b16 v[0:1], v3, off
.LBB47_262:
	s_mov_b32 s21, 0
.LBB47_263:
	s_delay_alu instid0(SALU_CYCLE_1)
	s_and_not1_b32 vcc_lo, exec_lo, s21
	s_cbranch_vccnz .LBB47_268
; %bb.264:
	s_wait_xcnt 0x0
	v_lshlrev_b32_e32 v2, 16, v2
	s_cmp_gt_i32 s15, 0
	s_mov_b32 s15, -1
	s_cbranch_scc0 .LBB47_266
; %bb.265:
	s_delay_alu instid0(VALU_DEP_1)
	v_cvt_i32_f32_e32 v3, v2
	s_mov_b32 s15, 0
	global_store_b8 v[0:1], v3, off
.LBB47_266:
	s_and_not1_b32 vcc_lo, exec_lo, s15
	s_cbranch_vccnz .LBB47_268
; %bb.267:
	v_trunc_f32_e32 v2, v2
	s_wait_xcnt 0x0
	s_delay_alu instid0(VALU_DEP_1) | instskip(NEXT) | instid1(VALU_DEP_1)
	v_mul_f32_e64 v3, 0x2f800000, |v2|
	v_floor_f32_e32 v3, v3
	s_delay_alu instid0(VALU_DEP_1) | instskip(SKIP_1) | instid1(VALU_DEP_2)
	v_fma_f32 v3, 0xcf800000, v3, |v2|
	v_ashrrev_i32_e32 v2, 31, v2
	v_cvt_u32_f32_e32 v3, v3
	s_delay_alu instid0(VALU_DEP_1) | instskip(NEXT) | instid1(VALU_DEP_1)
	v_xor_b32_e32 v3, v3, v2
	v_sub_nc_u32_e32 v2, v3, v2
	global_store_b8 v[0:1], v2, off
.LBB47_268:
	s_mov_b32 s22, -1
.LBB47_269:
	s_delay_alu instid0(SALU_CYCLE_1)
	s_and_not1_b32 vcc_lo, exec_lo, s22
	s_cbranch_vccnz .LBB47_382
; %bb.270:
	v_add_nc_u32_e32 v6, 0x80, v6
	s_mov_b32 s21, -1
	s_branch .LBB47_383
.LBB47_271:
	s_mov_b32 s17, -1
                                        ; implicit-def: $vgpr3
.LBB47_272:
	s_mov_b32 s22, 0
.LBB47_273:
	s_delay_alu instid0(SALU_CYCLE_1)
	s_and_b32 vcc_lo, exec_lo, s22
	s_cbranch_vccz .LBB47_277
; %bb.274:
	s_cmp_eq_u32 s15, 29
	s_cbranch_scc0 .LBB47_276
; %bb.275:
	global_load_b64 v[4:5], v[0:1], off
	s_mov_b32 s21, -1
	s_mov_b32 s17, 0
	s_mov_b32 s22, 0
	s_wait_loadcnt 0x0
	v_clz_i32_u32_e32 v3, v5
	s_delay_alu instid0(VALU_DEP_1) | instskip(NEXT) | instid1(VALU_DEP_1)
	v_min_u32_e32 v3, 32, v3
	v_lshlrev_b64_e32 v[4:5], v3, v[4:5]
	v_sub_nc_u32_e32 v3, 32, v3
	s_delay_alu instid0(VALU_DEP_2) | instskip(NEXT) | instid1(VALU_DEP_1)
	v_min_u32_e32 v4, 1, v4
	v_or_b32_e32 v4, v5, v4
	s_delay_alu instid0(VALU_DEP_1) | instskip(NEXT) | instid1(VALU_DEP_1)
	v_cvt_f32_u32_e32 v4, v4
	v_ldexp_f32 v3, v4, v3
	s_delay_alu instid0(VALU_DEP_1) | instskip(NEXT) | instid1(VALU_DEP_1)
	v_bfe_u32 v4, v3, 16, 1
	v_add3_u32 v3, v3, v4, 0x7fff
	s_delay_alu instid0(VALU_DEP_1)
	v_lshrrev_b32_e32 v3, 16, v3
	s_branch .LBB47_278
.LBB47_276:
	s_mov_b32 s17, -1
                                        ; implicit-def: $vgpr3
.LBB47_277:
	s_mov_b32 s22, 0
.LBB47_278:
	s_delay_alu instid0(SALU_CYCLE_1)
	s_and_b32 vcc_lo, exec_lo, s22
	s_cbranch_vccz .LBB47_296
; %bb.279:
	s_cmp_lt_i32 s15, 27
	s_cbranch_scc1 .LBB47_282
; %bb.280:
	s_cmp_gt_i32 s15, 27
	s_cbranch_scc0 .LBB47_283
; %bb.281:
	s_wait_loadcnt 0x0
	global_load_b32 v3, v[0:1], off
	s_mov_b32 s21, 0
	s_wait_loadcnt 0x0
	v_cvt_f32_u32_e32 v3, v3
	s_delay_alu instid0(VALU_DEP_1) | instskip(NEXT) | instid1(VALU_DEP_1)
	v_bfe_u32 v4, v3, 16, 1
	v_add3_u32 v3, v3, v4, 0x7fff
	s_delay_alu instid0(VALU_DEP_1)
	v_lshrrev_b32_e32 v3, 16, v3
	s_branch .LBB47_284
.LBB47_282:
	s_mov_b32 s21, -1
                                        ; implicit-def: $vgpr3
	s_branch .LBB47_287
.LBB47_283:
	s_mov_b32 s21, -1
                                        ; implicit-def: $vgpr3
.LBB47_284:
	s_delay_alu instid0(SALU_CYCLE_1)
	s_and_not1_b32 vcc_lo, exec_lo, s21
	s_cbranch_vccnz .LBB47_286
; %bb.285:
	s_wait_loadcnt 0x0
	global_load_u16 v3, v[0:1], off
	s_wait_loadcnt 0x0
	v_cvt_f32_u32_e32 v3, v3
	s_delay_alu instid0(VALU_DEP_1) | instskip(NEXT) | instid1(VALU_DEP_1)
	v_bfe_u32 v4, v3, 16, 1
	v_add3_u32 v3, v3, v4, 0x7fff
	s_delay_alu instid0(VALU_DEP_1)
	v_lshrrev_b32_e32 v3, 16, v3
.LBB47_286:
	s_mov_b32 s21, 0
.LBB47_287:
	s_delay_alu instid0(SALU_CYCLE_1)
	s_and_not1_b32 vcc_lo, exec_lo, s21
	s_cbranch_vccnz .LBB47_295
; %bb.288:
	s_wait_loadcnt 0x0
	global_load_u8 v3, v[0:1], off
	s_mov_b32 s21, 0
	s_mov_b32 s22, exec_lo
	s_wait_loadcnt 0x0
	v_cmpx_lt_i16_e32 0x7f, v3
	s_xor_b32 s22, exec_lo, s22
	s_cbranch_execz .LBB47_309
; %bb.289:
	s_mov_b32 s21, -1
	s_mov_b32 s23, exec_lo
	v_cmpx_eq_u16_e32 0x80, v3
; %bb.290:
	s_xor_b32 s21, exec_lo, -1
; %bb.291:
	s_or_b32 exec_lo, exec_lo, s23
	s_delay_alu instid0(SALU_CYCLE_1)
	s_and_b32 s21, s21, exec_lo
	s_or_saveexec_b32 s22, s22
	v_mov_b32_e32 v4, 0x7f800001
	s_xor_b32 exec_lo, exec_lo, s22
	s_cbranch_execnz .LBB47_310
.LBB47_292:
	s_or_b32 exec_lo, exec_lo, s22
	s_and_saveexec_b32 s22, s21
	s_cbranch_execz .LBB47_294
.LBB47_293:
	v_and_b32_e32 v4, 0xffff, v3
	s_delay_alu instid0(VALU_DEP_1) | instskip(SKIP_1) | instid1(VALU_DEP_2)
	v_and_b32_e32 v5, 7, v4
	v_bfe_u32 v9, v4, 3, 4
	v_clz_i32_u32_e32 v7, v5
	s_delay_alu instid0(VALU_DEP_2) | instskip(NEXT) | instid1(VALU_DEP_2)
	v_cmp_eq_u32_e32 vcc_lo, 0, v9
	v_min_u32_e32 v7, 32, v7
	s_delay_alu instid0(VALU_DEP_1) | instskip(NEXT) | instid1(VALU_DEP_1)
	v_subrev_nc_u32_e32 v8, 28, v7
	v_dual_lshlrev_b32 v4, v8, v4 :: v_dual_sub_nc_u32 v7, 29, v7
	s_delay_alu instid0(VALU_DEP_1) | instskip(NEXT) | instid1(VALU_DEP_1)
	v_dual_lshlrev_b32 v3, 24, v3 :: v_dual_bitop2_b32 v4, 7, v4 bitop3:0x40
	v_cndmask_b32_e32 v4, v5, v4, vcc_lo
	s_delay_alu instid0(VALU_DEP_3) | instskip(NEXT) | instid1(VALU_DEP_3)
	v_cndmask_b32_e32 v7, v9, v7, vcc_lo
	v_and_b32_e32 v3, 0x80000000, v3
	s_delay_alu instid0(VALU_DEP_3) | instskip(NEXT) | instid1(VALU_DEP_3)
	v_lshlrev_b32_e32 v4, 20, v4
	v_lshl_add_u32 v5, v7, 23, 0x3b800000
	s_delay_alu instid0(VALU_DEP_1)
	v_or3_b32 v4, v3, v5, v4
.LBB47_294:
	s_or_b32 exec_lo, exec_lo, s22
	s_delay_alu instid0(VALU_DEP_1) | instskip(SKIP_1) | instid1(VALU_DEP_2)
	v_bfe_u32 v3, v4, 16, 1
	v_cmp_o_f32_e32 vcc_lo, v4, v4
	v_add3_u32 v3, v4, v3, 0x7fff
	s_delay_alu instid0(VALU_DEP_1) | instskip(NEXT) | instid1(VALU_DEP_1)
	v_lshrrev_b32_e32 v3, 16, v3
	v_cndmask_b32_e32 v3, 0x7fc0, v3, vcc_lo
.LBB47_295:
	s_mov_b32 s21, -1
.LBB47_296:
	s_mov_b32 s22, 0
.LBB47_297:
	s_delay_alu instid0(SALU_CYCLE_1)
	s_and_b32 vcc_lo, exec_lo, s22
	s_cbranch_vccz .LBB47_332
; %bb.298:
	s_cmp_gt_i32 s15, 22
	s_cbranch_scc0 .LBB47_308
; %bb.299:
	s_cmp_lt_i32 s15, 24
	s_cbranch_scc1 .LBB47_311
; %bb.300:
	s_cmp_gt_i32 s15, 24
	s_cbranch_scc0 .LBB47_312
; %bb.301:
	s_wait_loadcnt 0x0
	global_load_u8 v3, v[0:1], off
	s_mov_b32 s21, 0
	s_mov_b32 s22, exec_lo
	s_wait_loadcnt 0x0
	v_cmpx_lt_i16_e32 0x7f, v3
	s_xor_b32 s22, exec_lo, s22
	s_cbranch_execz .LBB47_324
; %bb.302:
	s_mov_b32 s21, -1
	s_mov_b32 s23, exec_lo
	v_cmpx_eq_u16_e32 0x80, v3
; %bb.303:
	s_xor_b32 s21, exec_lo, -1
; %bb.304:
	s_or_b32 exec_lo, exec_lo, s23
	s_delay_alu instid0(SALU_CYCLE_1)
	s_and_b32 s21, s21, exec_lo
	s_or_saveexec_b32 s22, s22
	v_mov_b32_e32 v4, 0x7f800001
	s_xor_b32 exec_lo, exec_lo, s22
	s_cbranch_execnz .LBB47_325
.LBB47_305:
	s_or_b32 exec_lo, exec_lo, s22
	s_and_saveexec_b32 s22, s21
	s_cbranch_execz .LBB47_307
.LBB47_306:
	v_and_b32_e32 v4, 0xffff, v3
	s_delay_alu instid0(VALU_DEP_1) | instskip(SKIP_1) | instid1(VALU_DEP_2)
	v_and_b32_e32 v5, 3, v4
	v_bfe_u32 v9, v4, 2, 5
	v_clz_i32_u32_e32 v7, v5
	s_delay_alu instid0(VALU_DEP_2) | instskip(NEXT) | instid1(VALU_DEP_2)
	v_cmp_eq_u32_e32 vcc_lo, 0, v9
	v_min_u32_e32 v7, 32, v7
	s_delay_alu instid0(VALU_DEP_1) | instskip(NEXT) | instid1(VALU_DEP_1)
	v_subrev_nc_u32_e32 v8, 29, v7
	v_dual_lshlrev_b32 v4, v8, v4 :: v_dual_sub_nc_u32 v7, 30, v7
	s_delay_alu instid0(VALU_DEP_1) | instskip(NEXT) | instid1(VALU_DEP_1)
	v_dual_lshlrev_b32 v3, 24, v3 :: v_dual_bitop2_b32 v4, 3, v4 bitop3:0x40
	v_cndmask_b32_e32 v4, v5, v4, vcc_lo
	s_delay_alu instid0(VALU_DEP_3) | instskip(NEXT) | instid1(VALU_DEP_3)
	v_cndmask_b32_e32 v7, v9, v7, vcc_lo
	v_and_b32_e32 v3, 0x80000000, v3
	s_delay_alu instid0(VALU_DEP_3) | instskip(NEXT) | instid1(VALU_DEP_3)
	v_lshlrev_b32_e32 v4, 21, v4
	v_lshl_add_u32 v5, v7, 23, 0x37800000
	s_delay_alu instid0(VALU_DEP_1)
	v_or3_b32 v4, v3, v5, v4
.LBB47_307:
	s_or_b32 exec_lo, exec_lo, s22
	s_delay_alu instid0(VALU_DEP_1) | instskip(SKIP_2) | instid1(VALU_DEP_2)
	v_bfe_u32 v3, v4, 16, 1
	v_cmp_o_f32_e32 vcc_lo, v4, v4
	s_mov_b32 s21, 0
	v_add3_u32 v3, v4, v3, 0x7fff
	s_delay_alu instid0(VALU_DEP_1) | instskip(NEXT) | instid1(VALU_DEP_1)
	v_lshrrev_b32_e32 v3, 16, v3
	v_cndmask_b32_e32 v3, 0x7fc0, v3, vcc_lo
	s_branch .LBB47_313
.LBB47_308:
	s_mov_b32 s22, -1
                                        ; implicit-def: $vgpr3
	s_branch .LBB47_319
.LBB47_309:
	s_or_saveexec_b32 s22, s22
	v_mov_b32_e32 v4, 0x7f800001
	s_xor_b32 exec_lo, exec_lo, s22
	s_cbranch_execz .LBB47_292
.LBB47_310:
	v_cmp_ne_u16_e32 vcc_lo, 0, v3
	v_mov_b32_e32 v4, 0
	s_and_not1_b32 s21, s21, exec_lo
	s_and_b32 s23, vcc_lo, exec_lo
	s_delay_alu instid0(SALU_CYCLE_1)
	s_or_b32 s21, s21, s23
	s_or_b32 exec_lo, exec_lo, s22
	s_and_saveexec_b32 s22, s21
	s_cbranch_execnz .LBB47_293
	s_branch .LBB47_294
.LBB47_311:
	s_mov_b32 s21, -1
                                        ; implicit-def: $vgpr3
	s_branch .LBB47_316
.LBB47_312:
	s_mov_b32 s21, -1
                                        ; implicit-def: $vgpr3
.LBB47_313:
	s_delay_alu instid0(SALU_CYCLE_1)
	s_and_b32 vcc_lo, exec_lo, s21
	s_cbranch_vccz .LBB47_315
; %bb.314:
	s_wait_loadcnt 0x0
	global_load_u8 v3, v[0:1], off
	s_wait_loadcnt 0x0
	v_lshlrev_b32_e32 v3, 24, v3
	s_delay_alu instid0(VALU_DEP_1) | instskip(NEXT) | instid1(VALU_DEP_1)
	v_and_b32_e32 v4, 0x7f000000, v3
	v_clz_i32_u32_e32 v5, v4
	v_add_nc_u32_e32 v8, 0x1000000, v4
	v_cmp_ne_u32_e32 vcc_lo, 0, v4
	s_delay_alu instid0(VALU_DEP_3) | instskip(NEXT) | instid1(VALU_DEP_1)
	v_min_u32_e32 v5, 32, v5
	v_sub_nc_u32_e64 v5, v5, 4 clamp
	s_delay_alu instid0(VALU_DEP_1) | instskip(NEXT) | instid1(VALU_DEP_1)
	v_dual_lshlrev_b32 v7, v5, v4 :: v_dual_lshlrev_b32 v5, 23, v5
	v_lshrrev_b32_e32 v7, 4, v7
	s_delay_alu instid0(VALU_DEP_1) | instskip(NEXT) | instid1(VALU_DEP_1)
	v_dual_sub_nc_u32 v5, v7, v5 :: v_dual_ashrrev_i32 v7, 8, v8
	v_add_nc_u32_e32 v5, 0x3c000000, v5
	s_delay_alu instid0(VALU_DEP_1) | instskip(NEXT) | instid1(VALU_DEP_1)
	v_and_or_b32 v5, 0x7f800000, v7, v5
	v_cndmask_b32_e32 v4, 0, v5, vcc_lo
	s_delay_alu instid0(VALU_DEP_1) | instskip(SKIP_1) | instid1(VALU_DEP_2)
	v_and_or_b32 v3, 0x80000000, v3, v4
	v_bfe_u32 v4, v4, 16, 1
	v_cmp_o_f32_e32 vcc_lo, v3, v3
	s_delay_alu instid0(VALU_DEP_2) | instskip(NEXT) | instid1(VALU_DEP_1)
	v_add3_u32 v4, v3, v4, 0x7fff
	v_lshrrev_b32_e32 v4, 16, v4
	s_delay_alu instid0(VALU_DEP_1)
	v_cndmask_b32_e32 v3, 0x7fc0, v4, vcc_lo
.LBB47_315:
	s_mov_b32 s21, 0
.LBB47_316:
	s_delay_alu instid0(SALU_CYCLE_1)
	s_and_not1_b32 vcc_lo, exec_lo, s21
	s_cbranch_vccnz .LBB47_318
; %bb.317:
	s_wait_loadcnt 0x0
	global_load_u8 v3, v[0:1], off
	s_wait_loadcnt 0x0
	v_lshlrev_b32_e32 v4, 25, v3
	v_lshlrev_b16 v3, 8, v3
	s_delay_alu instid0(VALU_DEP_1) | instskip(NEXT) | instid1(VALU_DEP_3)
	v_and_or_b32 v7, 0x7f00, v3, 0.5
	v_lshrrev_b32_e32 v5, 4, v4
	v_bfe_i32 v3, v3, 0, 16
	s_delay_alu instid0(VALU_DEP_3) | instskip(NEXT) | instid1(VALU_DEP_3)
	v_add_f32_e32 v7, -0.5, v7
	v_or_b32_e32 v5, 0x70000000, v5
	s_delay_alu instid0(VALU_DEP_1) | instskip(SKIP_1) | instid1(VALU_DEP_2)
	v_mul_f32_e32 v5, 0x7800000, v5
	v_cmp_gt_u32_e32 vcc_lo, 0x8000000, v4
	v_cndmask_b32_e32 v4, v5, v7, vcc_lo
	s_delay_alu instid0(VALU_DEP_1) | instskip(SKIP_1) | instid1(VALU_DEP_2)
	v_and_or_b32 v3, 0x80000000, v3, v4
	v_bfe_u32 v4, v4, 16, 1
	v_cmp_o_f32_e32 vcc_lo, v3, v3
	s_delay_alu instid0(VALU_DEP_2) | instskip(NEXT) | instid1(VALU_DEP_1)
	v_add3_u32 v4, v3, v4, 0x7fff
	v_lshrrev_b32_e32 v4, 16, v4
	s_delay_alu instid0(VALU_DEP_1)
	v_cndmask_b32_e32 v3, 0x7fc0, v4, vcc_lo
.LBB47_318:
	s_mov_b32 s22, 0
	s_mov_b32 s21, -1
.LBB47_319:
	s_and_not1_b32 vcc_lo, exec_lo, s22
	s_cbranch_vccnz .LBB47_332
; %bb.320:
	s_cmp_gt_i32 s15, 14
	s_cbranch_scc0 .LBB47_323
; %bb.321:
	s_cmp_eq_u32 s15, 15
	s_cbranch_scc0 .LBB47_326
; %bb.322:
	s_wait_loadcnt 0x0
	global_load_u16 v3, v[0:1], off
	s_mov_b32 s21, -1
	s_mov_b32 s17, 0
	s_branch .LBB47_327
.LBB47_323:
	s_mov_b32 s22, -1
                                        ; implicit-def: $vgpr3
	s_branch .LBB47_328
.LBB47_324:
	s_or_saveexec_b32 s22, s22
	v_mov_b32_e32 v4, 0x7f800001
	s_xor_b32 exec_lo, exec_lo, s22
	s_cbranch_execz .LBB47_305
.LBB47_325:
	v_cmp_ne_u16_e32 vcc_lo, 0, v3
	v_mov_b32_e32 v4, 0
	s_and_not1_b32 s21, s21, exec_lo
	s_and_b32 s23, vcc_lo, exec_lo
	s_delay_alu instid0(SALU_CYCLE_1)
	s_or_b32 s21, s21, s23
	s_or_b32 exec_lo, exec_lo, s22
	s_and_saveexec_b32 s22, s21
	s_cbranch_execnz .LBB47_306
	s_branch .LBB47_307
.LBB47_326:
	s_mov_b32 s17, -1
                                        ; implicit-def: $vgpr3
.LBB47_327:
	s_mov_b32 s22, 0
.LBB47_328:
	s_delay_alu instid0(SALU_CYCLE_1)
	s_and_b32 vcc_lo, exec_lo, s22
	s_cbranch_vccz .LBB47_332
; %bb.329:
	s_cmp_eq_u32 s15, 11
	s_cbranch_scc0 .LBB47_331
; %bb.330:
	s_wait_loadcnt 0x0
	global_load_u8 v3, v[0:1], off
	s_mov_b32 s17, 0
	s_mov_b32 s21, -1
	s_wait_loadcnt 0x0
	v_cmp_ne_u16_e32 vcc_lo, 0, v3
	v_cndmask_b32_e64 v3, 0, 1.0, vcc_lo
	s_delay_alu instid0(VALU_DEP_1)
	v_lshrrev_b32_e32 v3, 16, v3
	s_branch .LBB47_332
.LBB47_331:
	s_mov_b32 s17, -1
                                        ; implicit-def: $vgpr3
.LBB47_332:
	s_branch .LBB47_20
.LBB47_333:
	s_and_b32 s0, 0xffff, s0
	s_delay_alu instid0(SALU_CYCLE_1)
	s_cmp_lt_i32 s0, 5
	s_cbranch_scc1 .LBB47_338
; %bb.334:
	s_cmp_lt_i32 s0, 8
	s_cbranch_scc1 .LBB47_339
; %bb.335:
	;; [unrolled: 3-line block ×3, first 2 shown]
	s_cmp_gt_i32 s0, 9
	s_cbranch_scc0 .LBB47_341
; %bb.337:
	global_load_b64 v[4:5], v[0:1], off
	s_mov_b32 s15, 0
	s_wait_loadcnt 0x0
	v_cvt_f32_f64_e32 v3, v[4:5]
	s_delay_alu instid0(VALU_DEP_1) | instskip(SKIP_1) | instid1(VALU_DEP_2)
	v_bfe_u32 v4, v3, 16, 1
	v_cmp_o_f32_e32 vcc_lo, v3, v3
	v_add3_u32 v4, v3, v4, 0x7fff
	s_delay_alu instid0(VALU_DEP_1) | instskip(NEXT) | instid1(VALU_DEP_1)
	v_lshrrev_b32_e32 v4, 16, v4
	v_cndmask_b32_e32 v3, 0x7fc0, v4, vcc_lo
	s_branch .LBB47_342
.LBB47_338:
	s_mov_b32 s15, -1
                                        ; implicit-def: $vgpr3
	s_branch .LBB47_360
.LBB47_339:
	s_mov_b32 s15, -1
                                        ; implicit-def: $vgpr3
	s_branch .LBB47_348
.LBB47_340:
	s_mov_b32 s15, -1
                                        ; implicit-def: $vgpr3
	s_branch .LBB47_345
.LBB47_341:
	s_mov_b32 s15, -1
                                        ; implicit-def: $vgpr3
.LBB47_342:
	s_delay_alu instid0(SALU_CYCLE_1)
	s_and_not1_b32 vcc_lo, exec_lo, s15
	s_cbranch_vccnz .LBB47_344
; %bb.343:
	s_wait_loadcnt 0x0
	global_load_b32 v3, v[0:1], off
	s_wait_loadcnt 0x0
	v_bfe_u32 v4, v3, 16, 1
	v_cmp_o_f32_e32 vcc_lo, v3, v3
	s_delay_alu instid0(VALU_DEP_2) | instskip(NEXT) | instid1(VALU_DEP_1)
	v_add3_u32 v4, v3, v4, 0x7fff
	v_lshrrev_b32_e32 v4, 16, v4
	s_delay_alu instid0(VALU_DEP_1)
	v_cndmask_b32_e32 v3, 0x7fc0, v4, vcc_lo
.LBB47_344:
	s_mov_b32 s15, 0
.LBB47_345:
	s_delay_alu instid0(SALU_CYCLE_1)
	s_and_not1_b32 vcc_lo, exec_lo, s15
	s_cbranch_vccnz .LBB47_347
; %bb.346:
	s_wait_loadcnt 0x0
	global_load_b32 v3, v[0:1], off
	s_wait_loadcnt 0x0
	v_cvt_f32_f16_e32 v4, v3
	v_cmp_o_f16_e32 vcc_lo, v3, v3
	s_delay_alu instid0(VALU_DEP_2) | instskip(NEXT) | instid1(VALU_DEP_1)
	v_bfe_u32 v5, v4, 16, 1
	v_add3_u32 v4, v4, v5, 0x7fff
	s_delay_alu instid0(VALU_DEP_1) | instskip(NEXT) | instid1(VALU_DEP_1)
	v_lshrrev_b32_e32 v4, 16, v4
	v_cndmask_b32_e32 v3, 0x7fc0, v4, vcc_lo
.LBB47_347:
	s_mov_b32 s15, 0
.LBB47_348:
	s_delay_alu instid0(SALU_CYCLE_1)
	s_and_not1_b32 vcc_lo, exec_lo, s15
	s_cbranch_vccnz .LBB47_359
; %bb.349:
	s_cmp_lt_i32 s0, 6
	s_cbranch_scc1 .LBB47_352
; %bb.350:
	s_cmp_gt_i32 s0, 6
	s_cbranch_scc0 .LBB47_353
; %bb.351:
	global_load_b64 v[4:5], v[0:1], off
	s_mov_b32 s15, 0
	s_wait_loadcnt 0x0
	v_cvt_f32_f64_e32 v3, v[4:5]
	s_delay_alu instid0(VALU_DEP_1) | instskip(SKIP_1) | instid1(VALU_DEP_2)
	v_bfe_u32 v4, v3, 16, 1
	v_cmp_o_f32_e32 vcc_lo, v3, v3
	v_add3_u32 v4, v3, v4, 0x7fff
	s_delay_alu instid0(VALU_DEP_1) | instskip(NEXT) | instid1(VALU_DEP_1)
	v_lshrrev_b32_e32 v4, 16, v4
	v_cndmask_b32_e32 v3, 0x7fc0, v4, vcc_lo
	s_branch .LBB47_354
.LBB47_352:
	s_mov_b32 s15, -1
                                        ; implicit-def: $vgpr3
	s_branch .LBB47_357
.LBB47_353:
	s_mov_b32 s15, -1
                                        ; implicit-def: $vgpr3
.LBB47_354:
	s_delay_alu instid0(SALU_CYCLE_1)
	s_and_not1_b32 vcc_lo, exec_lo, s15
	s_cbranch_vccnz .LBB47_356
; %bb.355:
	s_wait_loadcnt 0x0
	global_load_b32 v3, v[0:1], off
	s_wait_loadcnt 0x0
	v_bfe_u32 v4, v3, 16, 1
	v_cmp_o_f32_e32 vcc_lo, v3, v3
	s_delay_alu instid0(VALU_DEP_2) | instskip(NEXT) | instid1(VALU_DEP_1)
	v_add3_u32 v4, v3, v4, 0x7fff
	v_lshrrev_b32_e32 v4, 16, v4
	s_delay_alu instid0(VALU_DEP_1)
	v_cndmask_b32_e32 v3, 0x7fc0, v4, vcc_lo
.LBB47_356:
	s_mov_b32 s15, 0
.LBB47_357:
	s_delay_alu instid0(SALU_CYCLE_1)
	s_and_not1_b32 vcc_lo, exec_lo, s15
	s_cbranch_vccnz .LBB47_359
; %bb.358:
	s_wait_loadcnt 0x0
	global_load_u16 v3, v[0:1], off
	s_wait_loadcnt 0x0
	v_cvt_f32_f16_e32 v4, v3
	v_cmp_o_f16_e32 vcc_lo, v3, v3
	s_delay_alu instid0(VALU_DEP_2) | instskip(NEXT) | instid1(VALU_DEP_1)
	v_bfe_u32 v5, v4, 16, 1
	v_add3_u32 v4, v4, v5, 0x7fff
	s_delay_alu instid0(VALU_DEP_1) | instskip(NEXT) | instid1(VALU_DEP_1)
	v_lshrrev_b32_e32 v4, 16, v4
	v_cndmask_b32_e32 v3, 0x7fc0, v4, vcc_lo
.LBB47_359:
	s_mov_b32 s15, 0
.LBB47_360:
	s_delay_alu instid0(SALU_CYCLE_1)
	s_and_not1_b32 vcc_lo, exec_lo, s15
	s_cbranch_vccnz .LBB47_380
; %bb.361:
	s_cmp_lt_i32 s0, 2
	s_cbranch_scc1 .LBB47_365
; %bb.362:
	s_cmp_lt_i32 s0, 3
	s_cbranch_scc1 .LBB47_366
; %bb.363:
	s_cmp_gt_i32 s0, 3
	s_cbranch_scc0 .LBB47_367
; %bb.364:
	global_load_b64 v[4:5], v[0:1], off
	s_mov_b32 s15, 0
	s_wait_loadcnt 0x0
	v_xor_b32_e32 v3, v4, v5
	v_cls_i32_e32 v7, v5
	s_delay_alu instid0(VALU_DEP_2) | instskip(NEXT) | instid1(VALU_DEP_1)
	v_ashrrev_i32_e32 v3, 31, v3
	v_add_nc_u32_e32 v3, 32, v3
	s_delay_alu instid0(VALU_DEP_1) | instskip(NEXT) | instid1(VALU_DEP_1)
	v_add_min_u32_e64 v3, v7, -1, v3
	v_lshlrev_b64_e32 v[4:5], v3, v[4:5]
	v_sub_nc_u32_e32 v3, 32, v3
	s_delay_alu instid0(VALU_DEP_2) | instskip(NEXT) | instid1(VALU_DEP_1)
	v_min_u32_e32 v4, 1, v4
	v_or_b32_e32 v4, v5, v4
	s_delay_alu instid0(VALU_DEP_1) | instskip(NEXT) | instid1(VALU_DEP_1)
	v_cvt_f32_i32_e32 v4, v4
	v_ldexp_f32 v3, v4, v3
	s_delay_alu instid0(VALU_DEP_1) | instskip(NEXT) | instid1(VALU_DEP_1)
	v_bfe_u32 v4, v3, 16, 1
	v_add3_u32 v3, v3, v4, 0x7fff
	s_delay_alu instid0(VALU_DEP_1)
	v_lshrrev_b32_e32 v3, 16, v3
	s_branch .LBB47_368
.LBB47_365:
	s_mov_b32 s15, -1
                                        ; implicit-def: $vgpr3
	s_branch .LBB47_374
.LBB47_366:
	s_mov_b32 s15, -1
                                        ; implicit-def: $vgpr3
	s_branch .LBB47_371
.LBB47_367:
	s_mov_b32 s15, -1
                                        ; implicit-def: $vgpr3
.LBB47_368:
	s_delay_alu instid0(SALU_CYCLE_1)
	s_and_not1_b32 vcc_lo, exec_lo, s15
	s_cbranch_vccnz .LBB47_370
; %bb.369:
	s_wait_loadcnt 0x0
	global_load_b32 v3, v[0:1], off
	s_wait_loadcnt 0x0
	v_cvt_f32_i32_e32 v3, v3
	s_delay_alu instid0(VALU_DEP_1) | instskip(NEXT) | instid1(VALU_DEP_1)
	v_bfe_u32 v4, v3, 16, 1
	v_add3_u32 v3, v3, v4, 0x7fff
	s_delay_alu instid0(VALU_DEP_1)
	v_lshrrev_b32_e32 v3, 16, v3
.LBB47_370:
	s_mov_b32 s15, 0
.LBB47_371:
	s_delay_alu instid0(SALU_CYCLE_1)
	s_and_not1_b32 vcc_lo, exec_lo, s15
	s_cbranch_vccnz .LBB47_373
; %bb.372:
	s_wait_loadcnt 0x0
	global_load_i16 v3, v[0:1], off
	s_wait_loadcnt 0x0
	v_cvt_f32_i32_e32 v3, v3
	s_delay_alu instid0(VALU_DEP_1) | instskip(NEXT) | instid1(VALU_DEP_1)
	v_bfe_u32 v4, v3, 16, 1
	v_add3_u32 v3, v3, v4, 0x7fff
	s_delay_alu instid0(VALU_DEP_1)
	v_lshrrev_b32_e32 v3, 16, v3
.LBB47_373:
	s_mov_b32 s15, 0
.LBB47_374:
	s_delay_alu instid0(SALU_CYCLE_1)
	s_and_not1_b32 vcc_lo, exec_lo, s15
	s_cbranch_vccnz .LBB47_380
; %bb.375:
	s_cmp_gt_i32 s0, 0
	s_mov_b32 s0, 0
	s_cbranch_scc0 .LBB47_377
; %bb.376:
	s_wait_loadcnt 0x0
	global_load_i8 v3, v[0:1], off
	s_wait_loadcnt 0x0
	v_cvt_f32_i32_e32 v3, v3
	s_delay_alu instid0(VALU_DEP_1) | instskip(NEXT) | instid1(VALU_DEP_1)
	v_bfe_u32 v4, v3, 16, 1
	v_add3_u32 v3, v3, v4, 0x7fff
	s_delay_alu instid0(VALU_DEP_1)
	v_lshrrev_b32_e32 v3, 16, v3
	s_branch .LBB47_378
.LBB47_377:
	s_mov_b32 s0, -1
                                        ; implicit-def: $vgpr3
.LBB47_378:
	s_delay_alu instid0(SALU_CYCLE_1)
	s_and_not1_b32 vcc_lo, exec_lo, s0
	s_cbranch_vccnz .LBB47_380
; %bb.379:
	global_load_u8 v0, v[0:1], off
	s_wait_loadcnt 0x0
	v_cvt_f32_ubyte0_e32 v0, v0
	s_delay_alu instid0(VALU_DEP_1) | instskip(NEXT) | instid1(VALU_DEP_1)
	v_bfe_u32 v1, v0, 16, 1
	v_add3_u32 v0, v0, v1, 0x7fff
	s_delay_alu instid0(VALU_DEP_1)
	v_lshrrev_b32_e32 v3, 16, v0
.LBB47_380:
	s_branch .LBB47_21
.LBB47_381:
	s_mov_b32 s0, 0
.LBB47_382:
	s_mov_b32 s21, 0
                                        ; implicit-def: $vgpr6
.LBB47_383:
	s_and_b32 s15, s0, exec_lo
	s_and_b32 s17, s17, exec_lo
	;; [unrolled: 1-line block ×3, first 2 shown]
	s_or_not1_b32 s23, s21, exec_lo
.LBB47_384:
	s_wait_xcnt 0x0
	s_or_b32 exec_lo, exec_lo, s19
	s_mov_b32 s22, 0
	s_mov_b32 s21, 0
                                        ; implicit-def: $sgpr0
                                        ; implicit-def: $vgpr0_vgpr1
                                        ; implicit-def: $vgpr2
	s_and_saveexec_b32 s19, s23
	s_cbranch_execz .LBB47_393
; %bb.385:
	s_mov_b32 s25, -1
	s_mov_b32 s20, s18
	s_mov_b32 s22, s17
	;; [unrolled: 1-line block ×3, first 2 shown]
	s_mov_b32 s23, exec_lo
	v_cmpx_gt_i32_e64 s16, v6
	s_cbranch_execz .LBB47_779
; %bb.386:
	v_mul_lo_u32 v0, v6, s9
	s_and_b32 s0, s13, 0xff
	s_delay_alu instid0(SALU_CYCLE_1) | instskip(NEXT) | instid1(VALU_DEP_1)
	s_cmp_lt_i32 s0, 11
	v_ashrrev_i32_e32 v1, 31, v0
	s_delay_alu instid0(VALU_DEP_1)
	v_add_nc_u64_e32 v[0:1], s[6:7], v[0:1]
	s_cbranch_scc1 .LBB47_396
; %bb.387:
	s_and_b32 s21, 0xffff, s0
	s_delay_alu instid0(SALU_CYCLE_1)
	s_cmp_gt_i32 s21, 25
	s_cbranch_scc0 .LBB47_405
; %bb.388:
	s_cmp_gt_i32 s21, 28
	s_cbranch_scc0 .LBB47_407
; %bb.389:
	;; [unrolled: 3-line block ×4, first 2 shown]
	s_cmp_eq_u32 s21, 46
	s_mov_b32 s24, 0
	s_cbranch_scc0 .LBB47_415
; %bb.392:
	s_wait_loadcnt 0x0
	global_load_b32 v2, v[0:1], off
	s_mov_b32 s22, -1
	s_mov_b32 s20, 0
	s_branch .LBB47_417
.LBB47_393:
	s_or_b32 exec_lo, exec_lo, s19
	s_mov_b32 s16, 0
	s_and_saveexec_b32 s19, s18
	s_cbranch_execnz .LBB47_1257
.LBB47_394:
	s_or_b32 exec_lo, exec_lo, s19
	s_and_saveexec_b32 s18, s20
	s_delay_alu instid0(SALU_CYCLE_1)
	s_xor_b32 s18, exec_lo, s18
	s_cbranch_execz .LBB47_1258
.LBB47_395:
	s_wait_loadcnt 0x0
	global_load_u8 v2, v[0:1], off
	s_or_b32 s21, s21, exec_lo
	s_wait_loadcnt 0x0
	v_cmp_ne_u16_e32 vcc_lo, 0, v2
	v_cndmask_b32_e64 v2, 0, 1.0, vcc_lo
	s_delay_alu instid0(VALU_DEP_1)
	v_lshrrev_b32_e32 v2, 16, v2
	s_wait_xcnt 0x0
	s_or_b32 exec_lo, exec_lo, s18
	s_and_saveexec_b32 s18, s22
	s_cbranch_execz .LBB47_1304
	s_branch .LBB47_1259
.LBB47_396:
	s_mov_b32 s22, 0
	s_mov_b32 s20, s18
                                        ; implicit-def: $vgpr2
	s_cbranch_execnz .LBB47_483
.LBB47_397:
	s_and_not1_b32 vcc_lo, exec_lo, s22
	s_cbranch_vccnz .LBB47_531
.LBB47_398:
	s_wait_xcnt 0x0
	v_mul_lo_u32 v0, v6, s10
	s_and_b32 s0, s1, 0xff
	s_delay_alu instid0(SALU_CYCLE_1) | instskip(NEXT) | instid1(VALU_DEP_1)
	s_cmp_lt_i32 s0, 11
	v_ashrrev_i32_e32 v1, 31, v0
	s_delay_alu instid0(VALU_DEP_1)
	v_add_nc_u64_e32 v[0:1], s[2:3], v[0:1]
	s_cbranch_scc1 .LBB47_406
; %bb.399:
	s_and_b32 s21, 0xffff, s0
	s_delay_alu instid0(SALU_CYCLE_1)
	s_cmp_gt_i32 s21, 25
	s_cbranch_scc0 .LBB47_408
; %bb.400:
	s_cmp_gt_i32 s21, 28
	s_cbranch_scc0 .LBB47_410
; %bb.401:
	;; [unrolled: 3-line block ×4, first 2 shown]
	s_cmp_eq_u32 s21, 46
	s_mov_b32 s25, 0
	s_cbranch_scc0 .LBB47_534
; %bb.404:
	s_wait_loadcnt 0x0
	global_load_b32 v3, v[0:1], off
	s_mov_b32 s24, -1
	s_mov_b32 s22, 0
	s_branch .LBB47_536
.LBB47_405:
	s_mov_b32 s24, -1
	s_mov_b32 s22, 0
	s_mov_b32 s20, s18
                                        ; implicit-def: $vgpr2
	s_branch .LBB47_447
.LBB47_406:
	s_mov_b32 s21, -1
	s_mov_b32 s24, 0
	s_mov_b32 s22, s17
                                        ; implicit-def: $vgpr3
	s_branch .LBB47_601
.LBB47_407:
	s_mov_b32 s24, -1
	s_mov_b32 s22, 0
	s_mov_b32 s20, s18
                                        ; implicit-def: $vgpr2
	s_branch .LBB47_428
.LBB47_408:
	s_mov_b32 s25, -1
	s_mov_b32 s24, 0
	s_mov_b32 s22, s17
                                        ; implicit-def: $vgpr3
	s_branch .LBB47_565
.LBB47_409:
	s_mov_b32 s24, -1
	s_mov_b32 s22, 0
	s_mov_b32 s20, s18
                                        ; implicit-def: $vgpr2
	s_branch .LBB47_423
.LBB47_410:
	s_mov_b32 s25, -1
	s_mov_b32 s24, 0
	s_mov_b32 s22, s17
                                        ; implicit-def: $vgpr3
	s_branch .LBB47_546
.LBB47_411:
	s_mov_b32 s24, -1
	s_mov_b32 s22, 0
	s_mov_b32 s20, s18
	s_branch .LBB47_416
.LBB47_412:
	s_mov_b32 s25, -1
	s_mov_b32 s24, 0
	s_mov_b32 s22, s17
                                        ; implicit-def: $vgpr3
	s_branch .LBB47_541
.LBB47_413:
	s_and_not1_saveexec_b32 s24, s24
	s_cbranch_execz .LBB47_182
.LBB47_414:
	v_add_f32_e64 v4, 0x46000000, |v5|
	s_and_not1_b32 s23, s23, exec_lo
	s_delay_alu instid0(VALU_DEP_1) | instskip(NEXT) | instid1(VALU_DEP_1)
	v_and_b32_e32 v4, 0xff, v4
	v_cmp_ne_u32_e32 vcc_lo, 0, v4
	s_and_b32 s25, vcc_lo, exec_lo
	s_delay_alu instid0(SALU_CYCLE_1)
	s_or_b32 s23, s23, s25
	s_or_b32 exec_lo, exec_lo, s24
	v_mov_b32_e32 v7, 0
	s_and_saveexec_b32 s24, s23
	s_cbranch_execnz .LBB47_183
	s_branch .LBB47_184
.LBB47_415:
	s_mov_b32 s20, -1
	s_mov_b32 s22, 0
.LBB47_416:
                                        ; implicit-def: $vgpr2
.LBB47_417:
	s_and_b32 vcc_lo, exec_lo, s24
	s_cbranch_vccz .LBB47_422
; %bb.418:
	s_cmp_eq_u32 s21, 44
	s_cbranch_scc0 .LBB47_421
; %bb.419:
	s_wait_loadcnt 0x0
	global_load_u8 v2, v[0:1], off
	s_mov_b32 s20, 0
	s_mov_b32 s22, -1
	s_wait_loadcnt 0x0
	v_lshlrev_b32_e32 v3, 23, v2
	v_cmp_ne_u32_e32 vcc_lo, 0xff, v2
	s_delay_alu instid0(VALU_DEP_2) | instskip(SKIP_1) | instid1(VALU_DEP_2)
	v_cndmask_b32_e32 v3, 0x7f800001, v3, vcc_lo
	v_cmp_ne_u32_e32 vcc_lo, 0, v2
	v_cndmask_b32_e32 v2, 0x400000, v3, vcc_lo
	s_delay_alu instid0(VALU_DEP_1) | instskip(NEXT) | instid1(VALU_DEP_1)
	v_add_nc_u32_e32 v3, 0x7fff, v2
	v_lshrrev_b32_e32 v3, 16, v3
	v_cmp_o_f32_e32 vcc_lo, v2, v2
	s_delay_alu instid0(VALU_DEP_2)
	v_cndmask_b32_e32 v2, 0x7fc0, v3, vcc_lo
	s_branch .LBB47_422
.LBB47_420:
	s_mov_b32 s25, -1
	s_mov_b32 s24, 0
	s_mov_b32 s22, s17
	s_branch .LBB47_535
.LBB47_421:
	s_mov_b32 s20, -1
                                        ; implicit-def: $vgpr2
.LBB47_422:
	s_mov_b32 s24, 0
.LBB47_423:
	s_delay_alu instid0(SALU_CYCLE_1)
	s_and_b32 vcc_lo, exec_lo, s24
	s_cbranch_vccz .LBB47_427
; %bb.424:
	s_cmp_eq_u32 s21, 29
	s_cbranch_scc0 .LBB47_426
; %bb.425:
	s_wait_loadcnt 0x0
	global_load_b64 v[2:3], v[0:1], off
	s_mov_b32 s22, -1
	s_mov_b32 s20, 0
	s_mov_b32 s24, 0
	s_wait_loadcnt 0x0
	v_clz_i32_u32_e32 v4, v3
	s_delay_alu instid0(VALU_DEP_1) | instskip(NEXT) | instid1(VALU_DEP_1)
	v_min_u32_e32 v4, 32, v4
	v_lshlrev_b64_e32 v[2:3], v4, v[2:3]
	s_delay_alu instid0(VALU_DEP_1) | instskip(NEXT) | instid1(VALU_DEP_1)
	v_min_u32_e32 v2, 1, v2
	v_dual_sub_nc_u32 v3, 32, v4 :: v_dual_bitop2_b32 v2, v3, v2 bitop3:0x54
	s_delay_alu instid0(VALU_DEP_1) | instskip(NEXT) | instid1(VALU_DEP_1)
	v_cvt_f32_u32_e32 v2, v2
	v_ldexp_f32 v2, v2, v3
	s_delay_alu instid0(VALU_DEP_1) | instskip(NEXT) | instid1(VALU_DEP_1)
	v_bfe_u32 v3, v2, 16, 1
	v_add3_u32 v2, v2, v3, 0x7fff
	s_delay_alu instid0(VALU_DEP_1)
	v_lshrrev_b32_e32 v2, 16, v2
	s_branch .LBB47_428
.LBB47_426:
	s_mov_b32 s20, -1
                                        ; implicit-def: $vgpr2
.LBB47_427:
	s_mov_b32 s24, 0
.LBB47_428:
	s_delay_alu instid0(SALU_CYCLE_1)
	s_and_b32 vcc_lo, exec_lo, s24
	s_cbranch_vccz .LBB47_446
; %bb.429:
	s_cmp_lt_i32 s21, 27
	s_cbranch_scc1 .LBB47_432
; %bb.430:
	s_cmp_gt_i32 s21, 27
	s_cbranch_scc0 .LBB47_433
; %bb.431:
	s_wait_loadcnt 0x0
	global_load_b32 v2, v[0:1], off
	s_mov_b32 s22, 0
	s_wait_loadcnt 0x0
	v_cvt_f32_u32_e32 v2, v2
	s_delay_alu instid0(VALU_DEP_1) | instskip(NEXT) | instid1(VALU_DEP_1)
	v_bfe_u32 v3, v2, 16, 1
	v_add3_u32 v2, v2, v3, 0x7fff
	s_delay_alu instid0(VALU_DEP_1)
	v_lshrrev_b32_e32 v2, 16, v2
	s_branch .LBB47_434
.LBB47_432:
	s_mov_b32 s22, -1
                                        ; implicit-def: $vgpr2
	s_branch .LBB47_437
.LBB47_433:
	s_mov_b32 s22, -1
                                        ; implicit-def: $vgpr2
.LBB47_434:
	s_delay_alu instid0(SALU_CYCLE_1)
	s_and_not1_b32 vcc_lo, exec_lo, s22
	s_cbranch_vccnz .LBB47_436
; %bb.435:
	s_wait_loadcnt 0x0
	global_load_u16 v2, v[0:1], off
	s_wait_loadcnt 0x0
	v_cvt_f32_u32_e32 v2, v2
	s_delay_alu instid0(VALU_DEP_1) | instskip(NEXT) | instid1(VALU_DEP_1)
	v_bfe_u32 v3, v2, 16, 1
	v_add3_u32 v2, v2, v3, 0x7fff
	s_delay_alu instid0(VALU_DEP_1)
	v_lshrrev_b32_e32 v2, 16, v2
.LBB47_436:
	s_mov_b32 s22, 0
.LBB47_437:
	s_delay_alu instid0(SALU_CYCLE_1)
	s_and_not1_b32 vcc_lo, exec_lo, s22
	s_cbranch_vccnz .LBB47_445
; %bb.438:
	s_wait_loadcnt 0x0
	global_load_u8 v2, v[0:1], off
	s_mov_b32 s22, 0
	s_mov_b32 s24, exec_lo
	s_wait_loadcnt 0x0
	v_cmpx_lt_i16_e32 0x7f, v2
	s_xor_b32 s24, exec_lo, s24
	s_cbranch_execz .LBB47_459
; %bb.439:
	s_mov_b32 s22, -1
	s_mov_b32 s25, exec_lo
	v_cmpx_eq_u16_e32 0x80, v2
; %bb.440:
	s_xor_b32 s22, exec_lo, -1
; %bb.441:
	s_or_b32 exec_lo, exec_lo, s25
	s_delay_alu instid0(SALU_CYCLE_1)
	s_and_b32 s22, s22, exec_lo
	s_or_saveexec_b32 s24, s24
	v_mov_b32_e32 v3, 0x7f800001
	s_xor_b32 exec_lo, exec_lo, s24
	s_cbranch_execnz .LBB47_460
.LBB47_442:
	s_or_b32 exec_lo, exec_lo, s24
	s_and_saveexec_b32 s24, s22
	s_cbranch_execz .LBB47_444
.LBB47_443:
	v_and_b32_e32 v3, 0xffff, v2
	s_delay_alu instid0(VALU_DEP_1) | instskip(SKIP_1) | instid1(VALU_DEP_2)
	v_and_b32_e32 v4, 7, v3
	v_bfe_u32 v8, v3, 3, 4
	v_clz_i32_u32_e32 v5, v4
	s_delay_alu instid0(VALU_DEP_2) | instskip(NEXT) | instid1(VALU_DEP_2)
	v_cmp_eq_u32_e32 vcc_lo, 0, v8
	v_min_u32_e32 v5, 32, v5
	s_delay_alu instid0(VALU_DEP_1) | instskip(NEXT) | instid1(VALU_DEP_1)
	v_subrev_nc_u32_e32 v7, 28, v5
	v_dual_lshlrev_b32 v3, v7, v3 :: v_dual_sub_nc_u32 v5, 29, v5
	s_delay_alu instid0(VALU_DEP_1) | instskip(NEXT) | instid1(VALU_DEP_2)
	v_dual_lshlrev_b32 v2, 24, v2 :: v_dual_bitop2_b32 v3, 7, v3 bitop3:0x40
	v_cndmask_b32_e32 v5, v8, v5, vcc_lo
	s_delay_alu instid0(VALU_DEP_2) | instskip(NEXT) | instid1(VALU_DEP_3)
	v_cndmask_b32_e32 v3, v4, v3, vcc_lo
	v_and_b32_e32 v2, 0x80000000, v2
	s_delay_alu instid0(VALU_DEP_3) | instskip(NEXT) | instid1(VALU_DEP_3)
	v_lshl_add_u32 v4, v5, 23, 0x3b800000
	v_lshlrev_b32_e32 v3, 20, v3
	s_delay_alu instid0(VALU_DEP_1)
	v_or3_b32 v3, v2, v4, v3
.LBB47_444:
	s_or_b32 exec_lo, exec_lo, s24
	s_delay_alu instid0(VALU_DEP_1) | instskip(SKIP_1) | instid1(VALU_DEP_2)
	v_bfe_u32 v2, v3, 16, 1
	v_cmp_o_f32_e32 vcc_lo, v3, v3
	v_add3_u32 v2, v3, v2, 0x7fff
	s_delay_alu instid0(VALU_DEP_1) | instskip(NEXT) | instid1(VALU_DEP_1)
	v_lshrrev_b32_e32 v2, 16, v2
	v_cndmask_b32_e32 v2, 0x7fc0, v2, vcc_lo
.LBB47_445:
	s_mov_b32 s22, -1
.LBB47_446:
	s_mov_b32 s24, 0
.LBB47_447:
	s_delay_alu instid0(SALU_CYCLE_1)
	s_and_b32 vcc_lo, exec_lo, s24
	s_cbranch_vccz .LBB47_482
; %bb.448:
	s_cmp_gt_i32 s21, 22
	s_cbranch_scc0 .LBB47_458
; %bb.449:
	s_cmp_lt_i32 s21, 24
	s_cbranch_scc1 .LBB47_461
; %bb.450:
	s_cmp_gt_i32 s21, 24
	s_cbranch_scc0 .LBB47_462
; %bb.451:
	s_wait_loadcnt 0x0
	global_load_u8 v2, v[0:1], off
	s_mov_b32 s22, 0
	s_mov_b32 s24, exec_lo
	s_wait_loadcnt 0x0
	v_cmpx_lt_i16_e32 0x7f, v2
	s_xor_b32 s24, exec_lo, s24
	s_cbranch_execz .LBB47_474
; %bb.452:
	s_mov_b32 s22, -1
	s_mov_b32 s25, exec_lo
	v_cmpx_eq_u16_e32 0x80, v2
; %bb.453:
	s_xor_b32 s22, exec_lo, -1
; %bb.454:
	s_or_b32 exec_lo, exec_lo, s25
	s_delay_alu instid0(SALU_CYCLE_1)
	s_and_b32 s22, s22, exec_lo
	s_or_saveexec_b32 s24, s24
	v_mov_b32_e32 v3, 0x7f800001
	s_xor_b32 exec_lo, exec_lo, s24
	s_cbranch_execnz .LBB47_475
.LBB47_455:
	s_or_b32 exec_lo, exec_lo, s24
	s_and_saveexec_b32 s24, s22
	s_cbranch_execz .LBB47_457
.LBB47_456:
	v_and_b32_e32 v3, 0xffff, v2
	s_delay_alu instid0(VALU_DEP_1) | instskip(SKIP_1) | instid1(VALU_DEP_2)
	v_and_b32_e32 v4, 3, v3
	v_bfe_u32 v8, v3, 2, 5
	v_clz_i32_u32_e32 v5, v4
	s_delay_alu instid0(VALU_DEP_2) | instskip(NEXT) | instid1(VALU_DEP_2)
	v_cmp_eq_u32_e32 vcc_lo, 0, v8
	v_min_u32_e32 v5, 32, v5
	s_delay_alu instid0(VALU_DEP_1) | instskip(NEXT) | instid1(VALU_DEP_1)
	v_subrev_nc_u32_e32 v7, 29, v5
	v_dual_lshlrev_b32 v3, v7, v3 :: v_dual_sub_nc_u32 v5, 30, v5
	s_delay_alu instid0(VALU_DEP_1) | instskip(NEXT) | instid1(VALU_DEP_2)
	v_dual_lshlrev_b32 v2, 24, v2 :: v_dual_bitop2_b32 v3, 3, v3 bitop3:0x40
	v_cndmask_b32_e32 v5, v8, v5, vcc_lo
	s_delay_alu instid0(VALU_DEP_2) | instskip(NEXT) | instid1(VALU_DEP_3)
	v_cndmask_b32_e32 v3, v4, v3, vcc_lo
	v_and_b32_e32 v2, 0x80000000, v2
	s_delay_alu instid0(VALU_DEP_3) | instskip(NEXT) | instid1(VALU_DEP_3)
	v_lshl_add_u32 v4, v5, 23, 0x37800000
	v_lshlrev_b32_e32 v3, 21, v3
	s_delay_alu instid0(VALU_DEP_1)
	v_or3_b32 v3, v2, v4, v3
.LBB47_457:
	s_or_b32 exec_lo, exec_lo, s24
	s_delay_alu instid0(VALU_DEP_1) | instskip(SKIP_2) | instid1(VALU_DEP_2)
	v_bfe_u32 v2, v3, 16, 1
	v_cmp_o_f32_e32 vcc_lo, v3, v3
	s_mov_b32 s22, 0
	v_add3_u32 v2, v3, v2, 0x7fff
	s_delay_alu instid0(VALU_DEP_1) | instskip(NEXT) | instid1(VALU_DEP_1)
	v_lshrrev_b32_e32 v2, 16, v2
	v_cndmask_b32_e32 v2, 0x7fc0, v2, vcc_lo
	s_branch .LBB47_463
.LBB47_458:
	s_mov_b32 s24, -1
                                        ; implicit-def: $vgpr2
	s_branch .LBB47_469
.LBB47_459:
	s_or_saveexec_b32 s24, s24
	v_mov_b32_e32 v3, 0x7f800001
	s_xor_b32 exec_lo, exec_lo, s24
	s_cbranch_execz .LBB47_442
.LBB47_460:
	v_cmp_ne_u16_e32 vcc_lo, 0, v2
	v_mov_b32_e32 v3, 0
	s_and_not1_b32 s22, s22, exec_lo
	s_and_b32 s25, vcc_lo, exec_lo
	s_delay_alu instid0(SALU_CYCLE_1)
	s_or_b32 s22, s22, s25
	s_or_b32 exec_lo, exec_lo, s24
	s_and_saveexec_b32 s24, s22
	s_cbranch_execnz .LBB47_443
	s_branch .LBB47_444
.LBB47_461:
	s_mov_b32 s22, -1
                                        ; implicit-def: $vgpr2
	s_branch .LBB47_466
.LBB47_462:
	s_mov_b32 s22, -1
                                        ; implicit-def: $vgpr2
.LBB47_463:
	s_delay_alu instid0(SALU_CYCLE_1)
	s_and_b32 vcc_lo, exec_lo, s22
	s_cbranch_vccz .LBB47_465
; %bb.464:
	s_wait_loadcnt 0x0
	global_load_u8 v2, v[0:1], off
	s_wait_loadcnt 0x0
	v_lshlrev_b32_e32 v2, 24, v2
	s_delay_alu instid0(VALU_DEP_1) | instskip(NEXT) | instid1(VALU_DEP_1)
	v_and_b32_e32 v3, 0x7f000000, v2
	v_clz_i32_u32_e32 v4, v3
	v_add_nc_u32_e32 v7, 0x1000000, v3
	v_cmp_ne_u32_e32 vcc_lo, 0, v3
	s_delay_alu instid0(VALU_DEP_3) | instskip(NEXT) | instid1(VALU_DEP_1)
	v_min_u32_e32 v4, 32, v4
	v_sub_nc_u32_e64 v4, v4, 4 clamp
	s_delay_alu instid0(VALU_DEP_1) | instskip(NEXT) | instid1(VALU_DEP_1)
	v_dual_lshlrev_b32 v5, v4, v3 :: v_dual_lshlrev_b32 v4, 23, v4
	v_lshrrev_b32_e32 v5, 4, v5
	s_delay_alu instid0(VALU_DEP_1) | instskip(NEXT) | instid1(VALU_DEP_1)
	v_dual_sub_nc_u32 v4, v5, v4 :: v_dual_ashrrev_i32 v5, 8, v7
	v_add_nc_u32_e32 v4, 0x3c000000, v4
	s_delay_alu instid0(VALU_DEP_1) | instskip(NEXT) | instid1(VALU_DEP_1)
	v_and_or_b32 v4, 0x7f800000, v5, v4
	v_cndmask_b32_e32 v3, 0, v4, vcc_lo
	s_delay_alu instid0(VALU_DEP_1) | instskip(SKIP_1) | instid1(VALU_DEP_2)
	v_and_or_b32 v2, 0x80000000, v2, v3
	v_bfe_u32 v3, v3, 16, 1
	v_cmp_o_f32_e32 vcc_lo, v2, v2
	s_delay_alu instid0(VALU_DEP_2) | instskip(NEXT) | instid1(VALU_DEP_1)
	v_add3_u32 v3, v2, v3, 0x7fff
	v_lshrrev_b32_e32 v3, 16, v3
	s_delay_alu instid0(VALU_DEP_1)
	v_cndmask_b32_e32 v2, 0x7fc0, v3, vcc_lo
.LBB47_465:
	s_mov_b32 s22, 0
.LBB47_466:
	s_delay_alu instid0(SALU_CYCLE_1)
	s_and_not1_b32 vcc_lo, exec_lo, s22
	s_cbranch_vccnz .LBB47_468
; %bb.467:
	s_wait_loadcnt 0x0
	global_load_u8 v2, v[0:1], off
	s_wait_loadcnt 0x0
	v_lshlrev_b32_e32 v3, 25, v2
	v_lshlrev_b16 v2, 8, v2
	s_delay_alu instid0(VALU_DEP_1) | instskip(SKIP_1) | instid1(VALU_DEP_2)
	v_and_or_b32 v5, 0x7f00, v2, 0.5
	v_bfe_i32 v2, v2, 0, 16
	v_dual_add_f32 v5, -0.5, v5 :: v_dual_lshrrev_b32 v4, 4, v3
	v_cmp_gt_u32_e32 vcc_lo, 0x8000000, v3
	s_delay_alu instid0(VALU_DEP_2) | instskip(NEXT) | instid1(VALU_DEP_1)
	v_or_b32_e32 v4, 0x70000000, v4
	v_mul_f32_e32 v4, 0x7800000, v4
	s_delay_alu instid0(VALU_DEP_1) | instskip(NEXT) | instid1(VALU_DEP_1)
	v_cndmask_b32_e32 v3, v4, v5, vcc_lo
	v_and_or_b32 v2, 0x80000000, v2, v3
	v_bfe_u32 v3, v3, 16, 1
	s_delay_alu instid0(VALU_DEP_2) | instskip(NEXT) | instid1(VALU_DEP_2)
	v_cmp_o_f32_e32 vcc_lo, v2, v2
	v_add3_u32 v3, v2, v3, 0x7fff
	s_delay_alu instid0(VALU_DEP_1) | instskip(NEXT) | instid1(VALU_DEP_1)
	v_lshrrev_b32_e32 v3, 16, v3
	v_cndmask_b32_e32 v2, 0x7fc0, v3, vcc_lo
.LBB47_468:
	s_mov_b32 s24, 0
	s_mov_b32 s22, -1
.LBB47_469:
	s_and_not1_b32 vcc_lo, exec_lo, s24
	s_cbranch_vccnz .LBB47_482
; %bb.470:
	s_cmp_gt_i32 s21, 14
	s_cbranch_scc0 .LBB47_473
; %bb.471:
	s_cmp_eq_u32 s21, 15
	s_cbranch_scc0 .LBB47_476
; %bb.472:
	s_wait_loadcnt 0x0
	global_load_u16 v2, v[0:1], off
	s_mov_b32 s22, -1
	s_mov_b32 s20, 0
	s_branch .LBB47_477
.LBB47_473:
	s_mov_b32 s24, -1
                                        ; implicit-def: $vgpr2
	s_branch .LBB47_478
.LBB47_474:
	s_or_saveexec_b32 s24, s24
	v_mov_b32_e32 v3, 0x7f800001
	s_xor_b32 exec_lo, exec_lo, s24
	s_cbranch_execz .LBB47_455
.LBB47_475:
	v_cmp_ne_u16_e32 vcc_lo, 0, v2
	v_mov_b32_e32 v3, 0
	s_and_not1_b32 s22, s22, exec_lo
	s_and_b32 s25, vcc_lo, exec_lo
	s_delay_alu instid0(SALU_CYCLE_1)
	s_or_b32 s22, s22, s25
	s_or_b32 exec_lo, exec_lo, s24
	s_and_saveexec_b32 s24, s22
	s_cbranch_execnz .LBB47_456
	s_branch .LBB47_457
.LBB47_476:
	s_mov_b32 s20, -1
                                        ; implicit-def: $vgpr2
.LBB47_477:
	s_mov_b32 s24, 0
.LBB47_478:
	s_delay_alu instid0(SALU_CYCLE_1)
	s_and_b32 vcc_lo, exec_lo, s24
	s_cbranch_vccz .LBB47_482
; %bb.479:
	s_cmp_eq_u32 s21, 11
	s_cbranch_scc0 .LBB47_481
; %bb.480:
	s_wait_loadcnt 0x0
	global_load_u8 v2, v[0:1], off
	s_mov_b32 s20, 0
	s_mov_b32 s22, -1
	s_wait_loadcnt 0x0
	v_cmp_ne_u16_e32 vcc_lo, 0, v2
	v_cndmask_b32_e64 v2, 0, 1.0, vcc_lo
	s_delay_alu instid0(VALU_DEP_1)
	v_lshrrev_b32_e32 v2, 16, v2
	s_branch .LBB47_482
.LBB47_481:
	s_mov_b32 s20, -1
                                        ; implicit-def: $vgpr2
.LBB47_482:
	s_branch .LBB47_397
.LBB47_483:
	s_and_b32 s0, 0xffff, s0
	s_delay_alu instid0(SALU_CYCLE_1)
	s_cmp_lt_i32 s0, 5
	s_cbranch_scc1 .LBB47_488
; %bb.484:
	s_cmp_lt_i32 s0, 8
	s_cbranch_scc1 .LBB47_489
; %bb.485:
	;; [unrolled: 3-line block ×3, first 2 shown]
	s_cmp_gt_i32 s0, 9
	s_cbranch_scc0 .LBB47_491
; %bb.487:
	s_wait_loadcnt 0x0
	global_load_b64 v[2:3], v[0:1], off
	s_mov_b32 s21, 0
	s_wait_loadcnt 0x0
	v_cvt_f32_f64_e32 v2, v[2:3]
	s_delay_alu instid0(VALU_DEP_1) | instskip(SKIP_1) | instid1(VALU_DEP_2)
	v_bfe_u32 v3, v2, 16, 1
	v_cmp_o_f32_e32 vcc_lo, v2, v2
	v_add3_u32 v3, v2, v3, 0x7fff
	s_delay_alu instid0(VALU_DEP_1) | instskip(NEXT) | instid1(VALU_DEP_1)
	v_lshrrev_b32_e32 v3, 16, v3
	v_cndmask_b32_e32 v2, 0x7fc0, v3, vcc_lo
	s_branch .LBB47_492
.LBB47_488:
	s_mov_b32 s21, -1
                                        ; implicit-def: $vgpr2
	s_branch .LBB47_510
.LBB47_489:
	s_mov_b32 s21, -1
                                        ; implicit-def: $vgpr2
	s_branch .LBB47_498
.LBB47_490:
	s_mov_b32 s21, -1
                                        ; implicit-def: $vgpr2
	s_branch .LBB47_495
.LBB47_491:
	s_mov_b32 s21, -1
                                        ; implicit-def: $vgpr2
.LBB47_492:
	s_delay_alu instid0(SALU_CYCLE_1)
	s_and_not1_b32 vcc_lo, exec_lo, s21
	s_cbranch_vccnz .LBB47_494
; %bb.493:
	s_wait_loadcnt 0x0
	global_load_b32 v2, v[0:1], off
	s_wait_loadcnt 0x0
	v_bfe_u32 v3, v2, 16, 1
	v_cmp_o_f32_e32 vcc_lo, v2, v2
	s_delay_alu instid0(VALU_DEP_2) | instskip(NEXT) | instid1(VALU_DEP_1)
	v_add3_u32 v3, v2, v3, 0x7fff
	v_lshrrev_b32_e32 v3, 16, v3
	s_delay_alu instid0(VALU_DEP_1)
	v_cndmask_b32_e32 v2, 0x7fc0, v3, vcc_lo
.LBB47_494:
	s_mov_b32 s21, 0
.LBB47_495:
	s_delay_alu instid0(SALU_CYCLE_1)
	s_and_not1_b32 vcc_lo, exec_lo, s21
	s_cbranch_vccnz .LBB47_497
; %bb.496:
	s_wait_loadcnt 0x0
	global_load_b32 v2, v[0:1], off
	s_wait_loadcnt 0x0
	v_cvt_f32_f16_e32 v3, v2
	v_cmp_o_f16_e32 vcc_lo, v2, v2
	s_delay_alu instid0(VALU_DEP_2) | instskip(NEXT) | instid1(VALU_DEP_1)
	v_bfe_u32 v4, v3, 16, 1
	v_add3_u32 v3, v3, v4, 0x7fff
	s_delay_alu instid0(VALU_DEP_1) | instskip(NEXT) | instid1(VALU_DEP_1)
	v_lshrrev_b32_e32 v3, 16, v3
	v_cndmask_b32_e32 v2, 0x7fc0, v3, vcc_lo
.LBB47_497:
	s_mov_b32 s21, 0
.LBB47_498:
	s_delay_alu instid0(SALU_CYCLE_1)
	s_and_not1_b32 vcc_lo, exec_lo, s21
	s_cbranch_vccnz .LBB47_509
; %bb.499:
	s_cmp_lt_i32 s0, 6
	s_cbranch_scc1 .LBB47_502
; %bb.500:
	s_cmp_gt_i32 s0, 6
	s_cbranch_scc0 .LBB47_503
; %bb.501:
	s_wait_loadcnt 0x0
	global_load_b64 v[2:3], v[0:1], off
	s_mov_b32 s21, 0
	s_wait_loadcnt 0x0
	v_cvt_f32_f64_e32 v2, v[2:3]
	s_delay_alu instid0(VALU_DEP_1) | instskip(SKIP_1) | instid1(VALU_DEP_2)
	v_bfe_u32 v3, v2, 16, 1
	v_cmp_o_f32_e32 vcc_lo, v2, v2
	v_add3_u32 v3, v2, v3, 0x7fff
	s_delay_alu instid0(VALU_DEP_1) | instskip(NEXT) | instid1(VALU_DEP_1)
	v_lshrrev_b32_e32 v3, 16, v3
	v_cndmask_b32_e32 v2, 0x7fc0, v3, vcc_lo
	s_branch .LBB47_504
.LBB47_502:
	s_mov_b32 s21, -1
                                        ; implicit-def: $vgpr2
	s_branch .LBB47_507
.LBB47_503:
	s_mov_b32 s21, -1
                                        ; implicit-def: $vgpr2
.LBB47_504:
	s_delay_alu instid0(SALU_CYCLE_1)
	s_and_not1_b32 vcc_lo, exec_lo, s21
	s_cbranch_vccnz .LBB47_506
; %bb.505:
	s_wait_loadcnt 0x0
	global_load_b32 v2, v[0:1], off
	s_wait_loadcnt 0x0
	v_bfe_u32 v3, v2, 16, 1
	v_cmp_o_f32_e32 vcc_lo, v2, v2
	s_delay_alu instid0(VALU_DEP_2) | instskip(NEXT) | instid1(VALU_DEP_1)
	v_add3_u32 v3, v2, v3, 0x7fff
	v_lshrrev_b32_e32 v3, 16, v3
	s_delay_alu instid0(VALU_DEP_1)
	v_cndmask_b32_e32 v2, 0x7fc0, v3, vcc_lo
.LBB47_506:
	s_mov_b32 s21, 0
.LBB47_507:
	s_delay_alu instid0(SALU_CYCLE_1)
	s_and_not1_b32 vcc_lo, exec_lo, s21
	s_cbranch_vccnz .LBB47_509
; %bb.508:
	s_wait_loadcnt 0x0
	global_load_u16 v2, v[0:1], off
	s_wait_loadcnt 0x0
	v_cvt_f32_f16_e32 v3, v2
	v_cmp_o_f16_e32 vcc_lo, v2, v2
	s_delay_alu instid0(VALU_DEP_2) | instskip(NEXT) | instid1(VALU_DEP_1)
	v_bfe_u32 v4, v3, 16, 1
	v_add3_u32 v3, v3, v4, 0x7fff
	s_delay_alu instid0(VALU_DEP_1) | instskip(NEXT) | instid1(VALU_DEP_1)
	v_lshrrev_b32_e32 v3, 16, v3
	v_cndmask_b32_e32 v2, 0x7fc0, v3, vcc_lo
.LBB47_509:
	s_mov_b32 s21, 0
.LBB47_510:
	s_delay_alu instid0(SALU_CYCLE_1)
	s_and_not1_b32 vcc_lo, exec_lo, s21
	s_cbranch_vccnz .LBB47_530
; %bb.511:
	s_cmp_lt_i32 s0, 2
	s_cbranch_scc1 .LBB47_515
; %bb.512:
	s_cmp_lt_i32 s0, 3
	s_cbranch_scc1 .LBB47_516
; %bb.513:
	s_cmp_gt_i32 s0, 3
	s_cbranch_scc0 .LBB47_517
; %bb.514:
	s_wait_loadcnt 0x0
	global_load_b64 v[2:3], v[0:1], off
	s_mov_b32 s21, 0
	s_wait_loadcnt 0x0
	v_xor_b32_e32 v4, v2, v3
	v_cls_i32_e32 v5, v3
	s_delay_alu instid0(VALU_DEP_2) | instskip(NEXT) | instid1(VALU_DEP_1)
	v_ashrrev_i32_e32 v4, 31, v4
	v_add_nc_u32_e32 v4, 32, v4
	s_delay_alu instid0(VALU_DEP_1) | instskip(NEXT) | instid1(VALU_DEP_1)
	v_add_min_u32_e64 v4, v5, -1, v4
	v_lshlrev_b64_e32 v[2:3], v4, v[2:3]
	s_delay_alu instid0(VALU_DEP_1) | instskip(NEXT) | instid1(VALU_DEP_1)
	v_min_u32_e32 v2, 1, v2
	v_dual_sub_nc_u32 v3, 32, v4 :: v_dual_bitop2_b32 v2, v3, v2 bitop3:0x54
	s_delay_alu instid0(VALU_DEP_1) | instskip(NEXT) | instid1(VALU_DEP_1)
	v_cvt_f32_i32_e32 v2, v2
	v_ldexp_f32 v2, v2, v3
	s_delay_alu instid0(VALU_DEP_1) | instskip(NEXT) | instid1(VALU_DEP_1)
	v_bfe_u32 v3, v2, 16, 1
	v_add3_u32 v2, v2, v3, 0x7fff
	s_delay_alu instid0(VALU_DEP_1)
	v_lshrrev_b32_e32 v2, 16, v2
	s_branch .LBB47_518
.LBB47_515:
	s_mov_b32 s21, -1
                                        ; implicit-def: $vgpr2
	s_branch .LBB47_524
.LBB47_516:
	s_mov_b32 s21, -1
                                        ; implicit-def: $vgpr2
	s_branch .LBB47_521
.LBB47_517:
	s_mov_b32 s21, -1
                                        ; implicit-def: $vgpr2
.LBB47_518:
	s_delay_alu instid0(SALU_CYCLE_1)
	s_and_not1_b32 vcc_lo, exec_lo, s21
	s_cbranch_vccnz .LBB47_520
; %bb.519:
	s_wait_loadcnt 0x0
	global_load_b32 v2, v[0:1], off
	s_wait_loadcnt 0x0
	v_cvt_f32_i32_e32 v2, v2
	s_delay_alu instid0(VALU_DEP_1) | instskip(NEXT) | instid1(VALU_DEP_1)
	v_bfe_u32 v3, v2, 16, 1
	v_add3_u32 v2, v2, v3, 0x7fff
	s_delay_alu instid0(VALU_DEP_1)
	v_lshrrev_b32_e32 v2, 16, v2
.LBB47_520:
	s_mov_b32 s21, 0
.LBB47_521:
	s_delay_alu instid0(SALU_CYCLE_1)
	s_and_not1_b32 vcc_lo, exec_lo, s21
	s_cbranch_vccnz .LBB47_523
; %bb.522:
	s_wait_loadcnt 0x0
	global_load_i16 v2, v[0:1], off
	s_wait_loadcnt 0x0
	v_cvt_f32_i32_e32 v2, v2
	s_delay_alu instid0(VALU_DEP_1) | instskip(NEXT) | instid1(VALU_DEP_1)
	v_bfe_u32 v3, v2, 16, 1
	v_add3_u32 v2, v2, v3, 0x7fff
	s_delay_alu instid0(VALU_DEP_1)
	v_lshrrev_b32_e32 v2, 16, v2
.LBB47_523:
	s_mov_b32 s21, 0
.LBB47_524:
	s_delay_alu instid0(SALU_CYCLE_1)
	s_and_not1_b32 vcc_lo, exec_lo, s21
	s_cbranch_vccnz .LBB47_530
; %bb.525:
	s_cmp_gt_i32 s0, 0
	s_mov_b32 s0, 0
	s_cbranch_scc0 .LBB47_527
; %bb.526:
	s_wait_loadcnt 0x0
	global_load_i8 v2, v[0:1], off
	s_wait_loadcnt 0x0
	v_cvt_f32_i32_e32 v2, v2
	s_delay_alu instid0(VALU_DEP_1) | instskip(NEXT) | instid1(VALU_DEP_1)
	v_bfe_u32 v3, v2, 16, 1
	v_add3_u32 v2, v2, v3, 0x7fff
	s_delay_alu instid0(VALU_DEP_1)
	v_lshrrev_b32_e32 v2, 16, v2
	s_branch .LBB47_528
.LBB47_527:
	s_mov_b32 s0, -1
                                        ; implicit-def: $vgpr2
.LBB47_528:
	s_delay_alu instid0(SALU_CYCLE_1)
	s_and_not1_b32 vcc_lo, exec_lo, s0
	s_cbranch_vccnz .LBB47_530
; %bb.529:
	global_load_u8 v0, v[0:1], off
	s_wait_loadcnt 0x0
	v_cvt_f32_ubyte0_e32 v0, v0
	s_delay_alu instid0(VALU_DEP_1) | instskip(NEXT) | instid1(VALU_DEP_1)
	v_bfe_u32 v1, v0, 16, 1
	v_add3_u32 v0, v0, v1, 0x7fff
	s_delay_alu instid0(VALU_DEP_1)
	v_lshrrev_b32_e32 v2, 16, v0
.LBB47_530:
	s_branch .LBB47_398
.LBB47_531:
	s_mov_b32 s24, 0
	s_mov_b32 s0, s15
	;; [unrolled: 1-line block ×3, first 2 shown]
	s_branch .LBB47_777
.LBB47_532:
	s_and_not1_saveexec_b32 s24, s24
	s_cbranch_execz .LBB47_195
.LBB47_533:
	v_add_f32_e64 v4, 0x42800000, |v5|
	s_and_not1_b32 s23, s23, exec_lo
	s_delay_alu instid0(VALU_DEP_1) | instskip(NEXT) | instid1(VALU_DEP_1)
	v_and_b32_e32 v4, 0xff, v4
	v_cmp_ne_u32_e32 vcc_lo, 0, v4
	s_and_b32 s25, vcc_lo, exec_lo
	s_delay_alu instid0(SALU_CYCLE_1)
	s_or_b32 s23, s23, s25
	s_or_b32 exec_lo, exec_lo, s24
	v_mov_b32_e32 v7, 0
	s_and_saveexec_b32 s24, s23
	s_cbranch_execnz .LBB47_196
	s_branch .LBB47_197
.LBB47_534:
	s_mov_b32 s22, -1
	s_mov_b32 s24, 0
.LBB47_535:
                                        ; implicit-def: $vgpr3
.LBB47_536:
	s_and_b32 vcc_lo, exec_lo, s25
	s_cbranch_vccz .LBB47_540
; %bb.537:
	s_cmp_eq_u32 s21, 44
	s_cbranch_scc0 .LBB47_539
; %bb.538:
	s_wait_loadcnt 0x0
	global_load_u8 v3, v[0:1], off
	s_mov_b32 s22, 0
	s_mov_b32 s24, -1
	s_wait_loadcnt 0x0
	v_lshlrev_b32_e32 v4, 23, v3
	v_cmp_ne_u32_e32 vcc_lo, 0xff, v3
	s_delay_alu instid0(VALU_DEP_2) | instskip(SKIP_1) | instid1(VALU_DEP_2)
	v_cndmask_b32_e32 v4, 0x7f800001, v4, vcc_lo
	v_cmp_ne_u32_e32 vcc_lo, 0, v3
	v_cndmask_b32_e32 v3, 0x400000, v4, vcc_lo
	s_delay_alu instid0(VALU_DEP_1) | instskip(NEXT) | instid1(VALU_DEP_1)
	v_add_nc_u32_e32 v4, 0x7fff, v3
	v_lshrrev_b32_e32 v4, 16, v4
	v_cmp_o_f32_e32 vcc_lo, v3, v3
	s_delay_alu instid0(VALU_DEP_2)
	v_cndmask_b32_e32 v3, 0x7fc0, v4, vcc_lo
	s_branch .LBB47_540
.LBB47_539:
	s_mov_b32 s22, -1
                                        ; implicit-def: $vgpr3
.LBB47_540:
	s_mov_b32 s25, 0
.LBB47_541:
	s_delay_alu instid0(SALU_CYCLE_1)
	s_and_b32 vcc_lo, exec_lo, s25
	s_cbranch_vccz .LBB47_545
; %bb.542:
	s_cmp_eq_u32 s21, 29
	s_cbranch_scc0 .LBB47_544
; %bb.543:
	global_load_b64 v[4:5], v[0:1], off
	s_mov_b32 s24, -1
	s_mov_b32 s22, 0
	s_mov_b32 s25, 0
	s_wait_loadcnt 0x0
	v_clz_i32_u32_e32 v3, v5
	s_delay_alu instid0(VALU_DEP_1) | instskip(NEXT) | instid1(VALU_DEP_1)
	v_min_u32_e32 v3, 32, v3
	v_lshlrev_b64_e32 v[4:5], v3, v[4:5]
	v_sub_nc_u32_e32 v3, 32, v3
	s_delay_alu instid0(VALU_DEP_2) | instskip(NEXT) | instid1(VALU_DEP_1)
	v_min_u32_e32 v4, 1, v4
	v_or_b32_e32 v4, v5, v4
	s_delay_alu instid0(VALU_DEP_1) | instskip(NEXT) | instid1(VALU_DEP_1)
	v_cvt_f32_u32_e32 v4, v4
	v_ldexp_f32 v3, v4, v3
	s_delay_alu instid0(VALU_DEP_1) | instskip(NEXT) | instid1(VALU_DEP_1)
	v_bfe_u32 v4, v3, 16, 1
	v_add3_u32 v3, v3, v4, 0x7fff
	s_delay_alu instid0(VALU_DEP_1)
	v_lshrrev_b32_e32 v3, 16, v3
	s_branch .LBB47_546
.LBB47_544:
	s_mov_b32 s22, -1
                                        ; implicit-def: $vgpr3
.LBB47_545:
	s_mov_b32 s25, 0
.LBB47_546:
	s_delay_alu instid0(SALU_CYCLE_1)
	s_and_b32 vcc_lo, exec_lo, s25
	s_cbranch_vccz .LBB47_564
; %bb.547:
	s_cmp_lt_i32 s21, 27
	s_cbranch_scc1 .LBB47_550
; %bb.548:
	s_cmp_gt_i32 s21, 27
	s_cbranch_scc0 .LBB47_551
; %bb.549:
	s_wait_loadcnt 0x0
	global_load_b32 v3, v[0:1], off
	s_mov_b32 s24, 0
	s_wait_loadcnt 0x0
	v_cvt_f32_u32_e32 v3, v3
	s_delay_alu instid0(VALU_DEP_1) | instskip(NEXT) | instid1(VALU_DEP_1)
	v_bfe_u32 v4, v3, 16, 1
	v_add3_u32 v3, v3, v4, 0x7fff
	s_delay_alu instid0(VALU_DEP_1)
	v_lshrrev_b32_e32 v3, 16, v3
	s_branch .LBB47_552
.LBB47_550:
	s_mov_b32 s24, -1
                                        ; implicit-def: $vgpr3
	s_branch .LBB47_555
.LBB47_551:
	s_mov_b32 s24, -1
                                        ; implicit-def: $vgpr3
.LBB47_552:
	s_delay_alu instid0(SALU_CYCLE_1)
	s_and_not1_b32 vcc_lo, exec_lo, s24
	s_cbranch_vccnz .LBB47_554
; %bb.553:
	s_wait_loadcnt 0x0
	global_load_u16 v3, v[0:1], off
	s_wait_loadcnt 0x0
	v_cvt_f32_u32_e32 v3, v3
	s_delay_alu instid0(VALU_DEP_1) | instskip(NEXT) | instid1(VALU_DEP_1)
	v_bfe_u32 v4, v3, 16, 1
	v_add3_u32 v3, v3, v4, 0x7fff
	s_delay_alu instid0(VALU_DEP_1)
	v_lshrrev_b32_e32 v3, 16, v3
.LBB47_554:
	s_mov_b32 s24, 0
.LBB47_555:
	s_delay_alu instid0(SALU_CYCLE_1)
	s_and_not1_b32 vcc_lo, exec_lo, s24
	s_cbranch_vccnz .LBB47_563
; %bb.556:
	s_wait_loadcnt 0x0
	global_load_u8 v3, v[0:1], off
	s_mov_b32 s24, 0
	s_mov_b32 s25, exec_lo
	s_wait_loadcnt 0x0
	v_cmpx_lt_i16_e32 0x7f, v3
	s_xor_b32 s25, exec_lo, s25
	s_cbranch_execz .LBB47_577
; %bb.557:
	s_mov_b32 s24, -1
	s_mov_b32 s26, exec_lo
	v_cmpx_eq_u16_e32 0x80, v3
; %bb.558:
	s_xor_b32 s24, exec_lo, -1
; %bb.559:
	s_or_b32 exec_lo, exec_lo, s26
	s_delay_alu instid0(SALU_CYCLE_1)
	s_and_b32 s24, s24, exec_lo
	s_or_saveexec_b32 s25, s25
	v_mov_b32_e32 v4, 0x7f800001
	s_xor_b32 exec_lo, exec_lo, s25
	s_cbranch_execnz .LBB47_578
.LBB47_560:
	s_or_b32 exec_lo, exec_lo, s25
	s_and_saveexec_b32 s25, s24
	s_cbranch_execz .LBB47_562
.LBB47_561:
	v_and_b32_e32 v4, 0xffff, v3
	s_delay_alu instid0(VALU_DEP_1) | instskip(SKIP_1) | instid1(VALU_DEP_2)
	v_and_b32_e32 v5, 7, v4
	v_bfe_u32 v9, v4, 3, 4
	v_clz_i32_u32_e32 v7, v5
	s_delay_alu instid0(VALU_DEP_2) | instskip(NEXT) | instid1(VALU_DEP_2)
	v_cmp_eq_u32_e32 vcc_lo, 0, v9
	v_min_u32_e32 v7, 32, v7
	s_delay_alu instid0(VALU_DEP_1) | instskip(NEXT) | instid1(VALU_DEP_1)
	v_subrev_nc_u32_e32 v8, 28, v7
	v_dual_lshlrev_b32 v4, v8, v4 :: v_dual_sub_nc_u32 v7, 29, v7
	s_delay_alu instid0(VALU_DEP_1) | instskip(NEXT) | instid1(VALU_DEP_1)
	v_dual_lshlrev_b32 v3, 24, v3 :: v_dual_bitop2_b32 v4, 7, v4 bitop3:0x40
	v_cndmask_b32_e32 v4, v5, v4, vcc_lo
	s_delay_alu instid0(VALU_DEP_3) | instskip(NEXT) | instid1(VALU_DEP_3)
	v_cndmask_b32_e32 v7, v9, v7, vcc_lo
	v_and_b32_e32 v3, 0x80000000, v3
	s_delay_alu instid0(VALU_DEP_3) | instskip(NEXT) | instid1(VALU_DEP_3)
	v_lshlrev_b32_e32 v4, 20, v4
	v_lshl_add_u32 v5, v7, 23, 0x3b800000
	s_delay_alu instid0(VALU_DEP_1)
	v_or3_b32 v4, v3, v5, v4
.LBB47_562:
	s_or_b32 exec_lo, exec_lo, s25
	s_delay_alu instid0(VALU_DEP_1) | instskip(SKIP_1) | instid1(VALU_DEP_2)
	v_bfe_u32 v3, v4, 16, 1
	v_cmp_o_f32_e32 vcc_lo, v4, v4
	v_add3_u32 v3, v4, v3, 0x7fff
	s_delay_alu instid0(VALU_DEP_1) | instskip(NEXT) | instid1(VALU_DEP_1)
	v_lshrrev_b32_e32 v3, 16, v3
	v_cndmask_b32_e32 v3, 0x7fc0, v3, vcc_lo
.LBB47_563:
	s_mov_b32 s24, -1
.LBB47_564:
	s_mov_b32 s25, 0
.LBB47_565:
	s_delay_alu instid0(SALU_CYCLE_1)
	s_and_b32 vcc_lo, exec_lo, s25
	s_cbranch_vccz .LBB47_600
; %bb.566:
	s_cmp_gt_i32 s21, 22
	s_cbranch_scc0 .LBB47_576
; %bb.567:
	s_cmp_lt_i32 s21, 24
	s_cbranch_scc1 .LBB47_579
; %bb.568:
	s_cmp_gt_i32 s21, 24
	s_cbranch_scc0 .LBB47_580
; %bb.569:
	s_wait_loadcnt 0x0
	global_load_u8 v3, v[0:1], off
	s_mov_b32 s24, 0
	s_mov_b32 s25, exec_lo
	s_wait_loadcnt 0x0
	v_cmpx_lt_i16_e32 0x7f, v3
	s_xor_b32 s25, exec_lo, s25
	s_cbranch_execz .LBB47_592
; %bb.570:
	s_mov_b32 s24, -1
	s_mov_b32 s26, exec_lo
	v_cmpx_eq_u16_e32 0x80, v3
; %bb.571:
	s_xor_b32 s24, exec_lo, -1
; %bb.572:
	s_or_b32 exec_lo, exec_lo, s26
	s_delay_alu instid0(SALU_CYCLE_1)
	s_and_b32 s24, s24, exec_lo
	s_or_saveexec_b32 s25, s25
	v_mov_b32_e32 v4, 0x7f800001
	s_xor_b32 exec_lo, exec_lo, s25
	s_cbranch_execnz .LBB47_593
.LBB47_573:
	s_or_b32 exec_lo, exec_lo, s25
	s_and_saveexec_b32 s25, s24
	s_cbranch_execz .LBB47_575
.LBB47_574:
	v_and_b32_e32 v4, 0xffff, v3
	s_delay_alu instid0(VALU_DEP_1) | instskip(SKIP_1) | instid1(VALU_DEP_2)
	v_and_b32_e32 v5, 3, v4
	v_bfe_u32 v9, v4, 2, 5
	v_clz_i32_u32_e32 v7, v5
	s_delay_alu instid0(VALU_DEP_2) | instskip(NEXT) | instid1(VALU_DEP_2)
	v_cmp_eq_u32_e32 vcc_lo, 0, v9
	v_min_u32_e32 v7, 32, v7
	s_delay_alu instid0(VALU_DEP_1) | instskip(NEXT) | instid1(VALU_DEP_1)
	v_subrev_nc_u32_e32 v8, 29, v7
	v_dual_lshlrev_b32 v4, v8, v4 :: v_dual_sub_nc_u32 v7, 30, v7
	s_delay_alu instid0(VALU_DEP_1) | instskip(NEXT) | instid1(VALU_DEP_1)
	v_dual_lshlrev_b32 v3, 24, v3 :: v_dual_bitop2_b32 v4, 3, v4 bitop3:0x40
	v_cndmask_b32_e32 v4, v5, v4, vcc_lo
	s_delay_alu instid0(VALU_DEP_3) | instskip(NEXT) | instid1(VALU_DEP_3)
	v_cndmask_b32_e32 v7, v9, v7, vcc_lo
	v_and_b32_e32 v3, 0x80000000, v3
	s_delay_alu instid0(VALU_DEP_3) | instskip(NEXT) | instid1(VALU_DEP_3)
	v_lshlrev_b32_e32 v4, 21, v4
	v_lshl_add_u32 v5, v7, 23, 0x37800000
	s_delay_alu instid0(VALU_DEP_1)
	v_or3_b32 v4, v3, v5, v4
.LBB47_575:
	s_or_b32 exec_lo, exec_lo, s25
	s_delay_alu instid0(VALU_DEP_1) | instskip(SKIP_2) | instid1(VALU_DEP_2)
	v_bfe_u32 v3, v4, 16, 1
	v_cmp_o_f32_e32 vcc_lo, v4, v4
	s_mov_b32 s24, 0
	v_add3_u32 v3, v4, v3, 0x7fff
	s_delay_alu instid0(VALU_DEP_1) | instskip(NEXT) | instid1(VALU_DEP_1)
	v_lshrrev_b32_e32 v3, 16, v3
	v_cndmask_b32_e32 v3, 0x7fc0, v3, vcc_lo
	s_branch .LBB47_581
.LBB47_576:
	s_mov_b32 s25, -1
                                        ; implicit-def: $vgpr3
	s_branch .LBB47_587
.LBB47_577:
	s_or_saveexec_b32 s25, s25
	v_mov_b32_e32 v4, 0x7f800001
	s_xor_b32 exec_lo, exec_lo, s25
	s_cbranch_execz .LBB47_560
.LBB47_578:
	v_cmp_ne_u16_e32 vcc_lo, 0, v3
	v_mov_b32_e32 v4, 0
	s_and_not1_b32 s24, s24, exec_lo
	s_and_b32 s26, vcc_lo, exec_lo
	s_delay_alu instid0(SALU_CYCLE_1)
	s_or_b32 s24, s24, s26
	s_or_b32 exec_lo, exec_lo, s25
	s_and_saveexec_b32 s25, s24
	s_cbranch_execnz .LBB47_561
	s_branch .LBB47_562
.LBB47_579:
	s_mov_b32 s24, -1
                                        ; implicit-def: $vgpr3
	s_branch .LBB47_584
.LBB47_580:
	s_mov_b32 s24, -1
                                        ; implicit-def: $vgpr3
.LBB47_581:
	s_delay_alu instid0(SALU_CYCLE_1)
	s_and_b32 vcc_lo, exec_lo, s24
	s_cbranch_vccz .LBB47_583
; %bb.582:
	s_wait_loadcnt 0x0
	global_load_u8 v3, v[0:1], off
	s_wait_loadcnt 0x0
	v_lshlrev_b32_e32 v3, 24, v3
	s_delay_alu instid0(VALU_DEP_1) | instskip(NEXT) | instid1(VALU_DEP_1)
	v_and_b32_e32 v4, 0x7f000000, v3
	v_clz_i32_u32_e32 v5, v4
	v_add_nc_u32_e32 v8, 0x1000000, v4
	v_cmp_ne_u32_e32 vcc_lo, 0, v4
	s_delay_alu instid0(VALU_DEP_3) | instskip(NEXT) | instid1(VALU_DEP_1)
	v_min_u32_e32 v5, 32, v5
	v_sub_nc_u32_e64 v5, v5, 4 clamp
	s_delay_alu instid0(VALU_DEP_1) | instskip(NEXT) | instid1(VALU_DEP_1)
	v_dual_lshlrev_b32 v7, v5, v4 :: v_dual_lshlrev_b32 v5, 23, v5
	v_lshrrev_b32_e32 v7, 4, v7
	s_delay_alu instid0(VALU_DEP_1) | instskip(NEXT) | instid1(VALU_DEP_1)
	v_dual_sub_nc_u32 v5, v7, v5 :: v_dual_ashrrev_i32 v7, 8, v8
	v_add_nc_u32_e32 v5, 0x3c000000, v5
	s_delay_alu instid0(VALU_DEP_1) | instskip(NEXT) | instid1(VALU_DEP_1)
	v_and_or_b32 v5, 0x7f800000, v7, v5
	v_cndmask_b32_e32 v4, 0, v5, vcc_lo
	s_delay_alu instid0(VALU_DEP_1) | instskip(SKIP_1) | instid1(VALU_DEP_2)
	v_and_or_b32 v3, 0x80000000, v3, v4
	v_bfe_u32 v4, v4, 16, 1
	v_cmp_o_f32_e32 vcc_lo, v3, v3
	s_delay_alu instid0(VALU_DEP_2) | instskip(NEXT) | instid1(VALU_DEP_1)
	v_add3_u32 v4, v3, v4, 0x7fff
	v_lshrrev_b32_e32 v4, 16, v4
	s_delay_alu instid0(VALU_DEP_1)
	v_cndmask_b32_e32 v3, 0x7fc0, v4, vcc_lo
.LBB47_583:
	s_mov_b32 s24, 0
.LBB47_584:
	s_delay_alu instid0(SALU_CYCLE_1)
	s_and_not1_b32 vcc_lo, exec_lo, s24
	s_cbranch_vccnz .LBB47_586
; %bb.585:
	s_wait_loadcnt 0x0
	global_load_u8 v3, v[0:1], off
	s_wait_loadcnt 0x0
	v_lshlrev_b32_e32 v4, 25, v3
	v_lshlrev_b16 v3, 8, v3
	s_delay_alu instid0(VALU_DEP_1) | instskip(NEXT) | instid1(VALU_DEP_3)
	v_and_or_b32 v7, 0x7f00, v3, 0.5
	v_lshrrev_b32_e32 v5, 4, v4
	v_bfe_i32 v3, v3, 0, 16
	s_delay_alu instid0(VALU_DEP_3) | instskip(NEXT) | instid1(VALU_DEP_3)
	v_add_f32_e32 v7, -0.5, v7
	v_or_b32_e32 v5, 0x70000000, v5
	s_delay_alu instid0(VALU_DEP_1) | instskip(SKIP_1) | instid1(VALU_DEP_2)
	v_mul_f32_e32 v5, 0x7800000, v5
	v_cmp_gt_u32_e32 vcc_lo, 0x8000000, v4
	v_cndmask_b32_e32 v4, v5, v7, vcc_lo
	s_delay_alu instid0(VALU_DEP_1) | instskip(SKIP_1) | instid1(VALU_DEP_2)
	v_and_or_b32 v3, 0x80000000, v3, v4
	v_bfe_u32 v4, v4, 16, 1
	v_cmp_o_f32_e32 vcc_lo, v3, v3
	s_delay_alu instid0(VALU_DEP_2) | instskip(NEXT) | instid1(VALU_DEP_1)
	v_add3_u32 v4, v3, v4, 0x7fff
	v_lshrrev_b32_e32 v4, 16, v4
	s_delay_alu instid0(VALU_DEP_1)
	v_cndmask_b32_e32 v3, 0x7fc0, v4, vcc_lo
.LBB47_586:
	s_mov_b32 s25, 0
	s_mov_b32 s24, -1
.LBB47_587:
	s_and_not1_b32 vcc_lo, exec_lo, s25
	s_cbranch_vccnz .LBB47_600
; %bb.588:
	s_cmp_gt_i32 s21, 14
	s_cbranch_scc0 .LBB47_591
; %bb.589:
	s_cmp_eq_u32 s21, 15
	s_cbranch_scc0 .LBB47_594
; %bb.590:
	s_wait_loadcnt 0x0
	global_load_u16 v3, v[0:1], off
	s_mov_b32 s24, -1
	s_mov_b32 s22, 0
	s_branch .LBB47_595
.LBB47_591:
	s_mov_b32 s25, -1
                                        ; implicit-def: $vgpr3
	s_branch .LBB47_596
.LBB47_592:
	s_or_saveexec_b32 s25, s25
	v_mov_b32_e32 v4, 0x7f800001
	s_xor_b32 exec_lo, exec_lo, s25
	s_cbranch_execz .LBB47_573
.LBB47_593:
	v_cmp_ne_u16_e32 vcc_lo, 0, v3
	v_mov_b32_e32 v4, 0
	s_and_not1_b32 s24, s24, exec_lo
	s_and_b32 s26, vcc_lo, exec_lo
	s_delay_alu instid0(SALU_CYCLE_1)
	s_or_b32 s24, s24, s26
	s_or_b32 exec_lo, exec_lo, s25
	s_and_saveexec_b32 s25, s24
	s_cbranch_execnz .LBB47_574
	s_branch .LBB47_575
.LBB47_594:
	s_mov_b32 s22, -1
                                        ; implicit-def: $vgpr3
.LBB47_595:
	s_mov_b32 s25, 0
.LBB47_596:
	s_delay_alu instid0(SALU_CYCLE_1)
	s_and_b32 vcc_lo, exec_lo, s25
	s_cbranch_vccz .LBB47_600
; %bb.597:
	s_cmp_eq_u32 s21, 11
	s_cbranch_scc0 .LBB47_599
; %bb.598:
	s_wait_loadcnt 0x0
	global_load_u8 v3, v[0:1], off
	s_mov_b32 s22, 0
	s_mov_b32 s24, -1
	s_wait_loadcnt 0x0
	v_cmp_ne_u16_e32 vcc_lo, 0, v3
	v_cndmask_b32_e64 v3, 0, 1.0, vcc_lo
	s_delay_alu instid0(VALU_DEP_1)
	v_lshrrev_b32_e32 v3, 16, v3
	s_branch .LBB47_600
.LBB47_599:
	s_mov_b32 s22, -1
                                        ; implicit-def: $vgpr3
.LBB47_600:
	s_mov_b32 s21, 0
.LBB47_601:
	s_delay_alu instid0(SALU_CYCLE_1)
	s_and_b32 vcc_lo, exec_lo, s21
	s_cbranch_vccz .LBB47_650
; %bb.602:
	s_and_b32 s0, 0xffff, s0
	s_delay_alu instid0(SALU_CYCLE_1)
	s_cmp_lt_i32 s0, 5
	s_cbranch_scc1 .LBB47_607
; %bb.603:
	s_cmp_lt_i32 s0, 8
	s_cbranch_scc1 .LBB47_608
; %bb.604:
	s_cmp_lt_i32 s0, 9
	s_cbranch_scc1 .LBB47_609
; %bb.605:
	s_cmp_gt_i32 s0, 9
	s_cbranch_scc0 .LBB47_610
; %bb.606:
	global_load_b64 v[4:5], v[0:1], off
	s_mov_b32 s21, 0
	s_wait_loadcnt 0x0
	v_cvt_f32_f64_e32 v3, v[4:5]
	s_delay_alu instid0(VALU_DEP_1) | instskip(SKIP_1) | instid1(VALU_DEP_2)
	v_bfe_u32 v4, v3, 16, 1
	v_cmp_o_f32_e32 vcc_lo, v3, v3
	v_add3_u32 v4, v3, v4, 0x7fff
	s_delay_alu instid0(VALU_DEP_1) | instskip(NEXT) | instid1(VALU_DEP_1)
	v_lshrrev_b32_e32 v4, 16, v4
	v_cndmask_b32_e32 v3, 0x7fc0, v4, vcc_lo
	s_branch .LBB47_611
.LBB47_607:
	s_mov_b32 s21, -1
                                        ; implicit-def: $vgpr3
	s_branch .LBB47_629
.LBB47_608:
	s_mov_b32 s21, -1
                                        ; implicit-def: $vgpr3
	s_branch .LBB47_617
.LBB47_609:
	s_mov_b32 s21, -1
                                        ; implicit-def: $vgpr3
	s_branch .LBB47_614
.LBB47_610:
	s_mov_b32 s21, -1
                                        ; implicit-def: $vgpr3
.LBB47_611:
	s_delay_alu instid0(SALU_CYCLE_1)
	s_and_not1_b32 vcc_lo, exec_lo, s21
	s_cbranch_vccnz .LBB47_613
; %bb.612:
	s_wait_loadcnt 0x0
	global_load_b32 v3, v[0:1], off
	s_wait_loadcnt 0x0
	v_bfe_u32 v4, v3, 16, 1
	v_cmp_o_f32_e32 vcc_lo, v3, v3
	s_delay_alu instid0(VALU_DEP_2) | instskip(NEXT) | instid1(VALU_DEP_1)
	v_add3_u32 v4, v3, v4, 0x7fff
	v_lshrrev_b32_e32 v4, 16, v4
	s_delay_alu instid0(VALU_DEP_1)
	v_cndmask_b32_e32 v3, 0x7fc0, v4, vcc_lo
.LBB47_613:
	s_mov_b32 s21, 0
.LBB47_614:
	s_delay_alu instid0(SALU_CYCLE_1)
	s_and_not1_b32 vcc_lo, exec_lo, s21
	s_cbranch_vccnz .LBB47_616
; %bb.615:
	s_wait_loadcnt 0x0
	global_load_b32 v3, v[0:1], off
	s_wait_loadcnt 0x0
	v_cvt_f32_f16_e32 v4, v3
	v_cmp_o_f16_e32 vcc_lo, v3, v3
	s_delay_alu instid0(VALU_DEP_2) | instskip(NEXT) | instid1(VALU_DEP_1)
	v_bfe_u32 v5, v4, 16, 1
	v_add3_u32 v4, v4, v5, 0x7fff
	s_delay_alu instid0(VALU_DEP_1) | instskip(NEXT) | instid1(VALU_DEP_1)
	v_lshrrev_b32_e32 v4, 16, v4
	v_cndmask_b32_e32 v3, 0x7fc0, v4, vcc_lo
.LBB47_616:
	s_mov_b32 s21, 0
.LBB47_617:
	s_delay_alu instid0(SALU_CYCLE_1)
	s_and_not1_b32 vcc_lo, exec_lo, s21
	s_cbranch_vccnz .LBB47_628
; %bb.618:
	s_cmp_lt_i32 s0, 6
	s_cbranch_scc1 .LBB47_621
; %bb.619:
	s_cmp_gt_i32 s0, 6
	s_cbranch_scc0 .LBB47_622
; %bb.620:
	global_load_b64 v[4:5], v[0:1], off
	s_mov_b32 s21, 0
	s_wait_loadcnt 0x0
	v_cvt_f32_f64_e32 v3, v[4:5]
	s_delay_alu instid0(VALU_DEP_1) | instskip(SKIP_1) | instid1(VALU_DEP_2)
	v_bfe_u32 v4, v3, 16, 1
	v_cmp_o_f32_e32 vcc_lo, v3, v3
	v_add3_u32 v4, v3, v4, 0x7fff
	s_delay_alu instid0(VALU_DEP_1) | instskip(NEXT) | instid1(VALU_DEP_1)
	v_lshrrev_b32_e32 v4, 16, v4
	v_cndmask_b32_e32 v3, 0x7fc0, v4, vcc_lo
	s_branch .LBB47_623
.LBB47_621:
	s_mov_b32 s21, -1
                                        ; implicit-def: $vgpr3
	s_branch .LBB47_626
.LBB47_622:
	s_mov_b32 s21, -1
                                        ; implicit-def: $vgpr3
.LBB47_623:
	s_delay_alu instid0(SALU_CYCLE_1)
	s_and_not1_b32 vcc_lo, exec_lo, s21
	s_cbranch_vccnz .LBB47_625
; %bb.624:
	s_wait_loadcnt 0x0
	global_load_b32 v3, v[0:1], off
	s_wait_loadcnt 0x0
	v_bfe_u32 v4, v3, 16, 1
	v_cmp_o_f32_e32 vcc_lo, v3, v3
	s_delay_alu instid0(VALU_DEP_2) | instskip(NEXT) | instid1(VALU_DEP_1)
	v_add3_u32 v4, v3, v4, 0x7fff
	v_lshrrev_b32_e32 v4, 16, v4
	s_delay_alu instid0(VALU_DEP_1)
	v_cndmask_b32_e32 v3, 0x7fc0, v4, vcc_lo
.LBB47_625:
	s_mov_b32 s21, 0
.LBB47_626:
	s_delay_alu instid0(SALU_CYCLE_1)
	s_and_not1_b32 vcc_lo, exec_lo, s21
	s_cbranch_vccnz .LBB47_628
; %bb.627:
	s_wait_loadcnt 0x0
	global_load_u16 v3, v[0:1], off
	s_wait_loadcnt 0x0
	v_cvt_f32_f16_e32 v4, v3
	v_cmp_o_f16_e32 vcc_lo, v3, v3
	s_delay_alu instid0(VALU_DEP_2) | instskip(NEXT) | instid1(VALU_DEP_1)
	v_bfe_u32 v5, v4, 16, 1
	v_add3_u32 v4, v4, v5, 0x7fff
	s_delay_alu instid0(VALU_DEP_1) | instskip(NEXT) | instid1(VALU_DEP_1)
	v_lshrrev_b32_e32 v4, 16, v4
	v_cndmask_b32_e32 v3, 0x7fc0, v4, vcc_lo
.LBB47_628:
	s_mov_b32 s21, 0
.LBB47_629:
	s_delay_alu instid0(SALU_CYCLE_1)
	s_and_not1_b32 vcc_lo, exec_lo, s21
	s_cbranch_vccnz .LBB47_649
; %bb.630:
	s_cmp_lt_i32 s0, 2
	s_cbranch_scc1 .LBB47_634
; %bb.631:
	s_cmp_lt_i32 s0, 3
	s_cbranch_scc1 .LBB47_635
; %bb.632:
	s_cmp_gt_i32 s0, 3
	s_cbranch_scc0 .LBB47_636
; %bb.633:
	global_load_b64 v[4:5], v[0:1], off
	s_mov_b32 s21, 0
	s_wait_loadcnt 0x0
	v_xor_b32_e32 v3, v4, v5
	v_cls_i32_e32 v7, v5
	s_delay_alu instid0(VALU_DEP_2) | instskip(NEXT) | instid1(VALU_DEP_1)
	v_ashrrev_i32_e32 v3, 31, v3
	v_add_nc_u32_e32 v3, 32, v3
	s_delay_alu instid0(VALU_DEP_1) | instskip(NEXT) | instid1(VALU_DEP_1)
	v_add_min_u32_e64 v3, v7, -1, v3
	v_lshlrev_b64_e32 v[4:5], v3, v[4:5]
	v_sub_nc_u32_e32 v3, 32, v3
	s_delay_alu instid0(VALU_DEP_2) | instskip(NEXT) | instid1(VALU_DEP_1)
	v_min_u32_e32 v4, 1, v4
	v_or_b32_e32 v4, v5, v4
	s_delay_alu instid0(VALU_DEP_1) | instskip(NEXT) | instid1(VALU_DEP_1)
	v_cvt_f32_i32_e32 v4, v4
	v_ldexp_f32 v3, v4, v3
	s_delay_alu instid0(VALU_DEP_1) | instskip(NEXT) | instid1(VALU_DEP_1)
	v_bfe_u32 v4, v3, 16, 1
	v_add3_u32 v3, v3, v4, 0x7fff
	s_delay_alu instid0(VALU_DEP_1)
	v_lshrrev_b32_e32 v3, 16, v3
	s_branch .LBB47_637
.LBB47_634:
	s_mov_b32 s21, -1
                                        ; implicit-def: $vgpr3
	s_branch .LBB47_643
.LBB47_635:
	s_mov_b32 s21, -1
                                        ; implicit-def: $vgpr3
	s_branch .LBB47_640
.LBB47_636:
	s_mov_b32 s21, -1
                                        ; implicit-def: $vgpr3
.LBB47_637:
	s_delay_alu instid0(SALU_CYCLE_1)
	s_and_not1_b32 vcc_lo, exec_lo, s21
	s_cbranch_vccnz .LBB47_639
; %bb.638:
	s_wait_loadcnt 0x0
	global_load_b32 v3, v[0:1], off
	s_wait_loadcnt 0x0
	v_cvt_f32_i32_e32 v3, v3
	s_delay_alu instid0(VALU_DEP_1) | instskip(NEXT) | instid1(VALU_DEP_1)
	v_bfe_u32 v4, v3, 16, 1
	v_add3_u32 v3, v3, v4, 0x7fff
	s_delay_alu instid0(VALU_DEP_1)
	v_lshrrev_b32_e32 v3, 16, v3
.LBB47_639:
	s_mov_b32 s21, 0
.LBB47_640:
	s_delay_alu instid0(SALU_CYCLE_1)
	s_and_not1_b32 vcc_lo, exec_lo, s21
	s_cbranch_vccnz .LBB47_642
; %bb.641:
	s_wait_loadcnt 0x0
	global_load_i16 v3, v[0:1], off
	s_wait_loadcnt 0x0
	v_cvt_f32_i32_e32 v3, v3
	s_delay_alu instid0(VALU_DEP_1) | instskip(NEXT) | instid1(VALU_DEP_1)
	v_bfe_u32 v4, v3, 16, 1
	v_add3_u32 v3, v3, v4, 0x7fff
	s_delay_alu instid0(VALU_DEP_1)
	v_lshrrev_b32_e32 v3, 16, v3
.LBB47_642:
	s_mov_b32 s21, 0
.LBB47_643:
	s_delay_alu instid0(SALU_CYCLE_1)
	s_and_not1_b32 vcc_lo, exec_lo, s21
	s_cbranch_vccnz .LBB47_649
; %bb.644:
	s_cmp_gt_i32 s0, 0
	s_mov_b32 s0, 0
	s_cbranch_scc0 .LBB47_646
; %bb.645:
	s_wait_loadcnt 0x0
	global_load_i8 v3, v[0:1], off
	s_wait_loadcnt 0x0
	v_cvt_f32_i32_e32 v3, v3
	s_delay_alu instid0(VALU_DEP_1) | instskip(NEXT) | instid1(VALU_DEP_1)
	v_bfe_u32 v4, v3, 16, 1
	v_add3_u32 v3, v3, v4, 0x7fff
	s_delay_alu instid0(VALU_DEP_1)
	v_lshrrev_b32_e32 v3, 16, v3
	s_branch .LBB47_647
.LBB47_646:
	s_mov_b32 s0, -1
                                        ; implicit-def: $vgpr3
.LBB47_647:
	s_delay_alu instid0(SALU_CYCLE_1)
	s_and_not1_b32 vcc_lo, exec_lo, s0
	s_cbranch_vccnz .LBB47_649
; %bb.648:
	global_load_u8 v0, v[0:1], off
	s_wait_loadcnt 0x0
	v_cvt_f32_ubyte0_e32 v0, v0
	s_delay_alu instid0(VALU_DEP_1) | instskip(NEXT) | instid1(VALU_DEP_1)
	v_bfe_u32 v1, v0, 16, 1
	v_add3_u32 v0, v0, v1, 0x7fff
	s_delay_alu instid0(VALU_DEP_1)
	v_lshrrev_b32_e32 v3, 16, v0
.LBB47_649:
	s_mov_b32 s24, -1
.LBB47_650:
	s_delay_alu instid0(SALU_CYCLE_1)
	s_and_not1_b32 vcc_lo, exec_lo, s24
	s_cbranch_vccnz .LBB47_660
; %bb.651:
	s_wait_loadcnt 0x0
	v_lshlrev_b32_e32 v0, 16, v2
	s_mov_b32 s0, exec_lo
	s_delay_alu instid0(VALU_DEP_1)
	v_cmpx_nlt_f32_e32 0, v0
	s_cbranch_execz .LBB47_653
; %bb.652:
	v_lshlrev_b32_e32 v1, 16, v3
	s_delay_alu instid0(VALU_DEP_1) | instskip(NEXT) | instid1(VALU_DEP_1)
	v_mul_f32_e32 v0, v0, v1
	v_bfe_u32 v1, v0, 16, 1
	s_delay_alu instid0(VALU_DEP_1) | instskip(NEXT) | instid1(VALU_DEP_1)
	v_add3_u32 v1, v0, v1, 0x7fff
	v_lshrrev_b32_e32 v1, 16, v1
	v_cmp_o_f32_e32 vcc_lo, v0, v0
	s_delay_alu instid0(VALU_DEP_2)
	v_cndmask_b32_e32 v2, 0x7fc0, v1, vcc_lo
.LBB47_653:
	s_or_b32 exec_lo, exec_lo, s0
	v_mul_lo_u32 v0, v6, s8
	s_and_b32 s21, s11, 0xff
	s_delay_alu instid0(SALU_CYCLE_1) | instskip(NEXT) | instid1(VALU_DEP_1)
	s_cmp_lt_i32 s21, 11
	v_ashrrev_i32_e32 v1, 31, v0
	s_delay_alu instid0(VALU_DEP_1)
	v_add_nc_u64_e32 v[0:1], s[4:5], v[0:1]
	s_cbranch_scc1 .LBB47_661
; %bb.654:
	s_and_b32 s24, 0xffff, s21
	s_delay_alu instid0(SALU_CYCLE_1)
	s_cmp_gt_i32 s24, 25
	s_cbranch_scc0 .LBB47_662
; %bb.655:
	s_cmp_gt_i32 s24, 28
	s_cbranch_scc0 .LBB47_663
; %bb.656:
	;; [unrolled: 3-line block ×4, first 2 shown]
	s_mov_b32 s26, 0
	s_mov_b32 s0, -1
	s_cmp_eq_u32 s24, 46
	s_mov_b32 s25, 0
	s_cbranch_scc0 .LBB47_666
; %bb.659:
	v_and_b32_e32 v3, 0xffff, v2
	s_mov_b32 s25, -1
	s_mov_b32 s0, 0
	global_store_b32 v[0:1], v3, off
	s_branch .LBB47_666
.LBB47_660:
	s_mov_b32 s24, 0
	s_mov_b32 s0, s15
	s_branch .LBB47_777
.LBB47_661:
	s_mov_b32 s24, -1
	s_mov_b32 s25, 0
	s_mov_b32 s0, s15
	s_branch .LBB47_735
.LBB47_662:
	s_mov_b32 s26, -1
	s_mov_b32 s25, 0
	s_mov_b32 s0, s15
	s_branch .LBB47_693
.LBB47_663:
	s_mov_b32 s26, -1
	s_mov_b32 s25, 0
	s_mov_b32 s0, s15
	s_branch .LBB47_676
.LBB47_664:
	s_mov_b32 s26, -1
	s_mov_b32 s25, 0
	s_mov_b32 s0, s15
	s_branch .LBB47_672
.LBB47_665:
	s_mov_b32 s26, -1
	s_mov_b32 s25, 0
	s_mov_b32 s0, s15
.LBB47_666:
	s_and_b32 vcc_lo, exec_lo, s26
	s_cbranch_vccz .LBB47_671
; %bb.667:
	s_cmp_eq_u32 s24, 44
	s_mov_b32 s0, -1
	s_cbranch_scc0 .LBB47_671
; %bb.668:
	s_wait_xcnt 0x0
	v_and_b32_e32 v3, 0xffff, v2
	v_mov_b32_e32 v4, 0xff
	s_mov_b32 s25, exec_lo
	s_delay_alu instid0(VALU_DEP_2) | instskip(NEXT) | instid1(VALU_DEP_1)
	v_bfe_u32 v5, v3, 7, 8
	v_cmpx_ne_u32_e32 0xff, v5
	s_cbranch_execz .LBB47_670
; %bb.669:
	v_dual_lshlrev_b32 v4, 16, v3 :: v_dual_bitop2_b32 v7, 64, v3 bitop3:0x40
	v_lshrrev_b32_e32 v3, 7, v3
	s_delay_alu instid0(VALU_DEP_2) | instskip(NEXT) | instid1(VALU_DEP_3)
	v_and_or_b32 v4, 0x3f0000, v4, v5
	v_cmp_ne_u32_e32 vcc_lo, 0, v7
	s_delay_alu instid0(VALU_DEP_2) | instskip(SKIP_1) | instid1(SALU_CYCLE_1)
	v_cmp_ne_u32_e64 s0, 0, v4
	s_and_b32 s0, vcc_lo, s0
	v_cndmask_b32_e64 v4, 0, 1, s0
	s_delay_alu instid0(VALU_DEP_1)
	v_add_nc_u32_e32 v4, v3, v4
.LBB47_670:
	s_or_b32 exec_lo, exec_lo, s25
	s_mov_b32 s25, -1
	s_mov_b32 s0, 0
	global_store_b8 v[0:1], v4, off
.LBB47_671:
	s_mov_b32 s26, 0
.LBB47_672:
	s_delay_alu instid0(SALU_CYCLE_1)
	s_and_b32 vcc_lo, exec_lo, s26
	s_cbranch_vccz .LBB47_675
; %bb.673:
	s_cmp_eq_u32 s24, 29
	s_mov_b32 s0, -1
	s_cbranch_scc0 .LBB47_675
; %bb.674:
	s_wait_xcnt 0x0
	v_lshlrev_b32_e32 v3, 16, v2
	s_mov_b32 s25, -1
	s_mov_b32 s0, 0
	s_mov_b32 s26, 0
	s_delay_alu instid0(VALU_DEP_1) | instskip(NEXT) | instid1(VALU_DEP_1)
	v_trunc_f32_e32 v3, v3
	v_mul_f32_e32 v4, 0x2f800000, v3
	s_delay_alu instid0(VALU_DEP_1) | instskip(NEXT) | instid1(VALU_DEP_1)
	v_floor_f32_e32 v4, v4
	v_fmamk_f32 v3, v4, 0xcf800000, v3
	v_cvt_u32_f32_e32 v5, v4
	s_delay_alu instid0(VALU_DEP_2)
	v_cvt_u32_f32_e32 v4, v3
	global_store_b64 v[0:1], v[4:5], off
	s_branch .LBB47_676
.LBB47_675:
	s_mov_b32 s26, 0
.LBB47_676:
	s_delay_alu instid0(SALU_CYCLE_1)
	s_and_b32 vcc_lo, exec_lo, s26
	s_cbranch_vccz .LBB47_692
; %bb.677:
	s_cmp_lt_i32 s24, 27
	s_mov_b32 s25, -1
	s_cbranch_scc1 .LBB47_683
; %bb.678:
	s_cmp_gt_i32 s24, 27
	s_cbranch_scc0 .LBB47_680
; %bb.679:
	s_wait_xcnt 0x0
	v_lshlrev_b32_e32 v3, 16, v2
	s_mov_b32 s25, 0
	s_delay_alu instid0(VALU_DEP_1)
	v_cvt_u32_f32_e32 v3, v3
	global_store_b32 v[0:1], v3, off
.LBB47_680:
	s_and_not1_b32 vcc_lo, exec_lo, s25
	s_cbranch_vccnz .LBB47_682
; %bb.681:
	s_wait_xcnt 0x0
	v_lshlrev_b32_e32 v3, 16, v2
	s_delay_alu instid0(VALU_DEP_1)
	v_cvt_u32_f32_e32 v3, v3
	global_store_b16 v[0:1], v3, off
.LBB47_682:
	s_mov_b32 s25, 0
.LBB47_683:
	s_delay_alu instid0(SALU_CYCLE_1)
	s_and_not1_b32 vcc_lo, exec_lo, s25
	s_cbranch_vccnz .LBB47_691
; %bb.684:
	s_wait_xcnt 0x0
	v_lshlrev_b32_e32 v5, 16, v2
	v_mov_b32_e32 v7, 0x80
	s_mov_b32 s25, exec_lo
	s_delay_alu instid0(VALU_DEP_2) | instskip(NEXT) | instid1(VALU_DEP_1)
	v_and_b32_e32 v4, 0x7fffffff, v5
	v_cmpx_gt_u32_e32 0x43800000, v4
	s_cbranch_execz .LBB47_690
; %bb.685:
	v_and_b32_e32 v3, 0xffff, v2
	v_cmp_lt_u32_e32 vcc_lo, 0x3bffffff, v4
	s_mov_b32 s26, 0
                                        ; implicit-def: $vgpr4
	s_and_saveexec_b32 s27, vcc_lo
	s_delay_alu instid0(SALU_CYCLE_1)
	s_xor_b32 s27, exec_lo, s27
	s_cbranch_execz .LBB47_793
; %bb.686:
	v_bfe_u32 v4, v3, 4, 1
	s_mov_b32 s26, exec_lo
	s_delay_alu instid0(VALU_DEP_1) | instskip(NEXT) | instid1(VALU_DEP_1)
	v_add3_u32 v4, v5, v4, 0x487ffff
                                        ; implicit-def: $vgpr5
	v_lshrrev_b32_e32 v4, 20, v4
	s_and_not1_saveexec_b32 s27, s27
	s_cbranch_execnz .LBB47_794
.LBB47_687:
	s_or_b32 exec_lo, exec_lo, s27
	v_mov_b32_e32 v7, 0
	s_and_saveexec_b32 s27, s26
.LBB47_688:
	v_lshrrev_b32_e32 v3, 8, v3
	s_delay_alu instid0(VALU_DEP_1)
	v_and_or_b32 v7, 0x80, v3, v4
.LBB47_689:
	s_or_b32 exec_lo, exec_lo, s27
.LBB47_690:
	s_delay_alu instid0(SALU_CYCLE_1)
	s_or_b32 exec_lo, exec_lo, s25
	global_store_b8 v[0:1], v7, off
.LBB47_691:
	s_mov_b32 s25, -1
.LBB47_692:
	s_mov_b32 s26, 0
.LBB47_693:
	s_delay_alu instid0(SALU_CYCLE_1)
	s_and_b32 vcc_lo, exec_lo, s26
	s_cbranch_vccz .LBB47_734
; %bb.694:
	s_cmp_gt_i32 s24, 22
	s_mov_b32 s26, -1
	s_cbranch_scc0 .LBB47_726
; %bb.695:
	s_cmp_lt_i32 s24, 24
	s_mov_b32 s25, -1
	s_cbranch_scc1 .LBB47_715
; %bb.696:
	s_cmp_gt_i32 s24, 24
	s_cbranch_scc0 .LBB47_704
; %bb.697:
	s_wait_xcnt 0x0
	v_lshlrev_b32_e32 v5, 16, v2
	v_mov_b32_e32 v7, 0x80
	s_mov_b32 s25, exec_lo
	s_delay_alu instid0(VALU_DEP_2) | instskip(NEXT) | instid1(VALU_DEP_1)
	v_and_b32_e32 v4, 0x7fffffff, v5
	v_cmpx_gt_u32_e32 0x47800000, v4
	s_cbranch_execz .LBB47_703
; %bb.698:
	v_and_b32_e32 v3, 0xffff, v2
	v_cmp_lt_u32_e32 vcc_lo, 0x37ffffff, v4
	s_mov_b32 s26, 0
                                        ; implicit-def: $vgpr4
	s_and_saveexec_b32 s27, vcc_lo
	s_delay_alu instid0(SALU_CYCLE_1)
	s_xor_b32 s27, exec_lo, s27
	s_cbranch_execz .LBB47_925
; %bb.699:
	v_bfe_u32 v4, v3, 5, 1
	s_mov_b32 s26, exec_lo
	s_delay_alu instid0(VALU_DEP_1) | instskip(NEXT) | instid1(VALU_DEP_1)
	v_add3_u32 v4, v5, v4, 0x88fffff
                                        ; implicit-def: $vgpr5
	v_lshrrev_b32_e32 v4, 21, v4
	s_and_not1_saveexec_b32 s27, s27
	s_cbranch_execnz .LBB47_926
.LBB47_700:
	s_or_b32 exec_lo, exec_lo, s27
	v_mov_b32_e32 v7, 0
	s_and_saveexec_b32 s27, s26
.LBB47_701:
	v_lshrrev_b32_e32 v3, 8, v3
	s_delay_alu instid0(VALU_DEP_1)
	v_and_or_b32 v7, 0x80, v3, v4
.LBB47_702:
	s_or_b32 exec_lo, exec_lo, s27
.LBB47_703:
	s_delay_alu instid0(SALU_CYCLE_1)
	s_or_b32 exec_lo, exec_lo, s25
	s_mov_b32 s25, 0
	global_store_b8 v[0:1], v7, off
.LBB47_704:
	s_and_b32 vcc_lo, exec_lo, s25
	s_cbranch_vccz .LBB47_714
; %bb.705:
	s_wait_xcnt 0x0
	v_lshlrev_b32_e32 v5, 16, v2
	v_and_b32_e32 v3, 0xffff, v2
	s_mov_b32 s25, exec_lo
                                        ; implicit-def: $vgpr4
	s_delay_alu instid0(VALU_DEP_2) | instskip(NEXT) | instid1(VALU_DEP_1)
	v_and_b32_e32 v7, 0x7fffffff, v5
	v_cmpx_gt_u32_e32 0x43f00000, v7
	s_xor_b32 s25, exec_lo, s25
	s_cbranch_execz .LBB47_711
; %bb.706:
	s_mov_b32 s26, exec_lo
                                        ; implicit-def: $vgpr4
	v_cmpx_lt_u32_e32 0x3c7fffff, v7
	s_xor_b32 s26, exec_lo, s26
; %bb.707:
	v_bfe_u32 v4, v3, 4, 1
	s_delay_alu instid0(VALU_DEP_1) | instskip(NEXT) | instid1(VALU_DEP_1)
	v_add3_u32 v4, v5, v4, 0x407ffff
	v_and_b32_e32 v5, 0xff00000, v4
	v_lshrrev_b32_e32 v4, 20, v4
	s_delay_alu instid0(VALU_DEP_2) | instskip(NEXT) | instid1(VALU_DEP_2)
	v_cmp_ne_u32_e32 vcc_lo, 0x7f00000, v5
                                        ; implicit-def: $vgpr5
	v_cndmask_b32_e32 v4, 0x7e, v4, vcc_lo
; %bb.708:
	s_and_not1_saveexec_b32 s26, s26
; %bb.709:
	v_add_f32_e64 v4, 0x46800000, |v5|
; %bb.710:
	s_or_b32 exec_lo, exec_lo, s26
                                        ; implicit-def: $vgpr7
.LBB47_711:
	s_and_not1_saveexec_b32 s25, s25
; %bb.712:
	v_mov_b32_e32 v4, 0x7f
	v_cmp_lt_u32_e32 vcc_lo, 0x7f800000, v7
	s_delay_alu instid0(VALU_DEP_2)
	v_cndmask_b32_e32 v4, 0x7e, v4, vcc_lo
; %bb.713:
	s_or_b32 exec_lo, exec_lo, s25
	v_lshrrev_b32_e32 v3, 8, v3
	s_delay_alu instid0(VALU_DEP_1)
	v_and_or_b32 v3, 0x80, v3, v4
	global_store_b8 v[0:1], v3, off
.LBB47_714:
	s_mov_b32 s25, 0
.LBB47_715:
	s_delay_alu instid0(SALU_CYCLE_1)
	s_and_not1_b32 vcc_lo, exec_lo, s25
	s_cbranch_vccnz .LBB47_725
; %bb.716:
	s_wait_xcnt 0x0
	v_lshlrev_b32_e32 v5, 16, v2
	v_and_b32_e32 v3, 0xffff, v2
	s_mov_b32 s25, exec_lo
                                        ; implicit-def: $vgpr4
	s_delay_alu instid0(VALU_DEP_2) | instskip(NEXT) | instid1(VALU_DEP_1)
	v_and_b32_e32 v7, 0x7fffffff, v5
	v_cmpx_gt_u32_e32 0x47800000, v7
	s_xor_b32 s25, exec_lo, s25
	s_cbranch_execz .LBB47_722
; %bb.717:
	s_mov_b32 s26, exec_lo
                                        ; implicit-def: $vgpr4
	v_cmpx_lt_u32_e32 0x387fffff, v7
	s_xor_b32 s26, exec_lo, s26
; %bb.718:
	v_bfe_u32 v4, v3, 5, 1
	s_delay_alu instid0(VALU_DEP_1) | instskip(NEXT) | instid1(VALU_DEP_1)
	v_add3_u32 v4, v5, v4, 0x80fffff
                                        ; implicit-def: $vgpr5
	v_lshrrev_b32_e32 v4, 21, v4
; %bb.719:
	s_and_not1_saveexec_b32 s26, s26
; %bb.720:
	v_add_f32_e64 v4, 0x43000000, |v5|
; %bb.721:
	s_or_b32 exec_lo, exec_lo, s26
                                        ; implicit-def: $vgpr7
.LBB47_722:
	s_and_not1_saveexec_b32 s25, s25
; %bb.723:
	v_mov_b32_e32 v4, 0x7f
	v_cmp_lt_u32_e32 vcc_lo, 0x7f800000, v7
	s_delay_alu instid0(VALU_DEP_2)
	v_cndmask_b32_e32 v4, 0x7c, v4, vcc_lo
; %bb.724:
	s_or_b32 exec_lo, exec_lo, s25
	v_lshrrev_b32_e32 v3, 8, v3
	s_delay_alu instid0(VALU_DEP_1)
	v_and_or_b32 v3, 0x80, v3, v4
	global_store_b8 v[0:1], v3, off
.LBB47_725:
	s_mov_b32 s26, 0
	s_mov_b32 s25, -1
.LBB47_726:
	s_and_not1_b32 vcc_lo, exec_lo, s26
	s_cbranch_vccnz .LBB47_734
; %bb.727:
	s_cmp_gt_i32 s24, 14
	s_mov_b32 s26, -1
	s_cbranch_scc0 .LBB47_731
; %bb.728:
	s_cmp_eq_u32 s24, 15
	s_mov_b32 s0, -1
	s_cbranch_scc0 .LBB47_730
; %bb.729:
	s_mov_b32 s25, -1
	s_mov_b32 s0, 0
	global_store_b16 v[0:1], v2, off
.LBB47_730:
	s_mov_b32 s26, 0
.LBB47_731:
	s_delay_alu instid0(SALU_CYCLE_1)
	s_and_b32 vcc_lo, exec_lo, s26
	s_cbranch_vccz .LBB47_734
; %bb.732:
	s_cmp_eq_u32 s24, 11
	s_mov_b32 s0, -1
	s_cbranch_scc0 .LBB47_734
; %bb.733:
	s_wait_xcnt 0x0
	v_and_b32_e32 v3, 0x7fff, v2
	s_mov_b32 s0, 0
	s_mov_b32 s25, -1
	s_delay_alu instid0(VALU_DEP_1)
	v_cmp_ne_u16_e32 vcc_lo, 0, v3
	v_cndmask_b32_e64 v3, 0, 1, vcc_lo
	global_store_b8 v[0:1], v3, off
.LBB47_734:
	s_mov_b32 s24, 0
.LBB47_735:
	s_delay_alu instid0(SALU_CYCLE_1)
	s_and_b32 vcc_lo, exec_lo, s24
	s_cbranch_vccz .LBB47_774
; %bb.736:
	s_and_b32 s21, 0xffff, s21
	s_mov_b32 s24, -1
	s_cmp_lt_i32 s21, 5
	s_cbranch_scc1 .LBB47_757
; %bb.737:
	s_cmp_lt_i32 s21, 8
	s_cbranch_scc1 .LBB47_747
; %bb.738:
	;; [unrolled: 3-line block ×3, first 2 shown]
	s_cmp_gt_i32 s21, 9
	s_cbranch_scc0 .LBB47_741
; %bb.740:
	s_wait_xcnt 0x0
	v_dual_mov_b32 v10, 0 :: v_dual_lshlrev_b32 v3, 16, v2
	s_mov_b32 s24, 0
	s_delay_alu instid0(VALU_DEP_1) | instskip(NEXT) | instid1(VALU_DEP_2)
	v_cvt_f64_f32_e32 v[8:9], v3
	v_mov_b32_e32 v11, v10
	global_store_b128 v[0:1], v[8:11], off
.LBB47_741:
	s_and_not1_b32 vcc_lo, exec_lo, s24
	s_cbranch_vccnz .LBB47_743
; %bb.742:
	s_wait_xcnt 0x0
	v_dual_mov_b32 v5, 0 :: v_dual_lshlrev_b32 v4, 16, v2
	global_store_b64 v[0:1], v[4:5], off
.LBB47_743:
	s_mov_b32 s24, 0
.LBB47_744:
	s_delay_alu instid0(SALU_CYCLE_1)
	s_and_not1_b32 vcc_lo, exec_lo, s24
	s_cbranch_vccnz .LBB47_746
; %bb.745:
	s_wait_xcnt 0x0
	v_lshlrev_b32_e32 v3, 16, v2
	s_delay_alu instid0(VALU_DEP_1) | instskip(NEXT) | instid1(VALU_DEP_1)
	v_cvt_f16_f32_e32 v3, v3
	v_and_b32_e32 v3, 0xffff, v3
	global_store_b32 v[0:1], v3, off
.LBB47_746:
	s_mov_b32 s24, 0
.LBB47_747:
	s_delay_alu instid0(SALU_CYCLE_1)
	s_and_not1_b32 vcc_lo, exec_lo, s24
	s_cbranch_vccnz .LBB47_756
; %bb.748:
	s_cmp_lt_i32 s21, 6
	s_mov_b32 s24, -1
	s_cbranch_scc1 .LBB47_754
; %bb.749:
	s_cmp_gt_i32 s21, 6
	s_cbranch_scc0 .LBB47_751
; %bb.750:
	s_wait_xcnt 0x0
	v_lshlrev_b32_e32 v3, 16, v2
	s_mov_b32 s24, 0
	s_delay_alu instid0(VALU_DEP_1)
	v_cvt_f64_f32_e32 v[4:5], v3
	global_store_b64 v[0:1], v[4:5], off
.LBB47_751:
	s_and_not1_b32 vcc_lo, exec_lo, s24
	s_cbranch_vccnz .LBB47_753
; %bb.752:
	s_wait_xcnt 0x0
	v_lshlrev_b32_e32 v3, 16, v2
	global_store_b32 v[0:1], v3, off
.LBB47_753:
	s_mov_b32 s24, 0
.LBB47_754:
	s_delay_alu instid0(SALU_CYCLE_1)
	s_and_not1_b32 vcc_lo, exec_lo, s24
	s_cbranch_vccnz .LBB47_756
; %bb.755:
	s_wait_xcnt 0x0
	v_lshlrev_b32_e32 v3, 16, v2
	s_delay_alu instid0(VALU_DEP_1)
	v_cvt_f16_f32_e32 v3, v3
	global_store_b16 v[0:1], v3, off
.LBB47_756:
	s_mov_b32 s24, 0
.LBB47_757:
	s_delay_alu instid0(SALU_CYCLE_1)
	s_and_not1_b32 vcc_lo, exec_lo, s24
	s_cbranch_vccnz .LBB47_773
; %bb.758:
	s_cmp_lt_i32 s21, 2
	s_mov_b32 s24, -1
	s_cbranch_scc1 .LBB47_768
; %bb.759:
	s_cmp_lt_i32 s21, 3
	s_cbranch_scc1 .LBB47_765
; %bb.760:
	s_cmp_gt_i32 s21, 3
	s_cbranch_scc0 .LBB47_762
; %bb.761:
	s_wait_xcnt 0x0
	v_lshlrev_b32_e32 v3, 16, v2
	s_mov_b32 s24, 0
	s_delay_alu instid0(VALU_DEP_1) | instskip(NEXT) | instid1(VALU_DEP_1)
	v_trunc_f32_e32 v3, v3
	v_mul_f32_e64 v4, 0x2f800000, |v3|
	s_delay_alu instid0(VALU_DEP_1) | instskip(SKIP_1) | instid1(VALU_DEP_2)
	v_floor_f32_e32 v5, v4
	v_ashrrev_i32_e32 v4, 31, v3
	v_fma_f32 v7, 0xcf800000, v5, |v3|
	v_cvt_u32_f32_e32 v3, v5
	s_delay_alu instid0(VALU_DEP_3) | instskip(NEXT) | instid1(VALU_DEP_3)
	v_mov_b32_e32 v5, v4
	v_cvt_u32_f32_e32 v7, v7
	s_delay_alu instid0(VALU_DEP_3) | instskip(NEXT) | instid1(VALU_DEP_2)
	v_xor_b32_e32 v9, v3, v4
	v_xor_b32_e32 v8, v7, v4
	s_delay_alu instid0(VALU_DEP_1)
	v_sub_nc_u64_e32 v[4:5], v[8:9], v[4:5]
	global_store_b64 v[0:1], v[4:5], off
.LBB47_762:
	s_and_not1_b32 vcc_lo, exec_lo, s24
	s_cbranch_vccnz .LBB47_764
; %bb.763:
	s_wait_xcnt 0x0
	v_lshlrev_b32_e32 v3, 16, v2
	s_delay_alu instid0(VALU_DEP_1)
	v_cvt_i32_f32_e32 v3, v3
	global_store_b32 v[0:1], v3, off
.LBB47_764:
	s_mov_b32 s24, 0
.LBB47_765:
	s_delay_alu instid0(SALU_CYCLE_1)
	s_and_not1_b32 vcc_lo, exec_lo, s24
	s_cbranch_vccnz .LBB47_767
; %bb.766:
	s_wait_xcnt 0x0
	v_lshlrev_b32_e32 v3, 16, v2
	s_delay_alu instid0(VALU_DEP_1)
	v_cvt_i32_f32_e32 v3, v3
	global_store_b16 v[0:1], v3, off
.LBB47_767:
	s_mov_b32 s24, 0
.LBB47_768:
	s_delay_alu instid0(SALU_CYCLE_1)
	s_and_not1_b32 vcc_lo, exec_lo, s24
	s_cbranch_vccnz .LBB47_773
; %bb.769:
	s_wait_xcnt 0x0
	v_lshlrev_b32_e32 v2, 16, v2
	s_cmp_gt_i32 s21, 0
	s_mov_b32 s21, -1
	s_cbranch_scc0 .LBB47_771
; %bb.770:
	s_delay_alu instid0(VALU_DEP_1)
	v_cvt_i32_f32_e32 v3, v2
	s_mov_b32 s21, 0
	global_store_b8 v[0:1], v3, off
.LBB47_771:
	s_and_not1_b32 vcc_lo, exec_lo, s21
	s_cbranch_vccnz .LBB47_773
; %bb.772:
	v_trunc_f32_e32 v2, v2
	s_wait_xcnt 0x0
	s_delay_alu instid0(VALU_DEP_1) | instskip(NEXT) | instid1(VALU_DEP_1)
	v_mul_f32_e64 v3, 0x2f800000, |v2|
	v_floor_f32_e32 v3, v3
	s_delay_alu instid0(VALU_DEP_1) | instskip(SKIP_1) | instid1(VALU_DEP_2)
	v_fma_f32 v3, 0xcf800000, v3, |v2|
	v_ashrrev_i32_e32 v2, 31, v2
	v_cvt_u32_f32_e32 v3, v3
	s_delay_alu instid0(VALU_DEP_1) | instskip(NEXT) | instid1(VALU_DEP_1)
	v_xor_b32_e32 v3, v3, v2
	v_sub_nc_u32_e32 v2, v3, v2
	global_store_b8 v[0:1], v2, off
.LBB47_773:
	s_mov_b32 s25, -1
.LBB47_774:
	s_delay_alu instid0(SALU_CYCLE_1)
	s_and_not1_b32 vcc_lo, exec_lo, s25
	s_cbranch_vccnz .LBB47_776
; %bb.775:
	v_add_nc_u32_e32 v6, 0x80, v6
	s_mov_b32 s24, -1
	s_branch .LBB47_778
.LBB47_776:
	s_mov_b32 s24, 0
.LBB47_777:
                                        ; implicit-def: $vgpr6
.LBB47_778:
	s_and_not1_b32 s21, s15, exec_lo
	s_and_b32 s0, s0, exec_lo
	s_and_b32 s22, s22, exec_lo
	s_or_b32 s21, s21, s0
	s_and_not1_b32 s0, s17, exec_lo
	s_and_not1_b32 s25, s18, exec_lo
	s_and_b32 s20, s20, exec_lo
	s_or_b32 s22, s0, s22
	s_or_b32 s20, s25, s20
	s_or_not1_b32 s25, s24, exec_lo
.LBB47_779:
	s_wait_xcnt 0x0
	s_or_b32 exec_lo, exec_lo, s23
	s_mov_b32 s24, 0
	s_mov_b32 s26, 0
	s_mov_b32 s27, 0
                                        ; implicit-def: $sgpr0
                                        ; implicit-def: $vgpr0_vgpr1
                                        ; implicit-def: $vgpr2
	s_and_saveexec_b32 s23, s25
	s_cbranch_execz .LBB47_1256
; %bb.780:
	s_mov_b32 s31, -1
	s_mov_b32 s25, s20
	s_mov_b32 s26, s22
	;; [unrolled: 1-line block ×3, first 2 shown]
	s_mov_b32 s24, exec_lo
	v_cmpx_gt_i32_e64 s16, v6
	s_cbranch_execz .LBB47_1172
; %bb.781:
	v_mul_lo_u32 v0, v6, s9
	s_and_b32 s0, s13, 0xff
	s_delay_alu instid0(SALU_CYCLE_1) | instskip(NEXT) | instid1(VALU_DEP_1)
	s_cmp_lt_i32 s0, 11
	v_ashrrev_i32_e32 v1, 31, v0
	s_delay_alu instid0(VALU_DEP_1)
	v_add_nc_u64_e32 v[0:1], s[6:7], v[0:1]
	s_cbranch_scc1 .LBB47_788
; %bb.782:
	s_and_b32 s26, 0xffff, s0
	s_delay_alu instid0(SALU_CYCLE_1)
	s_cmp_gt_i32 s26, 25
	s_cbranch_scc0 .LBB47_789
; %bb.783:
	s_cmp_gt_i32 s26, 28
	s_cbranch_scc0 .LBB47_790
; %bb.784:
	;; [unrolled: 3-line block ×4, first 2 shown]
	s_cmp_eq_u32 s26, 46
	s_mov_b32 s28, 0
	s_cbranch_scc0 .LBB47_795
; %bb.787:
	s_wait_loadcnt 0x0
	global_load_b32 v2, v[0:1], off
	s_mov_b32 s27, -1
	s_mov_b32 s25, 0
	s_branch .LBB47_797
.LBB47_788:
	s_mov_b32 s26, -1
	s_mov_b32 s27, 0
	s_mov_b32 s25, s20
                                        ; implicit-def: $vgpr2
	s_branch .LBB47_862
.LBB47_789:
	s_mov_b32 s28, -1
	s_mov_b32 s27, 0
	s_mov_b32 s25, s20
                                        ; implicit-def: $vgpr2
	s_branch .LBB47_826
.LBB47_790:
	s_mov_b32 s28, -1
	s_mov_b32 s27, 0
	s_mov_b32 s25, s20
                                        ; implicit-def: $vgpr2
	s_branch .LBB47_807
.LBB47_791:
	s_mov_b32 s28, -1
	s_mov_b32 s27, 0
	s_mov_b32 s25, s20
                                        ; implicit-def: $vgpr2
	s_branch .LBB47_802
.LBB47_792:
	s_mov_b32 s28, -1
	s_mov_b32 s27, 0
	s_mov_b32 s25, s20
	s_branch .LBB47_796
.LBB47_793:
	s_and_not1_saveexec_b32 s27, s27
	s_cbranch_execz .LBB47_687
.LBB47_794:
	v_add_f32_e64 v4, 0x46000000, |v5|
	s_and_not1_b32 s26, s26, exec_lo
	s_delay_alu instid0(VALU_DEP_1) | instskip(NEXT) | instid1(VALU_DEP_1)
	v_and_b32_e32 v4, 0xff, v4
	v_cmp_ne_u32_e32 vcc_lo, 0, v4
	s_and_b32 s28, vcc_lo, exec_lo
	s_delay_alu instid0(SALU_CYCLE_1)
	s_or_b32 s26, s26, s28
	s_or_b32 exec_lo, exec_lo, s27
	v_mov_b32_e32 v7, 0
	s_and_saveexec_b32 s27, s26
	s_cbranch_execnz .LBB47_688
	s_branch .LBB47_689
.LBB47_795:
	s_mov_b32 s25, -1
	s_mov_b32 s27, 0
.LBB47_796:
                                        ; implicit-def: $vgpr2
.LBB47_797:
	s_and_b32 vcc_lo, exec_lo, s28
	s_cbranch_vccz .LBB47_801
; %bb.798:
	s_cmp_eq_u32 s26, 44
	s_cbranch_scc0 .LBB47_800
; %bb.799:
	s_wait_loadcnt 0x0
	global_load_u8 v2, v[0:1], off
	s_mov_b32 s25, 0
	s_mov_b32 s27, -1
	s_wait_loadcnt 0x0
	v_lshlrev_b32_e32 v3, 23, v2
	v_cmp_ne_u32_e32 vcc_lo, 0xff, v2
	s_delay_alu instid0(VALU_DEP_2) | instskip(SKIP_1) | instid1(VALU_DEP_2)
	v_cndmask_b32_e32 v3, 0x7f800001, v3, vcc_lo
	v_cmp_ne_u32_e32 vcc_lo, 0, v2
	v_cndmask_b32_e32 v2, 0x400000, v3, vcc_lo
	s_delay_alu instid0(VALU_DEP_1) | instskip(NEXT) | instid1(VALU_DEP_1)
	v_add_nc_u32_e32 v3, 0x7fff, v2
	v_lshrrev_b32_e32 v3, 16, v3
	v_cmp_o_f32_e32 vcc_lo, v2, v2
	s_delay_alu instid0(VALU_DEP_2)
	v_cndmask_b32_e32 v2, 0x7fc0, v3, vcc_lo
	s_branch .LBB47_801
.LBB47_800:
	s_mov_b32 s25, -1
                                        ; implicit-def: $vgpr2
.LBB47_801:
	s_mov_b32 s28, 0
.LBB47_802:
	s_delay_alu instid0(SALU_CYCLE_1)
	s_and_b32 vcc_lo, exec_lo, s28
	s_cbranch_vccz .LBB47_806
; %bb.803:
	s_cmp_eq_u32 s26, 29
	s_cbranch_scc0 .LBB47_805
; %bb.804:
	s_wait_loadcnt 0x0
	global_load_b64 v[2:3], v[0:1], off
	s_mov_b32 s27, -1
	s_mov_b32 s25, 0
	s_mov_b32 s28, 0
	s_wait_loadcnt 0x0
	v_clz_i32_u32_e32 v4, v3
	s_delay_alu instid0(VALU_DEP_1) | instskip(NEXT) | instid1(VALU_DEP_1)
	v_min_u32_e32 v4, 32, v4
	v_lshlrev_b64_e32 v[2:3], v4, v[2:3]
	s_delay_alu instid0(VALU_DEP_1) | instskip(NEXT) | instid1(VALU_DEP_1)
	v_min_u32_e32 v2, 1, v2
	v_dual_sub_nc_u32 v3, 32, v4 :: v_dual_bitop2_b32 v2, v3, v2 bitop3:0x54
	s_delay_alu instid0(VALU_DEP_1) | instskip(NEXT) | instid1(VALU_DEP_1)
	v_cvt_f32_u32_e32 v2, v2
	v_ldexp_f32 v2, v2, v3
	s_delay_alu instid0(VALU_DEP_1) | instskip(NEXT) | instid1(VALU_DEP_1)
	v_bfe_u32 v3, v2, 16, 1
	v_add3_u32 v2, v2, v3, 0x7fff
	s_delay_alu instid0(VALU_DEP_1)
	v_lshrrev_b32_e32 v2, 16, v2
	s_branch .LBB47_807
.LBB47_805:
	s_mov_b32 s25, -1
                                        ; implicit-def: $vgpr2
.LBB47_806:
	s_mov_b32 s28, 0
.LBB47_807:
	s_delay_alu instid0(SALU_CYCLE_1)
	s_and_b32 vcc_lo, exec_lo, s28
	s_cbranch_vccz .LBB47_825
; %bb.808:
	s_cmp_lt_i32 s26, 27
	s_cbranch_scc1 .LBB47_811
; %bb.809:
	s_cmp_gt_i32 s26, 27
	s_cbranch_scc0 .LBB47_812
; %bb.810:
	s_wait_loadcnt 0x0
	global_load_b32 v2, v[0:1], off
	s_mov_b32 s27, 0
	s_wait_loadcnt 0x0
	v_cvt_f32_u32_e32 v2, v2
	s_delay_alu instid0(VALU_DEP_1) | instskip(NEXT) | instid1(VALU_DEP_1)
	v_bfe_u32 v3, v2, 16, 1
	v_add3_u32 v2, v2, v3, 0x7fff
	s_delay_alu instid0(VALU_DEP_1)
	v_lshrrev_b32_e32 v2, 16, v2
	s_branch .LBB47_813
.LBB47_811:
	s_mov_b32 s27, -1
                                        ; implicit-def: $vgpr2
	s_branch .LBB47_816
.LBB47_812:
	s_mov_b32 s27, -1
                                        ; implicit-def: $vgpr2
.LBB47_813:
	s_delay_alu instid0(SALU_CYCLE_1)
	s_and_not1_b32 vcc_lo, exec_lo, s27
	s_cbranch_vccnz .LBB47_815
; %bb.814:
	s_wait_loadcnt 0x0
	global_load_u16 v2, v[0:1], off
	s_wait_loadcnt 0x0
	v_cvt_f32_u32_e32 v2, v2
	s_delay_alu instid0(VALU_DEP_1) | instskip(NEXT) | instid1(VALU_DEP_1)
	v_bfe_u32 v3, v2, 16, 1
	v_add3_u32 v2, v2, v3, 0x7fff
	s_delay_alu instid0(VALU_DEP_1)
	v_lshrrev_b32_e32 v2, 16, v2
.LBB47_815:
	s_mov_b32 s27, 0
.LBB47_816:
	s_delay_alu instid0(SALU_CYCLE_1)
	s_and_not1_b32 vcc_lo, exec_lo, s27
	s_cbranch_vccnz .LBB47_824
; %bb.817:
	s_wait_loadcnt 0x0
	global_load_u8 v2, v[0:1], off
	s_mov_b32 s27, 0
	s_mov_b32 s28, exec_lo
	s_wait_loadcnt 0x0
	v_cmpx_lt_i16_e32 0x7f, v2
	s_xor_b32 s28, exec_lo, s28
	s_cbranch_execz .LBB47_838
; %bb.818:
	s_mov_b32 s27, -1
	s_mov_b32 s29, exec_lo
	v_cmpx_eq_u16_e32 0x80, v2
; %bb.819:
	s_xor_b32 s27, exec_lo, -1
; %bb.820:
	s_or_b32 exec_lo, exec_lo, s29
	s_delay_alu instid0(SALU_CYCLE_1)
	s_and_b32 s27, s27, exec_lo
	s_or_saveexec_b32 s28, s28
	v_mov_b32_e32 v3, 0x7f800001
	s_xor_b32 exec_lo, exec_lo, s28
	s_cbranch_execnz .LBB47_839
.LBB47_821:
	s_or_b32 exec_lo, exec_lo, s28
	s_and_saveexec_b32 s28, s27
	s_cbranch_execz .LBB47_823
.LBB47_822:
	v_and_b32_e32 v3, 0xffff, v2
	s_delay_alu instid0(VALU_DEP_1) | instskip(SKIP_1) | instid1(VALU_DEP_2)
	v_and_b32_e32 v4, 7, v3
	v_bfe_u32 v8, v3, 3, 4
	v_clz_i32_u32_e32 v5, v4
	s_delay_alu instid0(VALU_DEP_2) | instskip(NEXT) | instid1(VALU_DEP_2)
	v_cmp_eq_u32_e32 vcc_lo, 0, v8
	v_min_u32_e32 v5, 32, v5
	s_delay_alu instid0(VALU_DEP_1) | instskip(NEXT) | instid1(VALU_DEP_1)
	v_subrev_nc_u32_e32 v7, 28, v5
	v_dual_lshlrev_b32 v3, v7, v3 :: v_dual_sub_nc_u32 v5, 29, v5
	s_delay_alu instid0(VALU_DEP_1) | instskip(NEXT) | instid1(VALU_DEP_2)
	v_dual_lshlrev_b32 v2, 24, v2 :: v_dual_bitop2_b32 v3, 7, v3 bitop3:0x40
	v_cndmask_b32_e32 v5, v8, v5, vcc_lo
	s_delay_alu instid0(VALU_DEP_2) | instskip(NEXT) | instid1(VALU_DEP_3)
	v_cndmask_b32_e32 v3, v4, v3, vcc_lo
	v_and_b32_e32 v2, 0x80000000, v2
	s_delay_alu instid0(VALU_DEP_3) | instskip(NEXT) | instid1(VALU_DEP_3)
	v_lshl_add_u32 v4, v5, 23, 0x3b800000
	v_lshlrev_b32_e32 v3, 20, v3
	s_delay_alu instid0(VALU_DEP_1)
	v_or3_b32 v3, v2, v4, v3
.LBB47_823:
	s_or_b32 exec_lo, exec_lo, s28
	s_delay_alu instid0(VALU_DEP_1) | instskip(SKIP_1) | instid1(VALU_DEP_2)
	v_bfe_u32 v2, v3, 16, 1
	v_cmp_o_f32_e32 vcc_lo, v3, v3
	v_add3_u32 v2, v3, v2, 0x7fff
	s_delay_alu instid0(VALU_DEP_1) | instskip(NEXT) | instid1(VALU_DEP_1)
	v_lshrrev_b32_e32 v2, 16, v2
	v_cndmask_b32_e32 v2, 0x7fc0, v2, vcc_lo
.LBB47_824:
	s_mov_b32 s27, -1
.LBB47_825:
	s_mov_b32 s28, 0
.LBB47_826:
	s_delay_alu instid0(SALU_CYCLE_1)
	s_and_b32 vcc_lo, exec_lo, s28
	s_cbranch_vccz .LBB47_861
; %bb.827:
	s_cmp_gt_i32 s26, 22
	s_cbranch_scc0 .LBB47_837
; %bb.828:
	s_cmp_lt_i32 s26, 24
	s_cbranch_scc1 .LBB47_840
; %bb.829:
	s_cmp_gt_i32 s26, 24
	s_cbranch_scc0 .LBB47_841
; %bb.830:
	s_wait_loadcnt 0x0
	global_load_u8 v2, v[0:1], off
	s_mov_b32 s27, 0
	s_mov_b32 s28, exec_lo
	s_wait_loadcnt 0x0
	v_cmpx_lt_i16_e32 0x7f, v2
	s_xor_b32 s28, exec_lo, s28
	s_cbranch_execz .LBB47_853
; %bb.831:
	s_mov_b32 s27, -1
	s_mov_b32 s29, exec_lo
	v_cmpx_eq_u16_e32 0x80, v2
; %bb.832:
	s_xor_b32 s27, exec_lo, -1
; %bb.833:
	s_or_b32 exec_lo, exec_lo, s29
	s_delay_alu instid0(SALU_CYCLE_1)
	s_and_b32 s27, s27, exec_lo
	s_or_saveexec_b32 s28, s28
	v_mov_b32_e32 v3, 0x7f800001
	s_xor_b32 exec_lo, exec_lo, s28
	s_cbranch_execnz .LBB47_854
.LBB47_834:
	s_or_b32 exec_lo, exec_lo, s28
	s_and_saveexec_b32 s28, s27
	s_cbranch_execz .LBB47_836
.LBB47_835:
	v_and_b32_e32 v3, 0xffff, v2
	s_delay_alu instid0(VALU_DEP_1) | instskip(SKIP_1) | instid1(VALU_DEP_2)
	v_and_b32_e32 v4, 3, v3
	v_bfe_u32 v8, v3, 2, 5
	v_clz_i32_u32_e32 v5, v4
	s_delay_alu instid0(VALU_DEP_2) | instskip(NEXT) | instid1(VALU_DEP_2)
	v_cmp_eq_u32_e32 vcc_lo, 0, v8
	v_min_u32_e32 v5, 32, v5
	s_delay_alu instid0(VALU_DEP_1) | instskip(NEXT) | instid1(VALU_DEP_1)
	v_subrev_nc_u32_e32 v7, 29, v5
	v_dual_lshlrev_b32 v3, v7, v3 :: v_dual_sub_nc_u32 v5, 30, v5
	s_delay_alu instid0(VALU_DEP_1) | instskip(NEXT) | instid1(VALU_DEP_2)
	v_dual_lshlrev_b32 v2, 24, v2 :: v_dual_bitop2_b32 v3, 3, v3 bitop3:0x40
	v_cndmask_b32_e32 v5, v8, v5, vcc_lo
	s_delay_alu instid0(VALU_DEP_2) | instskip(NEXT) | instid1(VALU_DEP_3)
	v_cndmask_b32_e32 v3, v4, v3, vcc_lo
	v_and_b32_e32 v2, 0x80000000, v2
	s_delay_alu instid0(VALU_DEP_3) | instskip(NEXT) | instid1(VALU_DEP_3)
	v_lshl_add_u32 v4, v5, 23, 0x37800000
	v_lshlrev_b32_e32 v3, 21, v3
	s_delay_alu instid0(VALU_DEP_1)
	v_or3_b32 v3, v2, v4, v3
.LBB47_836:
	s_or_b32 exec_lo, exec_lo, s28
	s_delay_alu instid0(VALU_DEP_1) | instskip(SKIP_2) | instid1(VALU_DEP_2)
	v_bfe_u32 v2, v3, 16, 1
	v_cmp_o_f32_e32 vcc_lo, v3, v3
	s_mov_b32 s27, 0
	v_add3_u32 v2, v3, v2, 0x7fff
	s_delay_alu instid0(VALU_DEP_1) | instskip(NEXT) | instid1(VALU_DEP_1)
	v_lshrrev_b32_e32 v2, 16, v2
	v_cndmask_b32_e32 v2, 0x7fc0, v2, vcc_lo
	s_branch .LBB47_842
.LBB47_837:
	s_mov_b32 s28, -1
                                        ; implicit-def: $vgpr2
	s_branch .LBB47_848
.LBB47_838:
	s_or_saveexec_b32 s28, s28
	v_mov_b32_e32 v3, 0x7f800001
	s_xor_b32 exec_lo, exec_lo, s28
	s_cbranch_execz .LBB47_821
.LBB47_839:
	v_cmp_ne_u16_e32 vcc_lo, 0, v2
	v_mov_b32_e32 v3, 0
	s_and_not1_b32 s27, s27, exec_lo
	s_and_b32 s29, vcc_lo, exec_lo
	s_delay_alu instid0(SALU_CYCLE_1)
	s_or_b32 s27, s27, s29
	s_or_b32 exec_lo, exec_lo, s28
	s_and_saveexec_b32 s28, s27
	s_cbranch_execnz .LBB47_822
	s_branch .LBB47_823
.LBB47_840:
	s_mov_b32 s27, -1
                                        ; implicit-def: $vgpr2
	s_branch .LBB47_845
.LBB47_841:
	s_mov_b32 s27, -1
                                        ; implicit-def: $vgpr2
.LBB47_842:
	s_delay_alu instid0(SALU_CYCLE_1)
	s_and_b32 vcc_lo, exec_lo, s27
	s_cbranch_vccz .LBB47_844
; %bb.843:
	s_wait_loadcnt 0x0
	global_load_u8 v2, v[0:1], off
	s_wait_loadcnt 0x0
	v_lshlrev_b32_e32 v2, 24, v2
	s_delay_alu instid0(VALU_DEP_1) | instskip(NEXT) | instid1(VALU_DEP_1)
	v_and_b32_e32 v3, 0x7f000000, v2
	v_clz_i32_u32_e32 v4, v3
	v_add_nc_u32_e32 v7, 0x1000000, v3
	v_cmp_ne_u32_e32 vcc_lo, 0, v3
	s_delay_alu instid0(VALU_DEP_3) | instskip(NEXT) | instid1(VALU_DEP_1)
	v_min_u32_e32 v4, 32, v4
	v_sub_nc_u32_e64 v4, v4, 4 clamp
	s_delay_alu instid0(VALU_DEP_1) | instskip(NEXT) | instid1(VALU_DEP_1)
	v_dual_lshlrev_b32 v5, v4, v3 :: v_dual_lshlrev_b32 v4, 23, v4
	v_lshrrev_b32_e32 v5, 4, v5
	s_delay_alu instid0(VALU_DEP_1) | instskip(NEXT) | instid1(VALU_DEP_1)
	v_dual_sub_nc_u32 v4, v5, v4 :: v_dual_ashrrev_i32 v5, 8, v7
	v_add_nc_u32_e32 v4, 0x3c000000, v4
	s_delay_alu instid0(VALU_DEP_1) | instskip(NEXT) | instid1(VALU_DEP_1)
	v_and_or_b32 v4, 0x7f800000, v5, v4
	v_cndmask_b32_e32 v3, 0, v4, vcc_lo
	s_delay_alu instid0(VALU_DEP_1) | instskip(SKIP_1) | instid1(VALU_DEP_2)
	v_and_or_b32 v2, 0x80000000, v2, v3
	v_bfe_u32 v3, v3, 16, 1
	v_cmp_o_f32_e32 vcc_lo, v2, v2
	s_delay_alu instid0(VALU_DEP_2) | instskip(NEXT) | instid1(VALU_DEP_1)
	v_add3_u32 v3, v2, v3, 0x7fff
	v_lshrrev_b32_e32 v3, 16, v3
	s_delay_alu instid0(VALU_DEP_1)
	v_cndmask_b32_e32 v2, 0x7fc0, v3, vcc_lo
.LBB47_844:
	s_mov_b32 s27, 0
.LBB47_845:
	s_delay_alu instid0(SALU_CYCLE_1)
	s_and_not1_b32 vcc_lo, exec_lo, s27
	s_cbranch_vccnz .LBB47_847
; %bb.846:
	s_wait_loadcnt 0x0
	global_load_u8 v2, v[0:1], off
	s_wait_loadcnt 0x0
	v_lshlrev_b32_e32 v3, 25, v2
	v_lshlrev_b16 v2, 8, v2
	s_delay_alu instid0(VALU_DEP_1) | instskip(SKIP_1) | instid1(VALU_DEP_2)
	v_and_or_b32 v5, 0x7f00, v2, 0.5
	v_bfe_i32 v2, v2, 0, 16
	v_dual_add_f32 v5, -0.5, v5 :: v_dual_lshrrev_b32 v4, 4, v3
	v_cmp_gt_u32_e32 vcc_lo, 0x8000000, v3
	s_delay_alu instid0(VALU_DEP_2) | instskip(NEXT) | instid1(VALU_DEP_1)
	v_or_b32_e32 v4, 0x70000000, v4
	v_mul_f32_e32 v4, 0x7800000, v4
	s_delay_alu instid0(VALU_DEP_1) | instskip(NEXT) | instid1(VALU_DEP_1)
	v_cndmask_b32_e32 v3, v4, v5, vcc_lo
	v_and_or_b32 v2, 0x80000000, v2, v3
	v_bfe_u32 v3, v3, 16, 1
	s_delay_alu instid0(VALU_DEP_2) | instskip(NEXT) | instid1(VALU_DEP_2)
	v_cmp_o_f32_e32 vcc_lo, v2, v2
	v_add3_u32 v3, v2, v3, 0x7fff
	s_delay_alu instid0(VALU_DEP_1) | instskip(NEXT) | instid1(VALU_DEP_1)
	v_lshrrev_b32_e32 v3, 16, v3
	v_cndmask_b32_e32 v2, 0x7fc0, v3, vcc_lo
.LBB47_847:
	s_mov_b32 s28, 0
	s_mov_b32 s27, -1
.LBB47_848:
	s_and_not1_b32 vcc_lo, exec_lo, s28
	s_cbranch_vccnz .LBB47_861
; %bb.849:
	s_cmp_gt_i32 s26, 14
	s_cbranch_scc0 .LBB47_852
; %bb.850:
	s_cmp_eq_u32 s26, 15
	s_cbranch_scc0 .LBB47_855
; %bb.851:
	s_wait_loadcnt 0x0
	global_load_u16 v2, v[0:1], off
	s_mov_b32 s27, -1
	s_mov_b32 s25, 0
	s_branch .LBB47_856
.LBB47_852:
	s_mov_b32 s28, -1
                                        ; implicit-def: $vgpr2
	s_branch .LBB47_857
.LBB47_853:
	s_or_saveexec_b32 s28, s28
	v_mov_b32_e32 v3, 0x7f800001
	s_xor_b32 exec_lo, exec_lo, s28
	s_cbranch_execz .LBB47_834
.LBB47_854:
	v_cmp_ne_u16_e32 vcc_lo, 0, v2
	v_mov_b32_e32 v3, 0
	s_and_not1_b32 s27, s27, exec_lo
	s_and_b32 s29, vcc_lo, exec_lo
	s_delay_alu instid0(SALU_CYCLE_1)
	s_or_b32 s27, s27, s29
	s_or_b32 exec_lo, exec_lo, s28
	s_and_saveexec_b32 s28, s27
	s_cbranch_execnz .LBB47_835
	s_branch .LBB47_836
.LBB47_855:
	s_mov_b32 s25, -1
                                        ; implicit-def: $vgpr2
.LBB47_856:
	s_mov_b32 s28, 0
.LBB47_857:
	s_delay_alu instid0(SALU_CYCLE_1)
	s_and_b32 vcc_lo, exec_lo, s28
	s_cbranch_vccz .LBB47_861
; %bb.858:
	s_cmp_eq_u32 s26, 11
	s_cbranch_scc0 .LBB47_860
; %bb.859:
	s_wait_loadcnt 0x0
	global_load_u8 v2, v[0:1], off
	s_mov_b32 s25, 0
	s_mov_b32 s27, -1
	s_wait_loadcnt 0x0
	v_cmp_ne_u16_e32 vcc_lo, 0, v2
	v_cndmask_b32_e64 v2, 0, 1.0, vcc_lo
	s_delay_alu instid0(VALU_DEP_1)
	v_lshrrev_b32_e32 v2, 16, v2
	s_branch .LBB47_861
.LBB47_860:
	s_mov_b32 s25, -1
                                        ; implicit-def: $vgpr2
.LBB47_861:
	s_mov_b32 s26, 0
.LBB47_862:
	s_delay_alu instid0(SALU_CYCLE_1)
	s_and_b32 vcc_lo, exec_lo, s26
	s_cbranch_vccz .LBB47_911
; %bb.863:
	s_and_b32 s0, 0xffff, s0
	s_delay_alu instid0(SALU_CYCLE_1)
	s_cmp_lt_i32 s0, 5
	s_cbranch_scc1 .LBB47_868
; %bb.864:
	s_cmp_lt_i32 s0, 8
	s_cbranch_scc1 .LBB47_869
; %bb.865:
	s_cmp_lt_i32 s0, 9
	s_cbranch_scc1 .LBB47_870
; %bb.866:
	s_cmp_gt_i32 s0, 9
	s_cbranch_scc0 .LBB47_871
; %bb.867:
	s_wait_loadcnt 0x0
	global_load_b64 v[2:3], v[0:1], off
	s_mov_b32 s26, 0
	s_wait_loadcnt 0x0
	v_cvt_f32_f64_e32 v2, v[2:3]
	s_delay_alu instid0(VALU_DEP_1) | instskip(SKIP_1) | instid1(VALU_DEP_2)
	v_bfe_u32 v3, v2, 16, 1
	v_cmp_o_f32_e32 vcc_lo, v2, v2
	v_add3_u32 v3, v2, v3, 0x7fff
	s_delay_alu instid0(VALU_DEP_1) | instskip(NEXT) | instid1(VALU_DEP_1)
	v_lshrrev_b32_e32 v3, 16, v3
	v_cndmask_b32_e32 v2, 0x7fc0, v3, vcc_lo
	s_branch .LBB47_872
.LBB47_868:
	s_mov_b32 s26, -1
                                        ; implicit-def: $vgpr2
	s_branch .LBB47_890
.LBB47_869:
	s_mov_b32 s26, -1
                                        ; implicit-def: $vgpr2
	s_branch .LBB47_878
.LBB47_870:
	s_mov_b32 s26, -1
                                        ; implicit-def: $vgpr2
	s_branch .LBB47_875
.LBB47_871:
	s_mov_b32 s26, -1
                                        ; implicit-def: $vgpr2
.LBB47_872:
	s_delay_alu instid0(SALU_CYCLE_1)
	s_and_not1_b32 vcc_lo, exec_lo, s26
	s_cbranch_vccnz .LBB47_874
; %bb.873:
	s_wait_loadcnt 0x0
	global_load_b32 v2, v[0:1], off
	s_wait_loadcnt 0x0
	v_bfe_u32 v3, v2, 16, 1
	v_cmp_o_f32_e32 vcc_lo, v2, v2
	s_delay_alu instid0(VALU_DEP_2) | instskip(NEXT) | instid1(VALU_DEP_1)
	v_add3_u32 v3, v2, v3, 0x7fff
	v_lshrrev_b32_e32 v3, 16, v3
	s_delay_alu instid0(VALU_DEP_1)
	v_cndmask_b32_e32 v2, 0x7fc0, v3, vcc_lo
.LBB47_874:
	s_mov_b32 s26, 0
.LBB47_875:
	s_delay_alu instid0(SALU_CYCLE_1)
	s_and_not1_b32 vcc_lo, exec_lo, s26
	s_cbranch_vccnz .LBB47_877
; %bb.876:
	s_wait_loadcnt 0x0
	global_load_b32 v2, v[0:1], off
	s_wait_loadcnt 0x0
	v_cvt_f32_f16_e32 v3, v2
	v_cmp_o_f16_e32 vcc_lo, v2, v2
	s_delay_alu instid0(VALU_DEP_2) | instskip(NEXT) | instid1(VALU_DEP_1)
	v_bfe_u32 v4, v3, 16, 1
	v_add3_u32 v3, v3, v4, 0x7fff
	s_delay_alu instid0(VALU_DEP_1) | instskip(NEXT) | instid1(VALU_DEP_1)
	v_lshrrev_b32_e32 v3, 16, v3
	v_cndmask_b32_e32 v2, 0x7fc0, v3, vcc_lo
.LBB47_877:
	s_mov_b32 s26, 0
.LBB47_878:
	s_delay_alu instid0(SALU_CYCLE_1)
	s_and_not1_b32 vcc_lo, exec_lo, s26
	s_cbranch_vccnz .LBB47_889
; %bb.879:
	s_cmp_lt_i32 s0, 6
	s_cbranch_scc1 .LBB47_882
; %bb.880:
	s_cmp_gt_i32 s0, 6
	s_cbranch_scc0 .LBB47_883
; %bb.881:
	s_wait_loadcnt 0x0
	global_load_b64 v[2:3], v[0:1], off
	s_mov_b32 s26, 0
	s_wait_loadcnt 0x0
	v_cvt_f32_f64_e32 v2, v[2:3]
	s_delay_alu instid0(VALU_DEP_1) | instskip(SKIP_1) | instid1(VALU_DEP_2)
	v_bfe_u32 v3, v2, 16, 1
	v_cmp_o_f32_e32 vcc_lo, v2, v2
	v_add3_u32 v3, v2, v3, 0x7fff
	s_delay_alu instid0(VALU_DEP_1) | instskip(NEXT) | instid1(VALU_DEP_1)
	v_lshrrev_b32_e32 v3, 16, v3
	v_cndmask_b32_e32 v2, 0x7fc0, v3, vcc_lo
	s_branch .LBB47_884
.LBB47_882:
	s_mov_b32 s26, -1
                                        ; implicit-def: $vgpr2
	s_branch .LBB47_887
.LBB47_883:
	s_mov_b32 s26, -1
                                        ; implicit-def: $vgpr2
.LBB47_884:
	s_delay_alu instid0(SALU_CYCLE_1)
	s_and_not1_b32 vcc_lo, exec_lo, s26
	s_cbranch_vccnz .LBB47_886
; %bb.885:
	s_wait_loadcnt 0x0
	global_load_b32 v2, v[0:1], off
	s_wait_loadcnt 0x0
	v_bfe_u32 v3, v2, 16, 1
	v_cmp_o_f32_e32 vcc_lo, v2, v2
	s_delay_alu instid0(VALU_DEP_2) | instskip(NEXT) | instid1(VALU_DEP_1)
	v_add3_u32 v3, v2, v3, 0x7fff
	v_lshrrev_b32_e32 v3, 16, v3
	s_delay_alu instid0(VALU_DEP_1)
	v_cndmask_b32_e32 v2, 0x7fc0, v3, vcc_lo
.LBB47_886:
	s_mov_b32 s26, 0
.LBB47_887:
	s_delay_alu instid0(SALU_CYCLE_1)
	s_and_not1_b32 vcc_lo, exec_lo, s26
	s_cbranch_vccnz .LBB47_889
; %bb.888:
	s_wait_loadcnt 0x0
	global_load_u16 v2, v[0:1], off
	s_wait_loadcnt 0x0
	v_cvt_f32_f16_e32 v3, v2
	v_cmp_o_f16_e32 vcc_lo, v2, v2
	s_delay_alu instid0(VALU_DEP_2) | instskip(NEXT) | instid1(VALU_DEP_1)
	v_bfe_u32 v4, v3, 16, 1
	v_add3_u32 v3, v3, v4, 0x7fff
	s_delay_alu instid0(VALU_DEP_1) | instskip(NEXT) | instid1(VALU_DEP_1)
	v_lshrrev_b32_e32 v3, 16, v3
	v_cndmask_b32_e32 v2, 0x7fc0, v3, vcc_lo
.LBB47_889:
	s_mov_b32 s26, 0
.LBB47_890:
	s_delay_alu instid0(SALU_CYCLE_1)
	s_and_not1_b32 vcc_lo, exec_lo, s26
	s_cbranch_vccnz .LBB47_910
; %bb.891:
	s_cmp_lt_i32 s0, 2
	s_cbranch_scc1 .LBB47_895
; %bb.892:
	s_cmp_lt_i32 s0, 3
	s_cbranch_scc1 .LBB47_896
; %bb.893:
	s_cmp_gt_i32 s0, 3
	s_cbranch_scc0 .LBB47_897
; %bb.894:
	s_wait_loadcnt 0x0
	global_load_b64 v[2:3], v[0:1], off
	s_mov_b32 s26, 0
	s_wait_loadcnt 0x0
	v_xor_b32_e32 v4, v2, v3
	v_cls_i32_e32 v5, v3
	s_delay_alu instid0(VALU_DEP_2) | instskip(NEXT) | instid1(VALU_DEP_1)
	v_ashrrev_i32_e32 v4, 31, v4
	v_add_nc_u32_e32 v4, 32, v4
	s_delay_alu instid0(VALU_DEP_1) | instskip(NEXT) | instid1(VALU_DEP_1)
	v_add_min_u32_e64 v4, v5, -1, v4
	v_lshlrev_b64_e32 v[2:3], v4, v[2:3]
	s_delay_alu instid0(VALU_DEP_1) | instskip(NEXT) | instid1(VALU_DEP_1)
	v_min_u32_e32 v2, 1, v2
	v_dual_sub_nc_u32 v3, 32, v4 :: v_dual_bitop2_b32 v2, v3, v2 bitop3:0x54
	s_delay_alu instid0(VALU_DEP_1) | instskip(NEXT) | instid1(VALU_DEP_1)
	v_cvt_f32_i32_e32 v2, v2
	v_ldexp_f32 v2, v2, v3
	s_delay_alu instid0(VALU_DEP_1) | instskip(NEXT) | instid1(VALU_DEP_1)
	v_bfe_u32 v3, v2, 16, 1
	v_add3_u32 v2, v2, v3, 0x7fff
	s_delay_alu instid0(VALU_DEP_1)
	v_lshrrev_b32_e32 v2, 16, v2
	s_branch .LBB47_898
.LBB47_895:
	s_mov_b32 s26, -1
                                        ; implicit-def: $vgpr2
	s_branch .LBB47_904
.LBB47_896:
	s_mov_b32 s26, -1
                                        ; implicit-def: $vgpr2
	s_branch .LBB47_901
.LBB47_897:
	s_mov_b32 s26, -1
                                        ; implicit-def: $vgpr2
.LBB47_898:
	s_delay_alu instid0(SALU_CYCLE_1)
	s_and_not1_b32 vcc_lo, exec_lo, s26
	s_cbranch_vccnz .LBB47_900
; %bb.899:
	s_wait_loadcnt 0x0
	global_load_b32 v2, v[0:1], off
	s_wait_loadcnt 0x0
	v_cvt_f32_i32_e32 v2, v2
	s_delay_alu instid0(VALU_DEP_1) | instskip(NEXT) | instid1(VALU_DEP_1)
	v_bfe_u32 v3, v2, 16, 1
	v_add3_u32 v2, v2, v3, 0x7fff
	s_delay_alu instid0(VALU_DEP_1)
	v_lshrrev_b32_e32 v2, 16, v2
.LBB47_900:
	s_mov_b32 s26, 0
.LBB47_901:
	s_delay_alu instid0(SALU_CYCLE_1)
	s_and_not1_b32 vcc_lo, exec_lo, s26
	s_cbranch_vccnz .LBB47_903
; %bb.902:
	s_wait_loadcnt 0x0
	global_load_i16 v2, v[0:1], off
	s_wait_loadcnt 0x0
	v_cvt_f32_i32_e32 v2, v2
	s_delay_alu instid0(VALU_DEP_1) | instskip(NEXT) | instid1(VALU_DEP_1)
	v_bfe_u32 v3, v2, 16, 1
	v_add3_u32 v2, v2, v3, 0x7fff
	s_delay_alu instid0(VALU_DEP_1)
	v_lshrrev_b32_e32 v2, 16, v2
.LBB47_903:
	s_mov_b32 s26, 0
.LBB47_904:
	s_delay_alu instid0(SALU_CYCLE_1)
	s_and_not1_b32 vcc_lo, exec_lo, s26
	s_cbranch_vccnz .LBB47_910
; %bb.905:
	s_cmp_gt_i32 s0, 0
	s_mov_b32 s0, 0
	s_cbranch_scc0 .LBB47_907
; %bb.906:
	s_wait_loadcnt 0x0
	global_load_i8 v2, v[0:1], off
	s_wait_loadcnt 0x0
	v_cvt_f32_i32_e32 v2, v2
	s_delay_alu instid0(VALU_DEP_1) | instskip(NEXT) | instid1(VALU_DEP_1)
	v_bfe_u32 v3, v2, 16, 1
	v_add3_u32 v2, v2, v3, 0x7fff
	s_delay_alu instid0(VALU_DEP_1)
	v_lshrrev_b32_e32 v2, 16, v2
	s_branch .LBB47_908
.LBB47_907:
	s_mov_b32 s0, -1
                                        ; implicit-def: $vgpr2
.LBB47_908:
	s_delay_alu instid0(SALU_CYCLE_1)
	s_and_not1_b32 vcc_lo, exec_lo, s0
	s_cbranch_vccnz .LBB47_910
; %bb.909:
	global_load_u8 v0, v[0:1], off
	s_wait_loadcnt 0x0
	v_cvt_f32_ubyte0_e32 v0, v0
	s_delay_alu instid0(VALU_DEP_1) | instskip(NEXT) | instid1(VALU_DEP_1)
	v_bfe_u32 v1, v0, 16, 1
	v_add3_u32 v0, v0, v1, 0x7fff
	s_delay_alu instid0(VALU_DEP_1)
	v_lshrrev_b32_e32 v2, 16, v0
.LBB47_910:
	s_mov_b32 s27, -1
.LBB47_911:
	s_delay_alu instid0(SALU_CYCLE_1)
	s_and_not1_b32 vcc_lo, exec_lo, s27
	s_cbranch_vccnz .LBB47_919
; %bb.912:
	s_wait_xcnt 0x0
	v_mul_lo_u32 v0, v6, s10
	s_and_b32 s0, s1, 0xff
	s_delay_alu instid0(SALU_CYCLE_1) | instskip(NEXT) | instid1(VALU_DEP_1)
	s_cmp_lt_i32 s0, 11
	v_ashrrev_i32_e32 v1, 31, v0
	s_delay_alu instid0(VALU_DEP_1)
	v_add_nc_u64_e32 v[0:1], s[2:3], v[0:1]
	s_cbranch_scc1 .LBB47_920
; %bb.913:
	s_and_b32 s27, 0xffff, s0
	s_delay_alu instid0(SALU_CYCLE_1)
	s_cmp_gt_i32 s27, 25
	s_cbranch_scc0 .LBB47_921
; %bb.914:
	s_cmp_gt_i32 s27, 28
	s_cbranch_scc0 .LBB47_922
; %bb.915:
	s_cmp_gt_i32 s27, 43
	s_cbranch_scc0 .LBB47_923
; %bb.916:
	s_cmp_gt_i32 s27, 45
	s_cbranch_scc0 .LBB47_924
; %bb.917:
	s_cmp_eq_u32 s27, 46
	s_mov_b32 s29, 0
	s_cbranch_scc0 .LBB47_927
; %bb.918:
	s_wait_loadcnt 0x0
	global_load_b32 v3, v[0:1], off
	s_mov_b32 s28, -1
	s_mov_b32 s26, 0
	s_branch .LBB47_929
.LBB47_919:
	s_mov_b32 s28, 0
	s_mov_b32 s0, s21
	;; [unrolled: 1-line block ×3, first 2 shown]
	s_branch .LBB47_1170
.LBB47_920:
	s_mov_b32 s27, -1
	s_mov_b32 s28, 0
	s_mov_b32 s26, s22
                                        ; implicit-def: $vgpr3
	s_branch .LBB47_994
.LBB47_921:
	s_mov_b32 s29, -1
	s_mov_b32 s28, 0
	s_mov_b32 s26, s22
                                        ; implicit-def: $vgpr3
	s_branch .LBB47_958
.LBB47_922:
	s_mov_b32 s29, -1
	s_mov_b32 s28, 0
	s_mov_b32 s26, s22
                                        ; implicit-def: $vgpr3
	s_branch .LBB47_939
.LBB47_923:
	s_mov_b32 s29, -1
	s_mov_b32 s28, 0
	s_mov_b32 s26, s22
                                        ; implicit-def: $vgpr3
	s_branch .LBB47_934
.LBB47_924:
	s_mov_b32 s29, -1
	s_mov_b32 s28, 0
	s_mov_b32 s26, s22
	s_branch .LBB47_928
.LBB47_925:
	s_and_not1_saveexec_b32 s27, s27
	s_cbranch_execz .LBB47_700
.LBB47_926:
	v_add_f32_e64 v4, 0x42800000, |v5|
	s_and_not1_b32 s26, s26, exec_lo
	s_delay_alu instid0(VALU_DEP_1) | instskip(NEXT) | instid1(VALU_DEP_1)
	v_and_b32_e32 v4, 0xff, v4
	v_cmp_ne_u32_e32 vcc_lo, 0, v4
	s_and_b32 s28, vcc_lo, exec_lo
	s_delay_alu instid0(SALU_CYCLE_1)
	s_or_b32 s26, s26, s28
	s_or_b32 exec_lo, exec_lo, s27
	v_mov_b32_e32 v7, 0
	s_and_saveexec_b32 s27, s26
	s_cbranch_execnz .LBB47_701
	s_branch .LBB47_702
.LBB47_927:
	s_mov_b32 s26, -1
	s_mov_b32 s28, 0
.LBB47_928:
                                        ; implicit-def: $vgpr3
.LBB47_929:
	s_and_b32 vcc_lo, exec_lo, s29
	s_cbranch_vccz .LBB47_933
; %bb.930:
	s_cmp_eq_u32 s27, 44
	s_cbranch_scc0 .LBB47_932
; %bb.931:
	s_wait_loadcnt 0x0
	global_load_u8 v3, v[0:1], off
	s_mov_b32 s26, 0
	s_mov_b32 s28, -1
	s_wait_loadcnt 0x0
	v_lshlrev_b32_e32 v4, 23, v3
	v_cmp_ne_u32_e32 vcc_lo, 0xff, v3
	s_delay_alu instid0(VALU_DEP_2) | instskip(SKIP_1) | instid1(VALU_DEP_2)
	v_cndmask_b32_e32 v4, 0x7f800001, v4, vcc_lo
	v_cmp_ne_u32_e32 vcc_lo, 0, v3
	v_cndmask_b32_e32 v3, 0x400000, v4, vcc_lo
	s_delay_alu instid0(VALU_DEP_1) | instskip(NEXT) | instid1(VALU_DEP_1)
	v_add_nc_u32_e32 v4, 0x7fff, v3
	v_lshrrev_b32_e32 v4, 16, v4
	v_cmp_o_f32_e32 vcc_lo, v3, v3
	s_delay_alu instid0(VALU_DEP_2)
	v_cndmask_b32_e32 v3, 0x7fc0, v4, vcc_lo
	s_branch .LBB47_933
.LBB47_932:
	s_mov_b32 s26, -1
                                        ; implicit-def: $vgpr3
.LBB47_933:
	s_mov_b32 s29, 0
.LBB47_934:
	s_delay_alu instid0(SALU_CYCLE_1)
	s_and_b32 vcc_lo, exec_lo, s29
	s_cbranch_vccz .LBB47_938
; %bb.935:
	s_cmp_eq_u32 s27, 29
	s_cbranch_scc0 .LBB47_937
; %bb.936:
	global_load_b64 v[4:5], v[0:1], off
	s_mov_b32 s28, -1
	s_mov_b32 s26, 0
	s_mov_b32 s29, 0
	s_wait_loadcnt 0x0
	v_clz_i32_u32_e32 v3, v5
	s_delay_alu instid0(VALU_DEP_1) | instskip(NEXT) | instid1(VALU_DEP_1)
	v_min_u32_e32 v3, 32, v3
	v_lshlrev_b64_e32 v[4:5], v3, v[4:5]
	v_sub_nc_u32_e32 v3, 32, v3
	s_delay_alu instid0(VALU_DEP_2) | instskip(NEXT) | instid1(VALU_DEP_1)
	v_min_u32_e32 v4, 1, v4
	v_or_b32_e32 v4, v5, v4
	s_delay_alu instid0(VALU_DEP_1) | instskip(NEXT) | instid1(VALU_DEP_1)
	v_cvt_f32_u32_e32 v4, v4
	v_ldexp_f32 v3, v4, v3
	s_delay_alu instid0(VALU_DEP_1) | instskip(NEXT) | instid1(VALU_DEP_1)
	v_bfe_u32 v4, v3, 16, 1
	v_add3_u32 v3, v3, v4, 0x7fff
	s_delay_alu instid0(VALU_DEP_1)
	v_lshrrev_b32_e32 v3, 16, v3
	s_branch .LBB47_939
.LBB47_937:
	s_mov_b32 s26, -1
                                        ; implicit-def: $vgpr3
.LBB47_938:
	s_mov_b32 s29, 0
.LBB47_939:
	s_delay_alu instid0(SALU_CYCLE_1)
	s_and_b32 vcc_lo, exec_lo, s29
	s_cbranch_vccz .LBB47_957
; %bb.940:
	s_cmp_lt_i32 s27, 27
	s_cbranch_scc1 .LBB47_943
; %bb.941:
	s_cmp_gt_i32 s27, 27
	s_cbranch_scc0 .LBB47_944
; %bb.942:
	s_wait_loadcnt 0x0
	global_load_b32 v3, v[0:1], off
	s_mov_b32 s28, 0
	s_wait_loadcnt 0x0
	v_cvt_f32_u32_e32 v3, v3
	s_delay_alu instid0(VALU_DEP_1) | instskip(NEXT) | instid1(VALU_DEP_1)
	v_bfe_u32 v4, v3, 16, 1
	v_add3_u32 v3, v3, v4, 0x7fff
	s_delay_alu instid0(VALU_DEP_1)
	v_lshrrev_b32_e32 v3, 16, v3
	s_branch .LBB47_945
.LBB47_943:
	s_mov_b32 s28, -1
                                        ; implicit-def: $vgpr3
	s_branch .LBB47_948
.LBB47_944:
	s_mov_b32 s28, -1
                                        ; implicit-def: $vgpr3
.LBB47_945:
	s_delay_alu instid0(SALU_CYCLE_1)
	s_and_not1_b32 vcc_lo, exec_lo, s28
	s_cbranch_vccnz .LBB47_947
; %bb.946:
	s_wait_loadcnt 0x0
	global_load_u16 v3, v[0:1], off
	s_wait_loadcnt 0x0
	v_cvt_f32_u32_e32 v3, v3
	s_delay_alu instid0(VALU_DEP_1) | instskip(NEXT) | instid1(VALU_DEP_1)
	v_bfe_u32 v4, v3, 16, 1
	v_add3_u32 v3, v3, v4, 0x7fff
	s_delay_alu instid0(VALU_DEP_1)
	v_lshrrev_b32_e32 v3, 16, v3
.LBB47_947:
	s_mov_b32 s28, 0
.LBB47_948:
	s_delay_alu instid0(SALU_CYCLE_1)
	s_and_not1_b32 vcc_lo, exec_lo, s28
	s_cbranch_vccnz .LBB47_956
; %bb.949:
	s_wait_loadcnt 0x0
	global_load_u8 v3, v[0:1], off
	s_mov_b32 s28, 0
	s_mov_b32 s29, exec_lo
	s_wait_loadcnt 0x0
	v_cmpx_lt_i16_e32 0x7f, v3
	s_xor_b32 s29, exec_lo, s29
	s_cbranch_execz .LBB47_970
; %bb.950:
	s_mov_b32 s28, -1
	s_mov_b32 s30, exec_lo
	v_cmpx_eq_u16_e32 0x80, v3
; %bb.951:
	s_xor_b32 s28, exec_lo, -1
; %bb.952:
	s_or_b32 exec_lo, exec_lo, s30
	s_delay_alu instid0(SALU_CYCLE_1)
	s_and_b32 s28, s28, exec_lo
	s_or_saveexec_b32 s29, s29
	v_mov_b32_e32 v4, 0x7f800001
	s_xor_b32 exec_lo, exec_lo, s29
	s_cbranch_execnz .LBB47_971
.LBB47_953:
	s_or_b32 exec_lo, exec_lo, s29
	s_and_saveexec_b32 s29, s28
	s_cbranch_execz .LBB47_955
.LBB47_954:
	v_and_b32_e32 v4, 0xffff, v3
	s_delay_alu instid0(VALU_DEP_1) | instskip(SKIP_1) | instid1(VALU_DEP_2)
	v_and_b32_e32 v5, 7, v4
	v_bfe_u32 v9, v4, 3, 4
	v_clz_i32_u32_e32 v7, v5
	s_delay_alu instid0(VALU_DEP_2) | instskip(NEXT) | instid1(VALU_DEP_2)
	v_cmp_eq_u32_e32 vcc_lo, 0, v9
	v_min_u32_e32 v7, 32, v7
	s_delay_alu instid0(VALU_DEP_1) | instskip(NEXT) | instid1(VALU_DEP_1)
	v_subrev_nc_u32_e32 v8, 28, v7
	v_dual_lshlrev_b32 v4, v8, v4 :: v_dual_sub_nc_u32 v7, 29, v7
	s_delay_alu instid0(VALU_DEP_1) | instskip(NEXT) | instid1(VALU_DEP_1)
	v_dual_lshlrev_b32 v3, 24, v3 :: v_dual_bitop2_b32 v4, 7, v4 bitop3:0x40
	v_cndmask_b32_e32 v4, v5, v4, vcc_lo
	s_delay_alu instid0(VALU_DEP_3) | instskip(NEXT) | instid1(VALU_DEP_3)
	v_cndmask_b32_e32 v7, v9, v7, vcc_lo
	v_and_b32_e32 v3, 0x80000000, v3
	s_delay_alu instid0(VALU_DEP_3) | instskip(NEXT) | instid1(VALU_DEP_3)
	v_lshlrev_b32_e32 v4, 20, v4
	v_lshl_add_u32 v5, v7, 23, 0x3b800000
	s_delay_alu instid0(VALU_DEP_1)
	v_or3_b32 v4, v3, v5, v4
.LBB47_955:
	s_or_b32 exec_lo, exec_lo, s29
	s_delay_alu instid0(VALU_DEP_1) | instskip(SKIP_1) | instid1(VALU_DEP_2)
	v_bfe_u32 v3, v4, 16, 1
	v_cmp_o_f32_e32 vcc_lo, v4, v4
	v_add3_u32 v3, v4, v3, 0x7fff
	s_delay_alu instid0(VALU_DEP_1) | instskip(NEXT) | instid1(VALU_DEP_1)
	v_lshrrev_b32_e32 v3, 16, v3
	v_cndmask_b32_e32 v3, 0x7fc0, v3, vcc_lo
.LBB47_956:
	s_mov_b32 s28, -1
.LBB47_957:
	s_mov_b32 s29, 0
.LBB47_958:
	s_delay_alu instid0(SALU_CYCLE_1)
	s_and_b32 vcc_lo, exec_lo, s29
	s_cbranch_vccz .LBB47_993
; %bb.959:
	s_cmp_gt_i32 s27, 22
	s_cbranch_scc0 .LBB47_969
; %bb.960:
	s_cmp_lt_i32 s27, 24
	s_cbranch_scc1 .LBB47_972
; %bb.961:
	s_cmp_gt_i32 s27, 24
	s_cbranch_scc0 .LBB47_973
; %bb.962:
	s_wait_loadcnt 0x0
	global_load_u8 v3, v[0:1], off
	s_mov_b32 s28, 0
	s_mov_b32 s29, exec_lo
	s_wait_loadcnt 0x0
	v_cmpx_lt_i16_e32 0x7f, v3
	s_xor_b32 s29, exec_lo, s29
	s_cbranch_execz .LBB47_985
; %bb.963:
	s_mov_b32 s28, -1
	s_mov_b32 s30, exec_lo
	v_cmpx_eq_u16_e32 0x80, v3
; %bb.964:
	s_xor_b32 s28, exec_lo, -1
; %bb.965:
	s_or_b32 exec_lo, exec_lo, s30
	s_delay_alu instid0(SALU_CYCLE_1)
	s_and_b32 s28, s28, exec_lo
	s_or_saveexec_b32 s29, s29
	v_mov_b32_e32 v4, 0x7f800001
	s_xor_b32 exec_lo, exec_lo, s29
	s_cbranch_execnz .LBB47_986
.LBB47_966:
	s_or_b32 exec_lo, exec_lo, s29
	s_and_saveexec_b32 s29, s28
	s_cbranch_execz .LBB47_968
.LBB47_967:
	v_and_b32_e32 v4, 0xffff, v3
	s_delay_alu instid0(VALU_DEP_1) | instskip(SKIP_1) | instid1(VALU_DEP_2)
	v_and_b32_e32 v5, 3, v4
	v_bfe_u32 v9, v4, 2, 5
	v_clz_i32_u32_e32 v7, v5
	s_delay_alu instid0(VALU_DEP_2) | instskip(NEXT) | instid1(VALU_DEP_2)
	v_cmp_eq_u32_e32 vcc_lo, 0, v9
	v_min_u32_e32 v7, 32, v7
	s_delay_alu instid0(VALU_DEP_1) | instskip(NEXT) | instid1(VALU_DEP_1)
	v_subrev_nc_u32_e32 v8, 29, v7
	v_dual_lshlrev_b32 v4, v8, v4 :: v_dual_sub_nc_u32 v7, 30, v7
	s_delay_alu instid0(VALU_DEP_1) | instskip(NEXT) | instid1(VALU_DEP_1)
	v_dual_lshlrev_b32 v3, 24, v3 :: v_dual_bitop2_b32 v4, 3, v4 bitop3:0x40
	v_cndmask_b32_e32 v4, v5, v4, vcc_lo
	s_delay_alu instid0(VALU_DEP_3) | instskip(NEXT) | instid1(VALU_DEP_3)
	v_cndmask_b32_e32 v7, v9, v7, vcc_lo
	v_and_b32_e32 v3, 0x80000000, v3
	s_delay_alu instid0(VALU_DEP_3) | instskip(NEXT) | instid1(VALU_DEP_3)
	v_lshlrev_b32_e32 v4, 21, v4
	v_lshl_add_u32 v5, v7, 23, 0x37800000
	s_delay_alu instid0(VALU_DEP_1)
	v_or3_b32 v4, v3, v5, v4
.LBB47_968:
	s_or_b32 exec_lo, exec_lo, s29
	s_delay_alu instid0(VALU_DEP_1) | instskip(SKIP_2) | instid1(VALU_DEP_2)
	v_bfe_u32 v3, v4, 16, 1
	v_cmp_o_f32_e32 vcc_lo, v4, v4
	s_mov_b32 s28, 0
	v_add3_u32 v3, v4, v3, 0x7fff
	s_delay_alu instid0(VALU_DEP_1) | instskip(NEXT) | instid1(VALU_DEP_1)
	v_lshrrev_b32_e32 v3, 16, v3
	v_cndmask_b32_e32 v3, 0x7fc0, v3, vcc_lo
	s_branch .LBB47_974
.LBB47_969:
	s_mov_b32 s29, -1
                                        ; implicit-def: $vgpr3
	s_branch .LBB47_980
.LBB47_970:
	s_or_saveexec_b32 s29, s29
	v_mov_b32_e32 v4, 0x7f800001
	s_xor_b32 exec_lo, exec_lo, s29
	s_cbranch_execz .LBB47_953
.LBB47_971:
	v_cmp_ne_u16_e32 vcc_lo, 0, v3
	v_mov_b32_e32 v4, 0
	s_and_not1_b32 s28, s28, exec_lo
	s_and_b32 s30, vcc_lo, exec_lo
	s_delay_alu instid0(SALU_CYCLE_1)
	s_or_b32 s28, s28, s30
	s_or_b32 exec_lo, exec_lo, s29
	s_and_saveexec_b32 s29, s28
	s_cbranch_execnz .LBB47_954
	s_branch .LBB47_955
.LBB47_972:
	s_mov_b32 s28, -1
                                        ; implicit-def: $vgpr3
	s_branch .LBB47_977
.LBB47_973:
	s_mov_b32 s28, -1
                                        ; implicit-def: $vgpr3
.LBB47_974:
	s_delay_alu instid0(SALU_CYCLE_1)
	s_and_b32 vcc_lo, exec_lo, s28
	s_cbranch_vccz .LBB47_976
; %bb.975:
	s_wait_loadcnt 0x0
	global_load_u8 v3, v[0:1], off
	s_wait_loadcnt 0x0
	v_lshlrev_b32_e32 v3, 24, v3
	s_delay_alu instid0(VALU_DEP_1) | instskip(NEXT) | instid1(VALU_DEP_1)
	v_and_b32_e32 v4, 0x7f000000, v3
	v_clz_i32_u32_e32 v5, v4
	v_add_nc_u32_e32 v8, 0x1000000, v4
	v_cmp_ne_u32_e32 vcc_lo, 0, v4
	s_delay_alu instid0(VALU_DEP_3) | instskip(NEXT) | instid1(VALU_DEP_1)
	v_min_u32_e32 v5, 32, v5
	v_sub_nc_u32_e64 v5, v5, 4 clamp
	s_delay_alu instid0(VALU_DEP_1) | instskip(NEXT) | instid1(VALU_DEP_1)
	v_dual_lshlrev_b32 v7, v5, v4 :: v_dual_lshlrev_b32 v5, 23, v5
	v_lshrrev_b32_e32 v7, 4, v7
	s_delay_alu instid0(VALU_DEP_1) | instskip(NEXT) | instid1(VALU_DEP_1)
	v_dual_sub_nc_u32 v5, v7, v5 :: v_dual_ashrrev_i32 v7, 8, v8
	v_add_nc_u32_e32 v5, 0x3c000000, v5
	s_delay_alu instid0(VALU_DEP_1) | instskip(NEXT) | instid1(VALU_DEP_1)
	v_and_or_b32 v5, 0x7f800000, v7, v5
	v_cndmask_b32_e32 v4, 0, v5, vcc_lo
	s_delay_alu instid0(VALU_DEP_1) | instskip(SKIP_1) | instid1(VALU_DEP_2)
	v_and_or_b32 v3, 0x80000000, v3, v4
	v_bfe_u32 v4, v4, 16, 1
	v_cmp_o_f32_e32 vcc_lo, v3, v3
	s_delay_alu instid0(VALU_DEP_2) | instskip(NEXT) | instid1(VALU_DEP_1)
	v_add3_u32 v4, v3, v4, 0x7fff
	v_lshrrev_b32_e32 v4, 16, v4
	s_delay_alu instid0(VALU_DEP_1)
	v_cndmask_b32_e32 v3, 0x7fc0, v4, vcc_lo
.LBB47_976:
	s_mov_b32 s28, 0
.LBB47_977:
	s_delay_alu instid0(SALU_CYCLE_1)
	s_and_not1_b32 vcc_lo, exec_lo, s28
	s_cbranch_vccnz .LBB47_979
; %bb.978:
	s_wait_loadcnt 0x0
	global_load_u8 v3, v[0:1], off
	s_wait_loadcnt 0x0
	v_lshlrev_b32_e32 v4, 25, v3
	v_lshlrev_b16 v3, 8, v3
	s_delay_alu instid0(VALU_DEP_1) | instskip(NEXT) | instid1(VALU_DEP_3)
	v_and_or_b32 v7, 0x7f00, v3, 0.5
	v_lshrrev_b32_e32 v5, 4, v4
	v_bfe_i32 v3, v3, 0, 16
	s_delay_alu instid0(VALU_DEP_3) | instskip(NEXT) | instid1(VALU_DEP_3)
	v_add_f32_e32 v7, -0.5, v7
	v_or_b32_e32 v5, 0x70000000, v5
	s_delay_alu instid0(VALU_DEP_1) | instskip(SKIP_1) | instid1(VALU_DEP_2)
	v_mul_f32_e32 v5, 0x7800000, v5
	v_cmp_gt_u32_e32 vcc_lo, 0x8000000, v4
	v_cndmask_b32_e32 v4, v5, v7, vcc_lo
	s_delay_alu instid0(VALU_DEP_1) | instskip(SKIP_1) | instid1(VALU_DEP_2)
	v_and_or_b32 v3, 0x80000000, v3, v4
	v_bfe_u32 v4, v4, 16, 1
	v_cmp_o_f32_e32 vcc_lo, v3, v3
	s_delay_alu instid0(VALU_DEP_2) | instskip(NEXT) | instid1(VALU_DEP_1)
	v_add3_u32 v4, v3, v4, 0x7fff
	v_lshrrev_b32_e32 v4, 16, v4
	s_delay_alu instid0(VALU_DEP_1)
	v_cndmask_b32_e32 v3, 0x7fc0, v4, vcc_lo
.LBB47_979:
	s_mov_b32 s29, 0
	s_mov_b32 s28, -1
.LBB47_980:
	s_and_not1_b32 vcc_lo, exec_lo, s29
	s_cbranch_vccnz .LBB47_993
; %bb.981:
	s_cmp_gt_i32 s27, 14
	s_cbranch_scc0 .LBB47_984
; %bb.982:
	s_cmp_eq_u32 s27, 15
	s_cbranch_scc0 .LBB47_987
; %bb.983:
	s_wait_loadcnt 0x0
	global_load_u16 v3, v[0:1], off
	s_mov_b32 s28, -1
	s_mov_b32 s26, 0
	s_branch .LBB47_988
.LBB47_984:
	s_mov_b32 s29, -1
                                        ; implicit-def: $vgpr3
	s_branch .LBB47_989
.LBB47_985:
	s_or_saveexec_b32 s29, s29
	v_mov_b32_e32 v4, 0x7f800001
	s_xor_b32 exec_lo, exec_lo, s29
	s_cbranch_execz .LBB47_966
.LBB47_986:
	v_cmp_ne_u16_e32 vcc_lo, 0, v3
	v_mov_b32_e32 v4, 0
	s_and_not1_b32 s28, s28, exec_lo
	s_and_b32 s30, vcc_lo, exec_lo
	s_delay_alu instid0(SALU_CYCLE_1)
	s_or_b32 s28, s28, s30
	s_or_b32 exec_lo, exec_lo, s29
	s_and_saveexec_b32 s29, s28
	s_cbranch_execnz .LBB47_967
	s_branch .LBB47_968
.LBB47_987:
	s_mov_b32 s26, -1
                                        ; implicit-def: $vgpr3
.LBB47_988:
	s_mov_b32 s29, 0
.LBB47_989:
	s_delay_alu instid0(SALU_CYCLE_1)
	s_and_b32 vcc_lo, exec_lo, s29
	s_cbranch_vccz .LBB47_993
; %bb.990:
	s_cmp_eq_u32 s27, 11
	s_cbranch_scc0 .LBB47_992
; %bb.991:
	s_wait_loadcnt 0x0
	global_load_u8 v3, v[0:1], off
	s_mov_b32 s26, 0
	s_mov_b32 s28, -1
	s_wait_loadcnt 0x0
	v_cmp_ne_u16_e32 vcc_lo, 0, v3
	v_cndmask_b32_e64 v3, 0, 1.0, vcc_lo
	s_delay_alu instid0(VALU_DEP_1)
	v_lshrrev_b32_e32 v3, 16, v3
	s_branch .LBB47_993
.LBB47_992:
	s_mov_b32 s26, -1
                                        ; implicit-def: $vgpr3
.LBB47_993:
	s_mov_b32 s27, 0
.LBB47_994:
	s_delay_alu instid0(SALU_CYCLE_1)
	s_and_b32 vcc_lo, exec_lo, s27
	s_cbranch_vccz .LBB47_1043
; %bb.995:
	s_and_b32 s0, 0xffff, s0
	s_delay_alu instid0(SALU_CYCLE_1)
	s_cmp_lt_i32 s0, 5
	s_cbranch_scc1 .LBB47_1000
; %bb.996:
	s_cmp_lt_i32 s0, 8
	s_cbranch_scc1 .LBB47_1001
; %bb.997:
	;; [unrolled: 3-line block ×3, first 2 shown]
	s_cmp_gt_i32 s0, 9
	s_cbranch_scc0 .LBB47_1003
; %bb.999:
	global_load_b64 v[4:5], v[0:1], off
	s_mov_b32 s27, 0
	s_wait_loadcnt 0x0
	v_cvt_f32_f64_e32 v3, v[4:5]
	s_delay_alu instid0(VALU_DEP_1) | instskip(SKIP_1) | instid1(VALU_DEP_2)
	v_bfe_u32 v4, v3, 16, 1
	v_cmp_o_f32_e32 vcc_lo, v3, v3
	v_add3_u32 v4, v3, v4, 0x7fff
	s_delay_alu instid0(VALU_DEP_1) | instskip(NEXT) | instid1(VALU_DEP_1)
	v_lshrrev_b32_e32 v4, 16, v4
	v_cndmask_b32_e32 v3, 0x7fc0, v4, vcc_lo
	s_branch .LBB47_1004
.LBB47_1000:
	s_mov_b32 s27, -1
                                        ; implicit-def: $vgpr3
	s_branch .LBB47_1022
.LBB47_1001:
	s_mov_b32 s27, -1
                                        ; implicit-def: $vgpr3
	s_branch .LBB47_1010
.LBB47_1002:
	s_mov_b32 s27, -1
                                        ; implicit-def: $vgpr3
	s_branch .LBB47_1007
.LBB47_1003:
	s_mov_b32 s27, -1
                                        ; implicit-def: $vgpr3
.LBB47_1004:
	s_delay_alu instid0(SALU_CYCLE_1)
	s_and_not1_b32 vcc_lo, exec_lo, s27
	s_cbranch_vccnz .LBB47_1006
; %bb.1005:
	s_wait_loadcnt 0x0
	global_load_b32 v3, v[0:1], off
	s_wait_loadcnt 0x0
	v_bfe_u32 v4, v3, 16, 1
	v_cmp_o_f32_e32 vcc_lo, v3, v3
	s_delay_alu instid0(VALU_DEP_2) | instskip(NEXT) | instid1(VALU_DEP_1)
	v_add3_u32 v4, v3, v4, 0x7fff
	v_lshrrev_b32_e32 v4, 16, v4
	s_delay_alu instid0(VALU_DEP_1)
	v_cndmask_b32_e32 v3, 0x7fc0, v4, vcc_lo
.LBB47_1006:
	s_mov_b32 s27, 0
.LBB47_1007:
	s_delay_alu instid0(SALU_CYCLE_1)
	s_and_not1_b32 vcc_lo, exec_lo, s27
	s_cbranch_vccnz .LBB47_1009
; %bb.1008:
	s_wait_loadcnt 0x0
	global_load_b32 v3, v[0:1], off
	s_wait_loadcnt 0x0
	v_cvt_f32_f16_e32 v4, v3
	v_cmp_o_f16_e32 vcc_lo, v3, v3
	s_delay_alu instid0(VALU_DEP_2) | instskip(NEXT) | instid1(VALU_DEP_1)
	v_bfe_u32 v5, v4, 16, 1
	v_add3_u32 v4, v4, v5, 0x7fff
	s_delay_alu instid0(VALU_DEP_1) | instskip(NEXT) | instid1(VALU_DEP_1)
	v_lshrrev_b32_e32 v4, 16, v4
	v_cndmask_b32_e32 v3, 0x7fc0, v4, vcc_lo
.LBB47_1009:
	s_mov_b32 s27, 0
.LBB47_1010:
	s_delay_alu instid0(SALU_CYCLE_1)
	s_and_not1_b32 vcc_lo, exec_lo, s27
	s_cbranch_vccnz .LBB47_1021
; %bb.1011:
	s_cmp_lt_i32 s0, 6
	s_cbranch_scc1 .LBB47_1014
; %bb.1012:
	s_cmp_gt_i32 s0, 6
	s_cbranch_scc0 .LBB47_1015
; %bb.1013:
	global_load_b64 v[4:5], v[0:1], off
	s_mov_b32 s27, 0
	s_wait_loadcnt 0x0
	v_cvt_f32_f64_e32 v3, v[4:5]
	s_delay_alu instid0(VALU_DEP_1) | instskip(SKIP_1) | instid1(VALU_DEP_2)
	v_bfe_u32 v4, v3, 16, 1
	v_cmp_o_f32_e32 vcc_lo, v3, v3
	v_add3_u32 v4, v3, v4, 0x7fff
	s_delay_alu instid0(VALU_DEP_1) | instskip(NEXT) | instid1(VALU_DEP_1)
	v_lshrrev_b32_e32 v4, 16, v4
	v_cndmask_b32_e32 v3, 0x7fc0, v4, vcc_lo
	s_branch .LBB47_1016
.LBB47_1014:
	s_mov_b32 s27, -1
                                        ; implicit-def: $vgpr3
	s_branch .LBB47_1019
.LBB47_1015:
	s_mov_b32 s27, -1
                                        ; implicit-def: $vgpr3
.LBB47_1016:
	s_delay_alu instid0(SALU_CYCLE_1)
	s_and_not1_b32 vcc_lo, exec_lo, s27
	s_cbranch_vccnz .LBB47_1018
; %bb.1017:
	s_wait_loadcnt 0x0
	global_load_b32 v3, v[0:1], off
	s_wait_loadcnt 0x0
	v_bfe_u32 v4, v3, 16, 1
	v_cmp_o_f32_e32 vcc_lo, v3, v3
	s_delay_alu instid0(VALU_DEP_2) | instskip(NEXT) | instid1(VALU_DEP_1)
	v_add3_u32 v4, v3, v4, 0x7fff
	v_lshrrev_b32_e32 v4, 16, v4
	s_delay_alu instid0(VALU_DEP_1)
	v_cndmask_b32_e32 v3, 0x7fc0, v4, vcc_lo
.LBB47_1018:
	s_mov_b32 s27, 0
.LBB47_1019:
	s_delay_alu instid0(SALU_CYCLE_1)
	s_and_not1_b32 vcc_lo, exec_lo, s27
	s_cbranch_vccnz .LBB47_1021
; %bb.1020:
	s_wait_loadcnt 0x0
	global_load_u16 v3, v[0:1], off
	s_wait_loadcnt 0x0
	v_cvt_f32_f16_e32 v4, v3
	v_cmp_o_f16_e32 vcc_lo, v3, v3
	s_delay_alu instid0(VALU_DEP_2) | instskip(NEXT) | instid1(VALU_DEP_1)
	v_bfe_u32 v5, v4, 16, 1
	v_add3_u32 v4, v4, v5, 0x7fff
	s_delay_alu instid0(VALU_DEP_1) | instskip(NEXT) | instid1(VALU_DEP_1)
	v_lshrrev_b32_e32 v4, 16, v4
	v_cndmask_b32_e32 v3, 0x7fc0, v4, vcc_lo
.LBB47_1021:
	s_mov_b32 s27, 0
.LBB47_1022:
	s_delay_alu instid0(SALU_CYCLE_1)
	s_and_not1_b32 vcc_lo, exec_lo, s27
	s_cbranch_vccnz .LBB47_1042
; %bb.1023:
	s_cmp_lt_i32 s0, 2
	s_cbranch_scc1 .LBB47_1027
; %bb.1024:
	s_cmp_lt_i32 s0, 3
	s_cbranch_scc1 .LBB47_1028
; %bb.1025:
	s_cmp_gt_i32 s0, 3
	s_cbranch_scc0 .LBB47_1029
; %bb.1026:
	global_load_b64 v[4:5], v[0:1], off
	s_mov_b32 s27, 0
	s_wait_loadcnt 0x0
	v_xor_b32_e32 v3, v4, v5
	v_cls_i32_e32 v7, v5
	s_delay_alu instid0(VALU_DEP_2) | instskip(NEXT) | instid1(VALU_DEP_1)
	v_ashrrev_i32_e32 v3, 31, v3
	v_add_nc_u32_e32 v3, 32, v3
	s_delay_alu instid0(VALU_DEP_1) | instskip(NEXT) | instid1(VALU_DEP_1)
	v_add_min_u32_e64 v3, v7, -1, v3
	v_lshlrev_b64_e32 v[4:5], v3, v[4:5]
	v_sub_nc_u32_e32 v3, 32, v3
	s_delay_alu instid0(VALU_DEP_2) | instskip(NEXT) | instid1(VALU_DEP_1)
	v_min_u32_e32 v4, 1, v4
	v_or_b32_e32 v4, v5, v4
	s_delay_alu instid0(VALU_DEP_1) | instskip(NEXT) | instid1(VALU_DEP_1)
	v_cvt_f32_i32_e32 v4, v4
	v_ldexp_f32 v3, v4, v3
	s_delay_alu instid0(VALU_DEP_1) | instskip(NEXT) | instid1(VALU_DEP_1)
	v_bfe_u32 v4, v3, 16, 1
	v_add3_u32 v3, v3, v4, 0x7fff
	s_delay_alu instid0(VALU_DEP_1)
	v_lshrrev_b32_e32 v3, 16, v3
	s_branch .LBB47_1030
.LBB47_1027:
	s_mov_b32 s27, -1
                                        ; implicit-def: $vgpr3
	s_branch .LBB47_1036
.LBB47_1028:
	s_mov_b32 s27, -1
                                        ; implicit-def: $vgpr3
	s_branch .LBB47_1033
.LBB47_1029:
	s_mov_b32 s27, -1
                                        ; implicit-def: $vgpr3
.LBB47_1030:
	s_delay_alu instid0(SALU_CYCLE_1)
	s_and_not1_b32 vcc_lo, exec_lo, s27
	s_cbranch_vccnz .LBB47_1032
; %bb.1031:
	s_wait_loadcnt 0x0
	global_load_b32 v3, v[0:1], off
	s_wait_loadcnt 0x0
	v_cvt_f32_i32_e32 v3, v3
	s_delay_alu instid0(VALU_DEP_1) | instskip(NEXT) | instid1(VALU_DEP_1)
	v_bfe_u32 v4, v3, 16, 1
	v_add3_u32 v3, v3, v4, 0x7fff
	s_delay_alu instid0(VALU_DEP_1)
	v_lshrrev_b32_e32 v3, 16, v3
.LBB47_1032:
	s_mov_b32 s27, 0
.LBB47_1033:
	s_delay_alu instid0(SALU_CYCLE_1)
	s_and_not1_b32 vcc_lo, exec_lo, s27
	s_cbranch_vccnz .LBB47_1035
; %bb.1034:
	s_wait_loadcnt 0x0
	global_load_i16 v3, v[0:1], off
	s_wait_loadcnt 0x0
	v_cvt_f32_i32_e32 v3, v3
	s_delay_alu instid0(VALU_DEP_1) | instskip(NEXT) | instid1(VALU_DEP_1)
	v_bfe_u32 v4, v3, 16, 1
	v_add3_u32 v3, v3, v4, 0x7fff
	s_delay_alu instid0(VALU_DEP_1)
	v_lshrrev_b32_e32 v3, 16, v3
.LBB47_1035:
	s_mov_b32 s27, 0
.LBB47_1036:
	s_delay_alu instid0(SALU_CYCLE_1)
	s_and_not1_b32 vcc_lo, exec_lo, s27
	s_cbranch_vccnz .LBB47_1042
; %bb.1037:
	s_cmp_gt_i32 s0, 0
	s_mov_b32 s0, 0
	s_cbranch_scc0 .LBB47_1039
; %bb.1038:
	s_wait_loadcnt 0x0
	global_load_i8 v3, v[0:1], off
	s_wait_loadcnt 0x0
	v_cvt_f32_i32_e32 v3, v3
	s_delay_alu instid0(VALU_DEP_1) | instskip(NEXT) | instid1(VALU_DEP_1)
	v_bfe_u32 v4, v3, 16, 1
	v_add3_u32 v3, v3, v4, 0x7fff
	s_delay_alu instid0(VALU_DEP_1)
	v_lshrrev_b32_e32 v3, 16, v3
	s_branch .LBB47_1040
.LBB47_1039:
	s_mov_b32 s0, -1
                                        ; implicit-def: $vgpr3
.LBB47_1040:
	s_delay_alu instid0(SALU_CYCLE_1)
	s_and_not1_b32 vcc_lo, exec_lo, s0
	s_cbranch_vccnz .LBB47_1042
; %bb.1041:
	global_load_u8 v0, v[0:1], off
	s_wait_loadcnt 0x0
	v_cvt_f32_ubyte0_e32 v0, v0
	s_delay_alu instid0(VALU_DEP_1) | instskip(NEXT) | instid1(VALU_DEP_1)
	v_bfe_u32 v1, v0, 16, 1
	v_add3_u32 v0, v0, v1, 0x7fff
	s_delay_alu instid0(VALU_DEP_1)
	v_lshrrev_b32_e32 v3, 16, v0
.LBB47_1042:
	s_mov_b32 s28, -1
.LBB47_1043:
	s_delay_alu instid0(SALU_CYCLE_1)
	s_and_not1_b32 vcc_lo, exec_lo, s28
	s_cbranch_vccnz .LBB47_1053
; %bb.1044:
	s_wait_loadcnt 0x0
	v_lshlrev_b32_e32 v0, 16, v2
	s_mov_b32 s0, exec_lo
	s_delay_alu instid0(VALU_DEP_1)
	v_cmpx_nlt_f32_e32 0, v0
	s_cbranch_execz .LBB47_1046
; %bb.1045:
	v_lshlrev_b32_e32 v1, 16, v3
	s_delay_alu instid0(VALU_DEP_1) | instskip(NEXT) | instid1(VALU_DEP_1)
	v_mul_f32_e32 v0, v0, v1
	v_bfe_u32 v1, v0, 16, 1
	s_delay_alu instid0(VALU_DEP_1) | instskip(NEXT) | instid1(VALU_DEP_1)
	v_add3_u32 v1, v0, v1, 0x7fff
	v_lshrrev_b32_e32 v1, 16, v1
	v_cmp_o_f32_e32 vcc_lo, v0, v0
	s_delay_alu instid0(VALU_DEP_2)
	v_cndmask_b32_e32 v2, 0x7fc0, v1, vcc_lo
.LBB47_1046:
	s_or_b32 exec_lo, exec_lo, s0
	v_mul_lo_u32 v0, v6, s8
	s_and_b32 s27, s11, 0xff
	s_delay_alu instid0(SALU_CYCLE_1) | instskip(NEXT) | instid1(VALU_DEP_1)
	s_cmp_lt_i32 s27, 11
	v_ashrrev_i32_e32 v1, 31, v0
	s_delay_alu instid0(VALU_DEP_1)
	v_add_nc_u64_e32 v[0:1], s[4:5], v[0:1]
	s_cbranch_scc1 .LBB47_1054
; %bb.1047:
	s_and_b32 s28, 0xffff, s27
	s_delay_alu instid0(SALU_CYCLE_1)
	s_cmp_gt_i32 s28, 25
	s_cbranch_scc0 .LBB47_1055
; %bb.1048:
	s_cmp_gt_i32 s28, 28
	s_cbranch_scc0 .LBB47_1056
; %bb.1049:
	;; [unrolled: 3-line block ×4, first 2 shown]
	s_mov_b32 s30, 0
	s_mov_b32 s0, -1
	s_cmp_eq_u32 s28, 46
	s_mov_b32 s29, 0
	s_cbranch_scc0 .LBB47_1059
; %bb.1052:
	v_and_b32_e32 v3, 0xffff, v2
	s_mov_b32 s29, -1
	s_mov_b32 s0, 0
	global_store_b32 v[0:1], v3, off
	s_branch .LBB47_1059
.LBB47_1053:
	s_mov_b32 s28, 0
	s_mov_b32 s0, s21
	s_branch .LBB47_1170
.LBB47_1054:
	s_mov_b32 s28, -1
	s_mov_b32 s29, 0
	s_mov_b32 s0, s21
	s_branch .LBB47_1128
.LBB47_1055:
	s_mov_b32 s30, -1
	s_mov_b32 s29, 0
	s_mov_b32 s0, s21
	s_branch .LBB47_1086
.LBB47_1056:
	s_mov_b32 s30, -1
	s_mov_b32 s29, 0
	s_mov_b32 s0, s21
	s_branch .LBB47_1069
.LBB47_1057:
	s_mov_b32 s30, -1
	s_mov_b32 s29, 0
	s_mov_b32 s0, s21
	s_branch .LBB47_1065
.LBB47_1058:
	s_mov_b32 s30, -1
	s_mov_b32 s29, 0
	s_mov_b32 s0, s21
.LBB47_1059:
	s_and_b32 vcc_lo, exec_lo, s30
	s_cbranch_vccz .LBB47_1064
; %bb.1060:
	s_cmp_eq_u32 s28, 44
	s_mov_b32 s0, -1
	s_cbranch_scc0 .LBB47_1064
; %bb.1061:
	s_wait_xcnt 0x0
	v_and_b32_e32 v3, 0xffff, v2
	v_mov_b32_e32 v4, 0xff
	s_mov_b32 s29, exec_lo
	s_delay_alu instid0(VALU_DEP_2) | instskip(NEXT) | instid1(VALU_DEP_1)
	v_bfe_u32 v5, v3, 7, 8
	v_cmpx_ne_u32_e32 0xff, v5
	s_cbranch_execz .LBB47_1063
; %bb.1062:
	v_dual_lshlrev_b32 v4, 16, v3 :: v_dual_bitop2_b32 v7, 64, v3 bitop3:0x40
	v_lshrrev_b32_e32 v3, 7, v3
	s_delay_alu instid0(VALU_DEP_2) | instskip(NEXT) | instid1(VALU_DEP_3)
	v_and_or_b32 v4, 0x3f0000, v4, v5
	v_cmp_ne_u32_e32 vcc_lo, 0, v7
	s_delay_alu instid0(VALU_DEP_2) | instskip(SKIP_1) | instid1(SALU_CYCLE_1)
	v_cmp_ne_u32_e64 s0, 0, v4
	s_and_b32 s0, vcc_lo, s0
	v_cndmask_b32_e64 v4, 0, 1, s0
	s_delay_alu instid0(VALU_DEP_1)
	v_add_nc_u32_e32 v4, v3, v4
.LBB47_1063:
	s_or_b32 exec_lo, exec_lo, s29
	s_mov_b32 s29, -1
	s_mov_b32 s0, 0
	global_store_b8 v[0:1], v4, off
.LBB47_1064:
	s_mov_b32 s30, 0
.LBB47_1065:
	s_delay_alu instid0(SALU_CYCLE_1)
	s_and_b32 vcc_lo, exec_lo, s30
	s_cbranch_vccz .LBB47_1068
; %bb.1066:
	s_cmp_eq_u32 s28, 29
	s_mov_b32 s0, -1
	s_cbranch_scc0 .LBB47_1068
; %bb.1067:
	s_wait_xcnt 0x0
	v_lshlrev_b32_e32 v3, 16, v2
	s_mov_b32 s29, -1
	s_mov_b32 s0, 0
	s_mov_b32 s30, 0
	s_delay_alu instid0(VALU_DEP_1) | instskip(NEXT) | instid1(VALU_DEP_1)
	v_trunc_f32_e32 v3, v3
	v_mul_f32_e32 v4, 0x2f800000, v3
	s_delay_alu instid0(VALU_DEP_1) | instskip(NEXT) | instid1(VALU_DEP_1)
	v_floor_f32_e32 v4, v4
	v_fmamk_f32 v3, v4, 0xcf800000, v3
	v_cvt_u32_f32_e32 v5, v4
	s_delay_alu instid0(VALU_DEP_2)
	v_cvt_u32_f32_e32 v4, v3
	global_store_b64 v[0:1], v[4:5], off
	s_branch .LBB47_1069
.LBB47_1068:
	s_mov_b32 s30, 0
.LBB47_1069:
	s_delay_alu instid0(SALU_CYCLE_1)
	s_and_b32 vcc_lo, exec_lo, s30
	s_cbranch_vccz .LBB47_1085
; %bb.1070:
	s_cmp_lt_i32 s28, 27
	s_mov_b32 s29, -1
	s_cbranch_scc1 .LBB47_1076
; %bb.1071:
	s_cmp_gt_i32 s28, 27
	s_cbranch_scc0 .LBB47_1073
; %bb.1072:
	s_wait_xcnt 0x0
	v_lshlrev_b32_e32 v3, 16, v2
	s_mov_b32 s29, 0
	s_delay_alu instid0(VALU_DEP_1)
	v_cvt_u32_f32_e32 v3, v3
	global_store_b32 v[0:1], v3, off
.LBB47_1073:
	s_and_not1_b32 vcc_lo, exec_lo, s29
	s_cbranch_vccnz .LBB47_1075
; %bb.1074:
	s_wait_xcnt 0x0
	v_lshlrev_b32_e32 v3, 16, v2
	s_delay_alu instid0(VALU_DEP_1)
	v_cvt_u32_f32_e32 v3, v3
	global_store_b16 v[0:1], v3, off
.LBB47_1075:
	s_mov_b32 s29, 0
.LBB47_1076:
	s_delay_alu instid0(SALU_CYCLE_1)
	s_and_not1_b32 vcc_lo, exec_lo, s29
	s_cbranch_vccnz .LBB47_1084
; %bb.1077:
	s_wait_xcnt 0x0
	v_lshlrev_b32_e32 v5, 16, v2
	v_mov_b32_e32 v7, 0x80
	s_mov_b32 s29, exec_lo
	s_delay_alu instid0(VALU_DEP_2) | instskip(NEXT) | instid1(VALU_DEP_1)
	v_and_b32_e32 v4, 0x7fffffff, v5
	v_cmpx_gt_u32_e32 0x43800000, v4
	s_cbranch_execz .LBB47_1083
; %bb.1078:
	v_and_b32_e32 v3, 0xffff, v2
	v_cmp_lt_u32_e32 vcc_lo, 0x3bffffff, v4
	s_mov_b32 s30, 0
                                        ; implicit-def: $vgpr4
	s_and_saveexec_b32 s31, vcc_lo
	s_delay_alu instid0(SALU_CYCLE_1)
	s_xor_b32 s31, exec_lo, s31
	s_cbranch_execz .LBB47_1186
; %bb.1079:
	v_bfe_u32 v4, v3, 4, 1
	s_mov_b32 s30, exec_lo
	s_delay_alu instid0(VALU_DEP_1) | instskip(NEXT) | instid1(VALU_DEP_1)
	v_add3_u32 v4, v5, v4, 0x487ffff
                                        ; implicit-def: $vgpr5
	v_lshrrev_b32_e32 v4, 20, v4
	s_and_not1_saveexec_b32 s31, s31
	s_cbranch_execnz .LBB47_1187
.LBB47_1080:
	s_or_b32 exec_lo, exec_lo, s31
	v_mov_b32_e32 v7, 0
	s_and_saveexec_b32 s31, s30
.LBB47_1081:
	v_lshrrev_b32_e32 v3, 8, v3
	s_delay_alu instid0(VALU_DEP_1)
	v_and_or_b32 v7, 0x80, v3, v4
.LBB47_1082:
	s_or_b32 exec_lo, exec_lo, s31
.LBB47_1083:
	s_delay_alu instid0(SALU_CYCLE_1)
	s_or_b32 exec_lo, exec_lo, s29
	global_store_b8 v[0:1], v7, off
.LBB47_1084:
	s_mov_b32 s29, -1
.LBB47_1085:
	s_mov_b32 s30, 0
.LBB47_1086:
	s_delay_alu instid0(SALU_CYCLE_1)
	s_and_b32 vcc_lo, exec_lo, s30
	s_cbranch_vccz .LBB47_1127
; %bb.1087:
	s_cmp_gt_i32 s28, 22
	s_mov_b32 s30, -1
	s_cbranch_scc0 .LBB47_1119
; %bb.1088:
	s_cmp_lt_i32 s28, 24
	s_mov_b32 s29, -1
	s_cbranch_scc1 .LBB47_1108
; %bb.1089:
	s_cmp_gt_i32 s28, 24
	s_cbranch_scc0 .LBB47_1097
; %bb.1090:
	s_wait_xcnt 0x0
	v_lshlrev_b32_e32 v5, 16, v2
	v_mov_b32_e32 v7, 0x80
	s_mov_b32 s29, exec_lo
	s_delay_alu instid0(VALU_DEP_2) | instskip(NEXT) | instid1(VALU_DEP_1)
	v_and_b32_e32 v4, 0x7fffffff, v5
	v_cmpx_gt_u32_e32 0x47800000, v4
	s_cbranch_execz .LBB47_1096
; %bb.1091:
	v_and_b32_e32 v3, 0xffff, v2
	v_cmp_lt_u32_e32 vcc_lo, 0x37ffffff, v4
	s_mov_b32 s30, 0
                                        ; implicit-def: $vgpr4
	s_and_saveexec_b32 s31, vcc_lo
	s_delay_alu instid0(SALU_CYCLE_1)
	s_xor_b32 s31, exec_lo, s31
	s_cbranch_execz .LBB47_2220
; %bb.1092:
	v_bfe_u32 v4, v3, 5, 1
	s_mov_b32 s30, exec_lo
	s_delay_alu instid0(VALU_DEP_1) | instskip(NEXT) | instid1(VALU_DEP_1)
	v_add3_u32 v4, v5, v4, 0x88fffff
                                        ; implicit-def: $vgpr5
	v_lshrrev_b32_e32 v4, 21, v4
	s_and_not1_saveexec_b32 s31, s31
	s_cbranch_execnz .LBB47_2221
.LBB47_1093:
	s_or_b32 exec_lo, exec_lo, s31
	v_mov_b32_e32 v7, 0
	s_and_saveexec_b32 s31, s30
.LBB47_1094:
	v_lshrrev_b32_e32 v3, 8, v3
	s_delay_alu instid0(VALU_DEP_1)
	v_and_or_b32 v7, 0x80, v3, v4
.LBB47_1095:
	s_or_b32 exec_lo, exec_lo, s31
.LBB47_1096:
	s_delay_alu instid0(SALU_CYCLE_1)
	s_or_b32 exec_lo, exec_lo, s29
	s_mov_b32 s29, 0
	global_store_b8 v[0:1], v7, off
.LBB47_1097:
	s_and_b32 vcc_lo, exec_lo, s29
	s_cbranch_vccz .LBB47_1107
; %bb.1098:
	s_wait_xcnt 0x0
	v_lshlrev_b32_e32 v5, 16, v2
	v_and_b32_e32 v3, 0xffff, v2
	s_mov_b32 s29, exec_lo
                                        ; implicit-def: $vgpr4
	s_delay_alu instid0(VALU_DEP_2) | instskip(NEXT) | instid1(VALU_DEP_1)
	v_and_b32_e32 v7, 0x7fffffff, v5
	v_cmpx_gt_u32_e32 0x43f00000, v7
	s_xor_b32 s29, exec_lo, s29
	s_cbranch_execz .LBB47_1104
; %bb.1099:
	s_mov_b32 s30, exec_lo
                                        ; implicit-def: $vgpr4
	v_cmpx_lt_u32_e32 0x3c7fffff, v7
	s_xor_b32 s30, exec_lo, s30
; %bb.1100:
	v_bfe_u32 v4, v3, 4, 1
	s_delay_alu instid0(VALU_DEP_1) | instskip(NEXT) | instid1(VALU_DEP_1)
	v_add3_u32 v4, v5, v4, 0x407ffff
	v_and_b32_e32 v5, 0xff00000, v4
	v_lshrrev_b32_e32 v4, 20, v4
	s_delay_alu instid0(VALU_DEP_2) | instskip(NEXT) | instid1(VALU_DEP_2)
	v_cmp_ne_u32_e32 vcc_lo, 0x7f00000, v5
                                        ; implicit-def: $vgpr5
	v_cndmask_b32_e32 v4, 0x7e, v4, vcc_lo
; %bb.1101:
	s_and_not1_saveexec_b32 s30, s30
; %bb.1102:
	v_add_f32_e64 v4, 0x46800000, |v5|
; %bb.1103:
	s_or_b32 exec_lo, exec_lo, s30
                                        ; implicit-def: $vgpr7
.LBB47_1104:
	s_and_not1_saveexec_b32 s29, s29
; %bb.1105:
	v_mov_b32_e32 v4, 0x7f
	v_cmp_lt_u32_e32 vcc_lo, 0x7f800000, v7
	s_delay_alu instid0(VALU_DEP_2)
	v_cndmask_b32_e32 v4, 0x7e, v4, vcc_lo
; %bb.1106:
	s_or_b32 exec_lo, exec_lo, s29
	v_lshrrev_b32_e32 v3, 8, v3
	s_delay_alu instid0(VALU_DEP_1)
	v_and_or_b32 v3, 0x80, v3, v4
	global_store_b8 v[0:1], v3, off
.LBB47_1107:
	s_mov_b32 s29, 0
.LBB47_1108:
	s_delay_alu instid0(SALU_CYCLE_1)
	s_and_not1_b32 vcc_lo, exec_lo, s29
	s_cbranch_vccnz .LBB47_1118
; %bb.1109:
	s_wait_xcnt 0x0
	v_lshlrev_b32_e32 v5, 16, v2
	v_and_b32_e32 v3, 0xffff, v2
	s_mov_b32 s29, exec_lo
                                        ; implicit-def: $vgpr4
	s_delay_alu instid0(VALU_DEP_2) | instskip(NEXT) | instid1(VALU_DEP_1)
	v_and_b32_e32 v7, 0x7fffffff, v5
	v_cmpx_gt_u32_e32 0x47800000, v7
	s_xor_b32 s29, exec_lo, s29
	s_cbranch_execz .LBB47_1115
; %bb.1110:
	s_mov_b32 s30, exec_lo
                                        ; implicit-def: $vgpr4
	v_cmpx_lt_u32_e32 0x387fffff, v7
	s_xor_b32 s30, exec_lo, s30
; %bb.1111:
	v_bfe_u32 v4, v3, 5, 1
	s_delay_alu instid0(VALU_DEP_1) | instskip(NEXT) | instid1(VALU_DEP_1)
	v_add3_u32 v4, v5, v4, 0x80fffff
                                        ; implicit-def: $vgpr5
	v_lshrrev_b32_e32 v4, 21, v4
; %bb.1112:
	s_and_not1_saveexec_b32 s30, s30
; %bb.1113:
	v_add_f32_e64 v4, 0x43000000, |v5|
; %bb.1114:
	s_or_b32 exec_lo, exec_lo, s30
                                        ; implicit-def: $vgpr7
.LBB47_1115:
	s_and_not1_saveexec_b32 s29, s29
; %bb.1116:
	v_mov_b32_e32 v4, 0x7f
	v_cmp_lt_u32_e32 vcc_lo, 0x7f800000, v7
	s_delay_alu instid0(VALU_DEP_2)
	v_cndmask_b32_e32 v4, 0x7c, v4, vcc_lo
; %bb.1117:
	s_or_b32 exec_lo, exec_lo, s29
	v_lshrrev_b32_e32 v3, 8, v3
	s_delay_alu instid0(VALU_DEP_1)
	v_and_or_b32 v3, 0x80, v3, v4
	global_store_b8 v[0:1], v3, off
.LBB47_1118:
	s_mov_b32 s30, 0
	s_mov_b32 s29, -1
.LBB47_1119:
	s_and_not1_b32 vcc_lo, exec_lo, s30
	s_cbranch_vccnz .LBB47_1127
; %bb.1120:
	s_cmp_gt_i32 s28, 14
	s_mov_b32 s30, -1
	s_cbranch_scc0 .LBB47_1124
; %bb.1121:
	s_cmp_eq_u32 s28, 15
	s_mov_b32 s0, -1
	s_cbranch_scc0 .LBB47_1123
; %bb.1122:
	s_mov_b32 s29, -1
	s_mov_b32 s0, 0
	global_store_b16 v[0:1], v2, off
.LBB47_1123:
	s_mov_b32 s30, 0
.LBB47_1124:
	s_delay_alu instid0(SALU_CYCLE_1)
	s_and_b32 vcc_lo, exec_lo, s30
	s_cbranch_vccz .LBB47_1127
; %bb.1125:
	s_cmp_eq_u32 s28, 11
	s_mov_b32 s0, -1
	s_cbranch_scc0 .LBB47_1127
; %bb.1126:
	s_wait_xcnt 0x0
	v_and_b32_e32 v3, 0x7fff, v2
	s_mov_b32 s0, 0
	s_mov_b32 s29, -1
	s_delay_alu instid0(VALU_DEP_1)
	v_cmp_ne_u16_e32 vcc_lo, 0, v3
	v_cndmask_b32_e64 v3, 0, 1, vcc_lo
	global_store_b8 v[0:1], v3, off
.LBB47_1127:
	s_mov_b32 s28, 0
.LBB47_1128:
	s_delay_alu instid0(SALU_CYCLE_1)
	s_and_b32 vcc_lo, exec_lo, s28
	s_cbranch_vccz .LBB47_1167
; %bb.1129:
	s_and_b32 s27, 0xffff, s27
	s_mov_b32 s28, -1
	s_cmp_lt_i32 s27, 5
	s_cbranch_scc1 .LBB47_1150
; %bb.1130:
	s_cmp_lt_i32 s27, 8
	s_cbranch_scc1 .LBB47_1140
; %bb.1131:
	;; [unrolled: 3-line block ×3, first 2 shown]
	s_cmp_gt_i32 s27, 9
	s_cbranch_scc0 .LBB47_1134
; %bb.1133:
	s_wait_xcnt 0x0
	v_dual_mov_b32 v10, 0 :: v_dual_lshlrev_b32 v3, 16, v2
	s_mov_b32 s28, 0
	s_delay_alu instid0(VALU_DEP_1) | instskip(NEXT) | instid1(VALU_DEP_2)
	v_cvt_f64_f32_e32 v[8:9], v3
	v_mov_b32_e32 v11, v10
	global_store_b128 v[0:1], v[8:11], off
.LBB47_1134:
	s_and_not1_b32 vcc_lo, exec_lo, s28
	s_cbranch_vccnz .LBB47_1136
; %bb.1135:
	s_wait_xcnt 0x0
	v_dual_mov_b32 v5, 0 :: v_dual_lshlrev_b32 v4, 16, v2
	global_store_b64 v[0:1], v[4:5], off
.LBB47_1136:
	s_mov_b32 s28, 0
.LBB47_1137:
	s_delay_alu instid0(SALU_CYCLE_1)
	s_and_not1_b32 vcc_lo, exec_lo, s28
	s_cbranch_vccnz .LBB47_1139
; %bb.1138:
	s_wait_xcnt 0x0
	v_lshlrev_b32_e32 v3, 16, v2
	s_delay_alu instid0(VALU_DEP_1) | instskip(NEXT) | instid1(VALU_DEP_1)
	v_cvt_f16_f32_e32 v3, v3
	v_and_b32_e32 v3, 0xffff, v3
	global_store_b32 v[0:1], v3, off
.LBB47_1139:
	s_mov_b32 s28, 0
.LBB47_1140:
	s_delay_alu instid0(SALU_CYCLE_1)
	s_and_not1_b32 vcc_lo, exec_lo, s28
	s_cbranch_vccnz .LBB47_1149
; %bb.1141:
	s_cmp_lt_i32 s27, 6
	s_mov_b32 s28, -1
	s_cbranch_scc1 .LBB47_1147
; %bb.1142:
	s_cmp_gt_i32 s27, 6
	s_cbranch_scc0 .LBB47_1144
; %bb.1143:
	s_wait_xcnt 0x0
	v_lshlrev_b32_e32 v3, 16, v2
	s_mov_b32 s28, 0
	s_delay_alu instid0(VALU_DEP_1)
	v_cvt_f64_f32_e32 v[4:5], v3
	global_store_b64 v[0:1], v[4:5], off
.LBB47_1144:
	s_and_not1_b32 vcc_lo, exec_lo, s28
	s_cbranch_vccnz .LBB47_1146
; %bb.1145:
	s_wait_xcnt 0x0
	v_lshlrev_b32_e32 v3, 16, v2
	global_store_b32 v[0:1], v3, off
.LBB47_1146:
	s_mov_b32 s28, 0
.LBB47_1147:
	s_delay_alu instid0(SALU_CYCLE_1)
	s_and_not1_b32 vcc_lo, exec_lo, s28
	s_cbranch_vccnz .LBB47_1149
; %bb.1148:
	s_wait_xcnt 0x0
	v_lshlrev_b32_e32 v3, 16, v2
	s_delay_alu instid0(VALU_DEP_1)
	v_cvt_f16_f32_e32 v3, v3
	global_store_b16 v[0:1], v3, off
.LBB47_1149:
	s_mov_b32 s28, 0
.LBB47_1150:
	s_delay_alu instid0(SALU_CYCLE_1)
	s_and_not1_b32 vcc_lo, exec_lo, s28
	s_cbranch_vccnz .LBB47_1166
; %bb.1151:
	s_cmp_lt_i32 s27, 2
	s_mov_b32 s28, -1
	s_cbranch_scc1 .LBB47_1161
; %bb.1152:
	s_cmp_lt_i32 s27, 3
	s_cbranch_scc1 .LBB47_1158
; %bb.1153:
	s_cmp_gt_i32 s27, 3
	s_cbranch_scc0 .LBB47_1155
; %bb.1154:
	s_wait_xcnt 0x0
	v_lshlrev_b32_e32 v3, 16, v2
	s_mov_b32 s28, 0
	s_delay_alu instid0(VALU_DEP_1) | instskip(NEXT) | instid1(VALU_DEP_1)
	v_trunc_f32_e32 v3, v3
	v_mul_f32_e64 v4, 0x2f800000, |v3|
	s_delay_alu instid0(VALU_DEP_1) | instskip(SKIP_1) | instid1(VALU_DEP_2)
	v_floor_f32_e32 v5, v4
	v_ashrrev_i32_e32 v4, 31, v3
	v_fma_f32 v7, 0xcf800000, v5, |v3|
	v_cvt_u32_f32_e32 v3, v5
	s_delay_alu instid0(VALU_DEP_3) | instskip(NEXT) | instid1(VALU_DEP_3)
	v_mov_b32_e32 v5, v4
	v_cvt_u32_f32_e32 v7, v7
	s_delay_alu instid0(VALU_DEP_3) | instskip(NEXT) | instid1(VALU_DEP_2)
	v_xor_b32_e32 v9, v3, v4
	v_xor_b32_e32 v8, v7, v4
	s_delay_alu instid0(VALU_DEP_1)
	v_sub_nc_u64_e32 v[4:5], v[8:9], v[4:5]
	global_store_b64 v[0:1], v[4:5], off
.LBB47_1155:
	s_and_not1_b32 vcc_lo, exec_lo, s28
	s_cbranch_vccnz .LBB47_1157
; %bb.1156:
	s_wait_xcnt 0x0
	v_lshlrev_b32_e32 v3, 16, v2
	s_delay_alu instid0(VALU_DEP_1)
	v_cvt_i32_f32_e32 v3, v3
	global_store_b32 v[0:1], v3, off
.LBB47_1157:
	s_mov_b32 s28, 0
.LBB47_1158:
	s_delay_alu instid0(SALU_CYCLE_1)
	s_and_not1_b32 vcc_lo, exec_lo, s28
	s_cbranch_vccnz .LBB47_1160
; %bb.1159:
	s_wait_xcnt 0x0
	v_lshlrev_b32_e32 v3, 16, v2
	s_delay_alu instid0(VALU_DEP_1)
	v_cvt_i32_f32_e32 v3, v3
	global_store_b16 v[0:1], v3, off
.LBB47_1160:
	s_mov_b32 s28, 0
.LBB47_1161:
	s_delay_alu instid0(SALU_CYCLE_1)
	s_and_not1_b32 vcc_lo, exec_lo, s28
	s_cbranch_vccnz .LBB47_1166
; %bb.1162:
	s_wait_xcnt 0x0
	v_lshlrev_b32_e32 v2, 16, v2
	s_cmp_gt_i32 s27, 0
	s_mov_b32 s27, -1
	s_cbranch_scc0 .LBB47_1164
; %bb.1163:
	s_delay_alu instid0(VALU_DEP_1)
	v_cvt_i32_f32_e32 v3, v2
	s_mov_b32 s27, 0
	global_store_b8 v[0:1], v3, off
.LBB47_1164:
	s_and_not1_b32 vcc_lo, exec_lo, s27
	s_cbranch_vccnz .LBB47_1166
; %bb.1165:
	v_trunc_f32_e32 v2, v2
	s_wait_xcnt 0x0
	s_delay_alu instid0(VALU_DEP_1) | instskip(NEXT) | instid1(VALU_DEP_1)
	v_mul_f32_e64 v3, 0x2f800000, |v2|
	v_floor_f32_e32 v3, v3
	s_delay_alu instid0(VALU_DEP_1) | instskip(SKIP_1) | instid1(VALU_DEP_2)
	v_fma_f32 v3, 0xcf800000, v3, |v2|
	v_ashrrev_i32_e32 v2, 31, v2
	v_cvt_u32_f32_e32 v3, v3
	s_delay_alu instid0(VALU_DEP_1) | instskip(NEXT) | instid1(VALU_DEP_1)
	v_xor_b32_e32 v3, v3, v2
	v_sub_nc_u32_e32 v2, v3, v2
	global_store_b8 v[0:1], v2, off
.LBB47_1166:
	s_mov_b32 s29, -1
.LBB47_1167:
	s_delay_alu instid0(SALU_CYCLE_1)
	s_and_not1_b32 vcc_lo, exec_lo, s29
	s_cbranch_vccnz .LBB47_1169
; %bb.1168:
	v_add_nc_u32_e32 v6, 0x80, v6
	s_mov_b32 s28, -1
	s_branch .LBB47_1171
.LBB47_1169:
	s_mov_b32 s28, 0
.LBB47_1170:
                                        ; implicit-def: $vgpr6
.LBB47_1171:
	s_and_not1_b32 s27, s21, exec_lo
	s_and_b32 s0, s0, exec_lo
	s_and_b32 s26, s26, exec_lo
	s_or_b32 s27, s27, s0
	s_and_not1_b32 s0, s22, exec_lo
	s_and_not1_b32 s29, s20, exec_lo
	s_and_b32 s25, s25, exec_lo
	s_or_b32 s26, s0, s26
	s_or_b32 s25, s29, s25
	s_or_not1_b32 s31, s28, exec_lo
.LBB47_1172:
	s_wait_xcnt 0x0
	s_or_b32 exec_lo, exec_lo, s24
	s_mov_b32 s28, 0
	s_mov_b32 s29, 0
	;; [unrolled: 1-line block ×3, first 2 shown]
                                        ; implicit-def: $sgpr0
                                        ; implicit-def: $vgpr0_vgpr1
                                        ; implicit-def: $vgpr2
	s_and_saveexec_b32 s24, s31
	s_cbranch_execz .LBB47_1255
; %bb.1173:
	v_cmp_gt_i32_e32 vcc_lo, s16, v6
	s_mov_b32 s33, s25
	s_mov_b32 s31, 0
	;; [unrolled: 1-line block ×3, first 2 shown]
                                        ; implicit-def: $sgpr0
                                        ; implicit-def: $vgpr0_vgpr1
                                        ; implicit-def: $vgpr2
	s_and_saveexec_b32 s16, vcc_lo
	s_cbranch_execz .LBB47_1254
; %bb.1174:
	v_mul_lo_u32 v0, v6, s9
	s_and_b32 s0, s13, 0xff
	s_delay_alu instid0(SALU_CYCLE_1) | instskip(NEXT) | instid1(VALU_DEP_1)
	s_cmp_lt_i32 s0, 11
	v_ashrrev_i32_e32 v1, 31, v0
	s_delay_alu instid0(VALU_DEP_1)
	v_add_nc_u64_e32 v[0:1], s[6:7], v[0:1]
	s_cbranch_scc1 .LBB47_1181
; %bb.1175:
	s_and_b32 s28, 0xffff, s0
	s_delay_alu instid0(SALU_CYCLE_1)
	s_cmp_gt_i32 s28, 25
	s_cbranch_scc0 .LBB47_1182
; %bb.1176:
	s_cmp_gt_i32 s28, 28
	s_cbranch_scc0 .LBB47_1183
; %bb.1177:
	;; [unrolled: 3-line block ×4, first 2 shown]
	s_cmp_eq_u32 s28, 46
	s_mov_b32 s33, 0
	s_cbranch_scc0 .LBB47_1188
; %bb.1180:
	s_wait_loadcnt 0x0
	global_load_b32 v2, v[0:1], off
	s_mov_b32 s31, -1
	s_branch .LBB47_1190
.LBB47_1181:
	s_mov_b32 s28, -1
	s_mov_b32 s29, s25
                                        ; implicit-def: $vgpr2
	s_branch .LBB47_1253
.LBB47_1182:
	s_mov_b32 s33, -1
	s_mov_b32 s29, s25
                                        ; implicit-def: $vgpr2
	s_branch .LBB47_1219
.LBB47_1183:
	s_mov_b32 s33, -1
	s_mov_b32 s29, s25
                                        ; implicit-def: $vgpr2
	s_branch .LBB47_1200
.LBB47_1184:
	s_mov_b32 s33, -1
	s_mov_b32 s29, s25
                                        ; implicit-def: $vgpr2
	s_branch .LBB47_1195
.LBB47_1185:
	s_mov_b32 s33, -1
	s_mov_b32 s29, s25
	s_branch .LBB47_1189
.LBB47_1186:
	s_and_not1_saveexec_b32 s31, s31
	s_cbranch_execz .LBB47_1080
.LBB47_1187:
	v_add_f32_e64 v4, 0x46000000, |v5|
	s_and_not1_b32 s30, s30, exec_lo
	s_delay_alu instid0(VALU_DEP_1) | instskip(NEXT) | instid1(VALU_DEP_1)
	v_and_b32_e32 v4, 0xff, v4
	v_cmp_ne_u32_e32 vcc_lo, 0, v4
	s_and_b32 s33, vcc_lo, exec_lo
	s_delay_alu instid0(SALU_CYCLE_1)
	s_or_b32 s30, s30, s33
	s_or_b32 exec_lo, exec_lo, s31
	v_mov_b32_e32 v7, 0
	s_and_saveexec_b32 s31, s30
	s_cbranch_execnz .LBB47_1081
	s_branch .LBB47_1082
.LBB47_1188:
	s_mov_b32 s29, -1
.LBB47_1189:
                                        ; implicit-def: $vgpr2
.LBB47_1190:
	s_and_b32 vcc_lo, exec_lo, s33
	s_cbranch_vccz .LBB47_1194
; %bb.1191:
	s_cmp_eq_u32 s28, 44
	s_cbranch_scc0 .LBB47_1193
; %bb.1192:
	s_wait_loadcnt 0x0
	global_load_u8 v2, v[0:1], off
	s_mov_b32 s29, 0
	s_mov_b32 s31, -1
	s_wait_loadcnt 0x0
	v_lshlrev_b32_e32 v3, 23, v2
	v_cmp_ne_u32_e32 vcc_lo, 0xff, v2
	s_delay_alu instid0(VALU_DEP_2) | instskip(SKIP_1) | instid1(VALU_DEP_2)
	v_cndmask_b32_e32 v3, 0x7f800001, v3, vcc_lo
	v_cmp_ne_u32_e32 vcc_lo, 0, v2
	v_cndmask_b32_e32 v2, 0x400000, v3, vcc_lo
	s_delay_alu instid0(VALU_DEP_1) | instskip(NEXT) | instid1(VALU_DEP_1)
	v_add_nc_u32_e32 v3, 0x7fff, v2
	v_lshrrev_b32_e32 v3, 16, v3
	v_cmp_o_f32_e32 vcc_lo, v2, v2
	s_delay_alu instid0(VALU_DEP_2)
	v_cndmask_b32_e32 v2, 0x7fc0, v3, vcc_lo
	s_branch .LBB47_1194
.LBB47_1193:
	s_mov_b32 s29, -1
                                        ; implicit-def: $vgpr2
.LBB47_1194:
	s_mov_b32 s33, 0
.LBB47_1195:
	s_delay_alu instid0(SALU_CYCLE_1)
	s_and_b32 vcc_lo, exec_lo, s33
	s_cbranch_vccz .LBB47_1199
; %bb.1196:
	s_cmp_eq_u32 s28, 29
	s_cbranch_scc0 .LBB47_1198
; %bb.1197:
	s_wait_loadcnt 0x0
	global_load_b64 v[2:3], v[0:1], off
	s_mov_b32 s29, 0
	s_mov_b32 s31, -1
	s_mov_b32 s33, 0
	s_wait_loadcnt 0x0
	v_clz_i32_u32_e32 v4, v3
	s_delay_alu instid0(VALU_DEP_1) | instskip(NEXT) | instid1(VALU_DEP_1)
	v_min_u32_e32 v4, 32, v4
	v_lshlrev_b64_e32 v[2:3], v4, v[2:3]
	s_delay_alu instid0(VALU_DEP_1) | instskip(NEXT) | instid1(VALU_DEP_1)
	v_min_u32_e32 v2, 1, v2
	v_dual_sub_nc_u32 v3, 32, v4 :: v_dual_bitop2_b32 v2, v3, v2 bitop3:0x54
	s_delay_alu instid0(VALU_DEP_1) | instskip(NEXT) | instid1(VALU_DEP_1)
	v_cvt_f32_u32_e32 v2, v2
	v_ldexp_f32 v2, v2, v3
	s_delay_alu instid0(VALU_DEP_1) | instskip(NEXT) | instid1(VALU_DEP_1)
	v_bfe_u32 v3, v2, 16, 1
	v_add3_u32 v2, v2, v3, 0x7fff
	s_delay_alu instid0(VALU_DEP_1)
	v_lshrrev_b32_e32 v2, 16, v2
	s_branch .LBB47_1200
.LBB47_1198:
	s_mov_b32 s29, -1
                                        ; implicit-def: $vgpr2
.LBB47_1199:
	s_mov_b32 s33, 0
.LBB47_1200:
	s_delay_alu instid0(SALU_CYCLE_1)
	s_and_b32 vcc_lo, exec_lo, s33
	s_cbranch_vccz .LBB47_1218
; %bb.1201:
	s_cmp_lt_i32 s28, 27
	s_cbranch_scc1 .LBB47_1204
; %bb.1202:
	s_cmp_gt_i32 s28, 27
	s_cbranch_scc0 .LBB47_1205
; %bb.1203:
	s_wait_loadcnt 0x0
	global_load_b32 v2, v[0:1], off
	s_mov_b32 s31, 0
	s_wait_loadcnt 0x0
	v_cvt_f32_u32_e32 v2, v2
	s_delay_alu instid0(VALU_DEP_1) | instskip(NEXT) | instid1(VALU_DEP_1)
	v_bfe_u32 v3, v2, 16, 1
	v_add3_u32 v2, v2, v3, 0x7fff
	s_delay_alu instid0(VALU_DEP_1)
	v_lshrrev_b32_e32 v2, 16, v2
	s_branch .LBB47_1206
.LBB47_1204:
	s_mov_b32 s31, -1
                                        ; implicit-def: $vgpr2
	s_branch .LBB47_1209
.LBB47_1205:
	s_mov_b32 s31, -1
                                        ; implicit-def: $vgpr2
.LBB47_1206:
	s_delay_alu instid0(SALU_CYCLE_1)
	s_and_not1_b32 vcc_lo, exec_lo, s31
	s_cbranch_vccnz .LBB47_1208
; %bb.1207:
	s_wait_loadcnt 0x0
	global_load_u16 v2, v[0:1], off
	s_wait_loadcnt 0x0
	v_cvt_f32_u32_e32 v2, v2
	s_delay_alu instid0(VALU_DEP_1) | instskip(NEXT) | instid1(VALU_DEP_1)
	v_bfe_u32 v3, v2, 16, 1
	v_add3_u32 v2, v2, v3, 0x7fff
	s_delay_alu instid0(VALU_DEP_1)
	v_lshrrev_b32_e32 v2, 16, v2
.LBB47_1208:
	s_mov_b32 s31, 0
.LBB47_1209:
	s_delay_alu instid0(SALU_CYCLE_1)
	s_and_not1_b32 vcc_lo, exec_lo, s31
	s_cbranch_vccnz .LBB47_1217
; %bb.1210:
	s_wait_loadcnt 0x0
	global_load_u8 v2, v[0:1], off
	s_mov_b32 s31, 0
	s_mov_b32 s33, exec_lo
	s_wait_loadcnt 0x0
	v_cmpx_lt_i16_e32 0x7f, v2
	s_xor_b32 s33, exec_lo, s33
	s_cbranch_execz .LBB47_1231
; %bb.1211:
	s_mov_b32 s31, -1
	s_mov_b32 s34, exec_lo
	v_cmpx_eq_u16_e32 0x80, v2
; %bb.1212:
	s_xor_b32 s31, exec_lo, -1
; %bb.1213:
	s_or_b32 exec_lo, exec_lo, s34
	s_delay_alu instid0(SALU_CYCLE_1)
	s_and_b32 s31, s31, exec_lo
	s_or_saveexec_b32 s33, s33
	v_mov_b32_e32 v3, 0x7f800001
	s_xor_b32 exec_lo, exec_lo, s33
	s_cbranch_execnz .LBB47_1232
.LBB47_1214:
	s_or_b32 exec_lo, exec_lo, s33
	s_and_saveexec_b32 s33, s31
	s_cbranch_execz .LBB47_1216
.LBB47_1215:
	v_and_b32_e32 v3, 0xffff, v2
	s_delay_alu instid0(VALU_DEP_1) | instskip(SKIP_1) | instid1(VALU_DEP_2)
	v_and_b32_e32 v4, 7, v3
	v_bfe_u32 v8, v3, 3, 4
	v_clz_i32_u32_e32 v5, v4
	s_delay_alu instid0(VALU_DEP_2) | instskip(NEXT) | instid1(VALU_DEP_2)
	v_cmp_eq_u32_e32 vcc_lo, 0, v8
	v_min_u32_e32 v5, 32, v5
	s_delay_alu instid0(VALU_DEP_1) | instskip(NEXT) | instid1(VALU_DEP_1)
	v_subrev_nc_u32_e32 v7, 28, v5
	v_dual_lshlrev_b32 v3, v7, v3 :: v_dual_sub_nc_u32 v5, 29, v5
	s_delay_alu instid0(VALU_DEP_1) | instskip(NEXT) | instid1(VALU_DEP_2)
	v_dual_lshlrev_b32 v2, 24, v2 :: v_dual_bitop2_b32 v3, 7, v3 bitop3:0x40
	v_cndmask_b32_e32 v5, v8, v5, vcc_lo
	s_delay_alu instid0(VALU_DEP_2) | instskip(NEXT) | instid1(VALU_DEP_3)
	v_cndmask_b32_e32 v3, v4, v3, vcc_lo
	v_and_b32_e32 v2, 0x80000000, v2
	s_delay_alu instid0(VALU_DEP_3) | instskip(NEXT) | instid1(VALU_DEP_3)
	v_lshl_add_u32 v4, v5, 23, 0x3b800000
	v_lshlrev_b32_e32 v3, 20, v3
	s_delay_alu instid0(VALU_DEP_1)
	v_or3_b32 v3, v2, v4, v3
.LBB47_1216:
	s_or_b32 exec_lo, exec_lo, s33
	s_delay_alu instid0(VALU_DEP_1) | instskip(SKIP_1) | instid1(VALU_DEP_2)
	v_bfe_u32 v2, v3, 16, 1
	v_cmp_o_f32_e32 vcc_lo, v3, v3
	v_add3_u32 v2, v3, v2, 0x7fff
	s_delay_alu instid0(VALU_DEP_1) | instskip(NEXT) | instid1(VALU_DEP_1)
	v_lshrrev_b32_e32 v2, 16, v2
	v_cndmask_b32_e32 v2, 0x7fc0, v2, vcc_lo
.LBB47_1217:
	s_mov_b32 s31, -1
.LBB47_1218:
	s_mov_b32 s33, 0
.LBB47_1219:
	s_delay_alu instid0(SALU_CYCLE_1)
	s_and_b32 vcc_lo, exec_lo, s33
	s_cbranch_vccz .LBB47_1252
; %bb.1220:
	s_cmp_gt_i32 s28, 22
	s_cbranch_scc0 .LBB47_1230
; %bb.1221:
	s_cmp_lt_i32 s28, 24
	s_cbranch_scc1 .LBB47_1233
; %bb.1222:
	s_cmp_gt_i32 s28, 24
	s_cbranch_scc0 .LBB47_1234
; %bb.1223:
	s_wait_loadcnt 0x0
	global_load_u8 v2, v[0:1], off
	s_mov_b32 s31, exec_lo
	s_wait_loadcnt 0x0
	v_cmpx_lt_i16_e32 0x7f, v2
	s_xor_b32 s31, exec_lo, s31
	s_cbranch_execz .LBB47_1246
; %bb.1224:
	s_mov_b32 s30, -1
	s_mov_b32 s33, exec_lo
	v_cmpx_eq_u16_e32 0x80, v2
; %bb.1225:
	s_xor_b32 s30, exec_lo, -1
; %bb.1226:
	s_or_b32 exec_lo, exec_lo, s33
	s_delay_alu instid0(SALU_CYCLE_1)
	s_and_b32 s30, s30, exec_lo
	s_or_saveexec_b32 s31, s31
	v_mov_b32_e32 v3, 0x7f800001
	s_xor_b32 exec_lo, exec_lo, s31
	s_cbranch_execnz .LBB47_1247
.LBB47_1227:
	s_or_b32 exec_lo, exec_lo, s31
	s_and_saveexec_b32 s31, s30
	s_cbranch_execz .LBB47_1229
.LBB47_1228:
	v_and_b32_e32 v3, 0xffff, v2
	s_delay_alu instid0(VALU_DEP_1) | instskip(SKIP_1) | instid1(VALU_DEP_2)
	v_and_b32_e32 v4, 3, v3
	v_bfe_u32 v8, v3, 2, 5
	v_clz_i32_u32_e32 v5, v4
	s_delay_alu instid0(VALU_DEP_2) | instskip(NEXT) | instid1(VALU_DEP_2)
	v_cmp_eq_u32_e32 vcc_lo, 0, v8
	v_min_u32_e32 v5, 32, v5
	s_delay_alu instid0(VALU_DEP_1) | instskip(NEXT) | instid1(VALU_DEP_1)
	v_subrev_nc_u32_e32 v7, 29, v5
	v_dual_lshlrev_b32 v3, v7, v3 :: v_dual_sub_nc_u32 v5, 30, v5
	s_delay_alu instid0(VALU_DEP_1) | instskip(NEXT) | instid1(VALU_DEP_2)
	v_dual_lshlrev_b32 v2, 24, v2 :: v_dual_bitop2_b32 v3, 3, v3 bitop3:0x40
	v_cndmask_b32_e32 v5, v8, v5, vcc_lo
	s_delay_alu instid0(VALU_DEP_2) | instskip(NEXT) | instid1(VALU_DEP_3)
	v_cndmask_b32_e32 v3, v4, v3, vcc_lo
	v_and_b32_e32 v2, 0x80000000, v2
	s_delay_alu instid0(VALU_DEP_3) | instskip(NEXT) | instid1(VALU_DEP_3)
	v_lshl_add_u32 v4, v5, 23, 0x37800000
	v_lshlrev_b32_e32 v3, 21, v3
	s_delay_alu instid0(VALU_DEP_1)
	v_or3_b32 v3, v2, v4, v3
.LBB47_1229:
	s_or_b32 exec_lo, exec_lo, s31
	s_delay_alu instid0(VALU_DEP_1) | instskip(SKIP_2) | instid1(VALU_DEP_2)
	v_bfe_u32 v2, v3, 16, 1
	v_cmp_o_f32_e32 vcc_lo, v3, v3
	s_mov_b32 s30, 0
	v_add3_u32 v2, v3, v2, 0x7fff
	s_delay_alu instid0(VALU_DEP_1) | instskip(NEXT) | instid1(VALU_DEP_1)
	v_lshrrev_b32_e32 v2, 16, v2
	v_cndmask_b32_e32 v2, 0x7fc0, v2, vcc_lo
	s_branch .LBB47_1235
.LBB47_1230:
	s_mov_b32 s30, -1
                                        ; implicit-def: $vgpr2
	s_branch .LBB47_1241
.LBB47_1231:
	s_or_saveexec_b32 s33, s33
	v_mov_b32_e32 v3, 0x7f800001
	s_xor_b32 exec_lo, exec_lo, s33
	s_cbranch_execz .LBB47_1214
.LBB47_1232:
	v_cmp_ne_u16_e32 vcc_lo, 0, v2
	v_mov_b32_e32 v3, 0
	s_and_not1_b32 s31, s31, exec_lo
	s_and_b32 s34, vcc_lo, exec_lo
	s_delay_alu instid0(SALU_CYCLE_1)
	s_or_b32 s31, s31, s34
	s_or_b32 exec_lo, exec_lo, s33
	s_and_saveexec_b32 s33, s31
	s_cbranch_execnz .LBB47_1215
	s_branch .LBB47_1216
.LBB47_1233:
	s_mov_b32 s30, -1
                                        ; implicit-def: $vgpr2
	s_branch .LBB47_1238
.LBB47_1234:
	s_mov_b32 s30, -1
                                        ; implicit-def: $vgpr2
.LBB47_1235:
	s_delay_alu instid0(SALU_CYCLE_1)
	s_and_b32 vcc_lo, exec_lo, s30
	s_cbranch_vccz .LBB47_1237
; %bb.1236:
	s_wait_loadcnt 0x0
	global_load_u8 v2, v[0:1], off
	s_wait_loadcnt 0x0
	v_lshlrev_b32_e32 v2, 24, v2
	s_delay_alu instid0(VALU_DEP_1) | instskip(NEXT) | instid1(VALU_DEP_1)
	v_and_b32_e32 v3, 0x7f000000, v2
	v_clz_i32_u32_e32 v4, v3
	v_add_nc_u32_e32 v7, 0x1000000, v3
	v_cmp_ne_u32_e32 vcc_lo, 0, v3
	s_delay_alu instid0(VALU_DEP_3) | instskip(NEXT) | instid1(VALU_DEP_1)
	v_min_u32_e32 v4, 32, v4
	v_sub_nc_u32_e64 v4, v4, 4 clamp
	s_delay_alu instid0(VALU_DEP_1) | instskip(NEXT) | instid1(VALU_DEP_1)
	v_dual_lshlrev_b32 v5, v4, v3 :: v_dual_lshlrev_b32 v4, 23, v4
	v_lshrrev_b32_e32 v5, 4, v5
	s_delay_alu instid0(VALU_DEP_1) | instskip(NEXT) | instid1(VALU_DEP_1)
	v_dual_sub_nc_u32 v4, v5, v4 :: v_dual_ashrrev_i32 v5, 8, v7
	v_add_nc_u32_e32 v4, 0x3c000000, v4
	s_delay_alu instid0(VALU_DEP_1) | instskip(NEXT) | instid1(VALU_DEP_1)
	v_and_or_b32 v4, 0x7f800000, v5, v4
	v_cndmask_b32_e32 v3, 0, v4, vcc_lo
	s_delay_alu instid0(VALU_DEP_1) | instskip(SKIP_1) | instid1(VALU_DEP_2)
	v_and_or_b32 v2, 0x80000000, v2, v3
	v_bfe_u32 v3, v3, 16, 1
	v_cmp_o_f32_e32 vcc_lo, v2, v2
	s_delay_alu instid0(VALU_DEP_2) | instskip(NEXT) | instid1(VALU_DEP_1)
	v_add3_u32 v3, v2, v3, 0x7fff
	v_lshrrev_b32_e32 v3, 16, v3
	s_delay_alu instid0(VALU_DEP_1)
	v_cndmask_b32_e32 v2, 0x7fc0, v3, vcc_lo
.LBB47_1237:
	s_mov_b32 s30, 0
.LBB47_1238:
	s_delay_alu instid0(SALU_CYCLE_1)
	s_and_not1_b32 vcc_lo, exec_lo, s30
	s_cbranch_vccnz .LBB47_1240
; %bb.1239:
	s_wait_loadcnt 0x0
	global_load_u8 v2, v[0:1], off
	s_wait_loadcnt 0x0
	v_lshlrev_b32_e32 v3, 25, v2
	v_lshlrev_b16 v2, 8, v2
	s_delay_alu instid0(VALU_DEP_1) | instskip(SKIP_1) | instid1(VALU_DEP_2)
	v_and_or_b32 v5, 0x7f00, v2, 0.5
	v_bfe_i32 v2, v2, 0, 16
	v_dual_add_f32 v5, -0.5, v5 :: v_dual_lshrrev_b32 v4, 4, v3
	v_cmp_gt_u32_e32 vcc_lo, 0x8000000, v3
	s_delay_alu instid0(VALU_DEP_2) | instskip(NEXT) | instid1(VALU_DEP_1)
	v_or_b32_e32 v4, 0x70000000, v4
	v_mul_f32_e32 v4, 0x7800000, v4
	s_delay_alu instid0(VALU_DEP_1) | instskip(NEXT) | instid1(VALU_DEP_1)
	v_cndmask_b32_e32 v3, v4, v5, vcc_lo
	v_and_or_b32 v2, 0x80000000, v2, v3
	v_bfe_u32 v3, v3, 16, 1
	s_delay_alu instid0(VALU_DEP_2) | instskip(NEXT) | instid1(VALU_DEP_2)
	v_cmp_o_f32_e32 vcc_lo, v2, v2
	v_add3_u32 v3, v2, v3, 0x7fff
	s_delay_alu instid0(VALU_DEP_1) | instskip(NEXT) | instid1(VALU_DEP_1)
	v_lshrrev_b32_e32 v3, 16, v3
	v_cndmask_b32_e32 v2, 0x7fc0, v3, vcc_lo
.LBB47_1240:
	s_mov_b32 s30, 0
	s_mov_b32 s31, -1
.LBB47_1241:
	s_and_not1_b32 vcc_lo, exec_lo, s30
	s_mov_b32 s30, 0
	s_cbranch_vccnz .LBB47_1252
; %bb.1242:
	s_cmp_gt_i32 s28, 14
	s_cbranch_scc0 .LBB47_1245
; %bb.1243:
	s_cmp_eq_u32 s28, 15
	s_cbranch_scc0 .LBB47_1248
; %bb.1244:
	s_wait_loadcnt 0x0
	global_load_u16 v2, v[0:1], off
	s_mov_b32 s29, 0
	s_mov_b32 s31, -1
	s_branch .LBB47_1250
.LBB47_1245:
	s_mov_b32 s30, -1
	s_branch .LBB47_1249
.LBB47_1246:
	s_or_saveexec_b32 s31, s31
	v_mov_b32_e32 v3, 0x7f800001
	s_xor_b32 exec_lo, exec_lo, s31
	s_cbranch_execz .LBB47_1227
.LBB47_1247:
	v_cmp_ne_u16_e32 vcc_lo, 0, v2
	v_mov_b32_e32 v3, 0
	s_and_not1_b32 s30, s30, exec_lo
	s_and_b32 s33, vcc_lo, exec_lo
	s_delay_alu instid0(SALU_CYCLE_1)
	s_or_b32 s30, s30, s33
	s_or_b32 exec_lo, exec_lo, s31
	s_and_saveexec_b32 s31, s30
	s_cbranch_execnz .LBB47_1228
	s_branch .LBB47_1229
.LBB47_1248:
	s_mov_b32 s29, -1
.LBB47_1249:
                                        ; implicit-def: $vgpr2
.LBB47_1250:
	s_and_b32 vcc_lo, exec_lo, s30
	s_mov_b32 s30, 0
	s_cbranch_vccz .LBB47_1252
; %bb.1251:
	s_cmp_lg_u32 s28, 11
	s_mov_b32 s30, -1
	s_cselect_b32 s28, -1, 0
	s_and_not1_b32 s29, s29, exec_lo
	s_and_b32 s28, s28, exec_lo
	s_delay_alu instid0(SALU_CYCLE_1)
	s_or_b32 s29, s29, s28
.LBB47_1252:
	s_mov_b32 s28, 0
.LBB47_1253:
	s_and_not1_b32 s33, s25, exec_lo
	s_and_b32 s29, s29, exec_lo
	s_and_b32 s34, s31, exec_lo
	;; [unrolled: 1-line block ×4, first 2 shown]
	s_or_b32 s33, s33, s29
.LBB47_1254:
	s_wait_xcnt 0x0
	s_or_b32 exec_lo, exec_lo, s16
	s_delay_alu instid0(SALU_CYCLE_1)
	s_and_not1_b32 s16, s25, exec_lo
	s_and_b32 s25, s33, exec_lo
	s_and_b32 s30, s34, exec_lo
	;; [unrolled: 1-line block ×4, first 2 shown]
	s_or_b32 s25, s16, s25
.LBB47_1255:
	s_or_b32 exec_lo, exec_lo, s24
	s_delay_alu instid0(SALU_CYCLE_1)
	s_and_not1_b32 s16, s21, exec_lo
	s_and_b32 s21, s27, exec_lo
	s_and_not1_b32 s22, s22, exec_lo
	s_and_b32 s24, s26, exec_lo
	s_or_b32 s21, s16, s21
	s_and_not1_b32 s16, s20, exec_lo
	s_and_b32 s20, s25, exec_lo
	s_or_b32 s22, s22, s24
	s_and_b32 s27, s30, exec_lo
	s_and_b32 s26, s29, exec_lo
	;; [unrolled: 1-line block ×3, first 2 shown]
	s_or_b32 s20, s16, s20
.LBB47_1256:
	s_or_b32 exec_lo, exec_lo, s23
	s_delay_alu instid0(SALU_CYCLE_1)
	s_and_not1_b32 s15, s15, exec_lo
	s_and_b32 s16, s21, exec_lo
	s_and_not1_b32 s17, s17, exec_lo
	s_and_b32 s21, s22, exec_lo
	s_or_b32 s15, s15, s16
	s_and_not1_b32 s16, s18, exec_lo
	s_and_b32 s18, s20, exec_lo
	s_or_b32 s17, s17, s21
	s_and_b32 s21, s27, exec_lo
	s_and_b32 s22, s26, exec_lo
	;; [unrolled: 1-line block ×3, first 2 shown]
	s_or_b32 s18, s16, s18
	s_or_b32 exec_lo, exec_lo, s19
	s_mov_b32 s16, 0
	s_and_saveexec_b32 s19, s18
	s_cbranch_execz .LBB47_394
.LBB47_1257:
	s_mov_b32 s16, exec_lo
	s_and_not1_b32 s20, s20, exec_lo
	s_trap 2
	s_or_b32 exec_lo, exec_lo, s19
	s_and_saveexec_b32 s18, s20
	s_delay_alu instid0(SALU_CYCLE_1)
	s_xor_b32 s18, exec_lo, s18
	s_cbranch_execnz .LBB47_395
.LBB47_1258:
	s_or_b32 exec_lo, exec_lo, s18
	s_and_saveexec_b32 s18, s22
	s_cbranch_execz .LBB47_1304
.LBB47_1259:
	s_sext_i32_i16 s19, s0
	s_delay_alu instid0(SALU_CYCLE_1)
	s_cmp_lt_i32 s19, 5
	s_cbranch_scc1 .LBB47_1264
; %bb.1260:
	s_cmp_lt_i32 s19, 8
	s_cbranch_scc1 .LBB47_1265
; %bb.1261:
	;; [unrolled: 3-line block ×3, first 2 shown]
	s_cmp_gt_i32 s19, 9
	s_cbranch_scc0 .LBB47_1267
; %bb.1263:
	s_wait_loadcnt 0x0
	global_load_b64 v[2:3], v[0:1], off
	s_mov_b32 s19, 0
	s_wait_loadcnt 0x0
	v_cvt_f32_f64_e32 v2, v[2:3]
	s_delay_alu instid0(VALU_DEP_1) | instskip(SKIP_1) | instid1(VALU_DEP_2)
	v_bfe_u32 v3, v2, 16, 1
	v_cmp_o_f32_e32 vcc_lo, v2, v2
	v_add3_u32 v3, v2, v3, 0x7fff
	s_delay_alu instid0(VALU_DEP_1) | instskip(NEXT) | instid1(VALU_DEP_1)
	v_lshrrev_b32_e32 v3, 16, v3
	v_cndmask_b32_e32 v2, 0x7fc0, v3, vcc_lo
	s_branch .LBB47_1268
.LBB47_1264:
                                        ; implicit-def: $vgpr2
	s_branch .LBB47_1285
.LBB47_1265:
                                        ; implicit-def: $vgpr2
	s_branch .LBB47_1274
.LBB47_1266:
	s_mov_b32 s19, -1
                                        ; implicit-def: $vgpr2
	s_branch .LBB47_1271
.LBB47_1267:
	s_mov_b32 s19, -1
                                        ; implicit-def: $vgpr2
.LBB47_1268:
	s_delay_alu instid0(SALU_CYCLE_1)
	s_and_not1_b32 vcc_lo, exec_lo, s19
	s_cbranch_vccnz .LBB47_1270
; %bb.1269:
	s_wait_loadcnt 0x0
	global_load_b32 v2, v[0:1], off
	s_wait_loadcnt 0x0
	v_bfe_u32 v3, v2, 16, 1
	v_cmp_o_f32_e32 vcc_lo, v2, v2
	s_delay_alu instid0(VALU_DEP_2) | instskip(NEXT) | instid1(VALU_DEP_1)
	v_add3_u32 v3, v2, v3, 0x7fff
	v_lshrrev_b32_e32 v3, 16, v3
	s_delay_alu instid0(VALU_DEP_1)
	v_cndmask_b32_e32 v2, 0x7fc0, v3, vcc_lo
.LBB47_1270:
	s_mov_b32 s19, 0
.LBB47_1271:
	s_delay_alu instid0(SALU_CYCLE_1)
	s_and_not1_b32 vcc_lo, exec_lo, s19
	s_cbranch_vccnz .LBB47_1273
; %bb.1272:
	s_wait_loadcnt 0x0
	global_load_b32 v2, v[0:1], off
	s_wait_loadcnt 0x0
	v_cvt_f32_f16_e32 v3, v2
	v_cmp_o_f16_e32 vcc_lo, v2, v2
	s_delay_alu instid0(VALU_DEP_2) | instskip(NEXT) | instid1(VALU_DEP_1)
	v_bfe_u32 v4, v3, 16, 1
	v_add3_u32 v3, v3, v4, 0x7fff
	s_delay_alu instid0(VALU_DEP_1) | instskip(NEXT) | instid1(VALU_DEP_1)
	v_lshrrev_b32_e32 v3, 16, v3
	v_cndmask_b32_e32 v2, 0x7fc0, v3, vcc_lo
.LBB47_1273:
	s_cbranch_execnz .LBB47_1284
.LBB47_1274:
	s_sext_i32_i16 s19, s0
	s_delay_alu instid0(SALU_CYCLE_1)
	s_cmp_lt_i32 s19, 6
	s_cbranch_scc1 .LBB47_1277
; %bb.1275:
	s_cmp_gt_i32 s19, 6
	s_cbranch_scc0 .LBB47_1278
; %bb.1276:
	s_wait_loadcnt 0x0
	global_load_b64 v[2:3], v[0:1], off
	s_mov_b32 s19, 0
	s_wait_loadcnt 0x0
	v_cvt_f32_f64_e32 v2, v[2:3]
	s_delay_alu instid0(VALU_DEP_1) | instskip(SKIP_1) | instid1(VALU_DEP_2)
	v_bfe_u32 v3, v2, 16, 1
	v_cmp_o_f32_e32 vcc_lo, v2, v2
	v_add3_u32 v3, v2, v3, 0x7fff
	s_delay_alu instid0(VALU_DEP_1) | instskip(NEXT) | instid1(VALU_DEP_1)
	v_lshrrev_b32_e32 v3, 16, v3
	v_cndmask_b32_e32 v2, 0x7fc0, v3, vcc_lo
	s_branch .LBB47_1279
.LBB47_1277:
	s_mov_b32 s19, -1
                                        ; implicit-def: $vgpr2
	s_branch .LBB47_1282
.LBB47_1278:
	s_mov_b32 s19, -1
                                        ; implicit-def: $vgpr2
.LBB47_1279:
	s_delay_alu instid0(SALU_CYCLE_1)
	s_and_not1_b32 vcc_lo, exec_lo, s19
	s_cbranch_vccnz .LBB47_1281
; %bb.1280:
	s_wait_loadcnt 0x0
	global_load_b32 v2, v[0:1], off
	s_wait_loadcnt 0x0
	v_bfe_u32 v3, v2, 16, 1
	v_cmp_o_f32_e32 vcc_lo, v2, v2
	s_delay_alu instid0(VALU_DEP_2) | instskip(NEXT) | instid1(VALU_DEP_1)
	v_add3_u32 v3, v2, v3, 0x7fff
	v_lshrrev_b32_e32 v3, 16, v3
	s_delay_alu instid0(VALU_DEP_1)
	v_cndmask_b32_e32 v2, 0x7fc0, v3, vcc_lo
.LBB47_1281:
	s_mov_b32 s19, 0
.LBB47_1282:
	s_delay_alu instid0(SALU_CYCLE_1)
	s_and_not1_b32 vcc_lo, exec_lo, s19
	s_cbranch_vccnz .LBB47_1284
; %bb.1283:
	s_wait_loadcnt 0x0
	global_load_u16 v2, v[0:1], off
	s_wait_loadcnt 0x0
	v_cvt_f32_f16_e32 v3, v2
	v_cmp_o_f16_e32 vcc_lo, v2, v2
	s_delay_alu instid0(VALU_DEP_2) | instskip(NEXT) | instid1(VALU_DEP_1)
	v_bfe_u32 v4, v3, 16, 1
	v_add3_u32 v3, v3, v4, 0x7fff
	s_delay_alu instid0(VALU_DEP_1) | instskip(NEXT) | instid1(VALU_DEP_1)
	v_lshrrev_b32_e32 v3, 16, v3
	v_cndmask_b32_e32 v2, 0x7fc0, v3, vcc_lo
.LBB47_1284:
	s_cbranch_execnz .LBB47_1303
.LBB47_1285:
	s_sext_i32_i16 s19, s0
	s_delay_alu instid0(SALU_CYCLE_1)
	s_cmp_lt_i32 s19, 2
	s_cbranch_scc1 .LBB47_1289
; %bb.1286:
	s_cmp_lt_i32 s19, 3
	s_cbranch_scc1 .LBB47_1290
; %bb.1287:
	s_cmp_gt_i32 s19, 3
	s_cbranch_scc0 .LBB47_1291
; %bb.1288:
	s_wait_loadcnt 0x0
	global_load_b64 v[2:3], v[0:1], off
	s_mov_b32 s19, 0
	s_wait_loadcnt 0x0
	v_xor_b32_e32 v4, v2, v3
	v_cls_i32_e32 v5, v3
	s_delay_alu instid0(VALU_DEP_2) | instskip(NEXT) | instid1(VALU_DEP_1)
	v_ashrrev_i32_e32 v4, 31, v4
	v_add_nc_u32_e32 v4, 32, v4
	s_delay_alu instid0(VALU_DEP_1) | instskip(NEXT) | instid1(VALU_DEP_1)
	v_add_min_u32_e64 v4, v5, -1, v4
	v_lshlrev_b64_e32 v[2:3], v4, v[2:3]
	s_delay_alu instid0(VALU_DEP_1) | instskip(NEXT) | instid1(VALU_DEP_1)
	v_min_u32_e32 v2, 1, v2
	v_dual_sub_nc_u32 v3, 32, v4 :: v_dual_bitop2_b32 v2, v3, v2 bitop3:0x54
	s_delay_alu instid0(VALU_DEP_1) | instskip(NEXT) | instid1(VALU_DEP_1)
	v_cvt_f32_i32_e32 v2, v2
	v_ldexp_f32 v2, v2, v3
	s_delay_alu instid0(VALU_DEP_1) | instskip(NEXT) | instid1(VALU_DEP_1)
	v_bfe_u32 v3, v2, 16, 1
	v_add3_u32 v2, v2, v3, 0x7fff
	s_delay_alu instid0(VALU_DEP_1)
	v_lshrrev_b32_e32 v2, 16, v2
	s_branch .LBB47_1292
.LBB47_1289:
                                        ; implicit-def: $vgpr2
	s_branch .LBB47_1298
.LBB47_1290:
	s_mov_b32 s19, -1
                                        ; implicit-def: $vgpr2
	s_branch .LBB47_1295
.LBB47_1291:
	s_mov_b32 s19, -1
                                        ; implicit-def: $vgpr2
.LBB47_1292:
	s_delay_alu instid0(SALU_CYCLE_1)
	s_and_not1_b32 vcc_lo, exec_lo, s19
	s_cbranch_vccnz .LBB47_1294
; %bb.1293:
	s_wait_loadcnt 0x0
	global_load_b32 v2, v[0:1], off
	s_wait_loadcnt 0x0
	v_cvt_f32_i32_e32 v2, v2
	s_delay_alu instid0(VALU_DEP_1) | instskip(NEXT) | instid1(VALU_DEP_1)
	v_bfe_u32 v3, v2, 16, 1
	v_add3_u32 v2, v2, v3, 0x7fff
	s_delay_alu instid0(VALU_DEP_1)
	v_lshrrev_b32_e32 v2, 16, v2
.LBB47_1294:
	s_mov_b32 s19, 0
.LBB47_1295:
	s_delay_alu instid0(SALU_CYCLE_1)
	s_and_not1_b32 vcc_lo, exec_lo, s19
	s_cbranch_vccnz .LBB47_1297
; %bb.1296:
	s_wait_loadcnt 0x0
	global_load_i16 v2, v[0:1], off
	s_wait_loadcnt 0x0
	v_cvt_f32_i32_e32 v2, v2
	s_delay_alu instid0(VALU_DEP_1) | instskip(NEXT) | instid1(VALU_DEP_1)
	v_bfe_u32 v3, v2, 16, 1
	v_add3_u32 v2, v2, v3, 0x7fff
	s_delay_alu instid0(VALU_DEP_1)
	v_lshrrev_b32_e32 v2, 16, v2
.LBB47_1297:
	s_cbranch_execnz .LBB47_1303
.LBB47_1298:
	s_sext_i32_i16 s0, s0
	s_delay_alu instid0(SALU_CYCLE_1)
	s_cmp_gt_i32 s0, 0
	s_mov_b32 s0, 0
	s_cbranch_scc0 .LBB47_1300
; %bb.1299:
	s_wait_loadcnt 0x0
	global_load_i8 v2, v[0:1], off
	s_wait_loadcnt 0x0
	v_cvt_f32_i32_e32 v2, v2
	s_delay_alu instid0(VALU_DEP_1) | instskip(NEXT) | instid1(VALU_DEP_1)
	v_bfe_u32 v3, v2, 16, 1
	v_add3_u32 v2, v2, v3, 0x7fff
	s_delay_alu instid0(VALU_DEP_1)
	v_lshrrev_b32_e32 v2, 16, v2
	s_branch .LBB47_1301
.LBB47_1300:
	s_mov_b32 s0, -1
                                        ; implicit-def: $vgpr2
.LBB47_1301:
	s_delay_alu instid0(SALU_CYCLE_1)
	s_and_not1_b32 vcc_lo, exec_lo, s0
	s_cbranch_vccnz .LBB47_1303
; %bb.1302:
	global_load_u8 v0, v[0:1], off
	s_wait_loadcnt 0x0
	v_cvt_f32_ubyte0_e32 v0, v0
	s_delay_alu instid0(VALU_DEP_1) | instskip(NEXT) | instid1(VALU_DEP_1)
	v_bfe_u32 v1, v0, 16, 1
	v_add3_u32 v0, v0, v1, 0x7fff
	s_delay_alu instid0(VALU_DEP_1)
	v_lshrrev_b32_e32 v2, 16, v0
.LBB47_1303:
	s_or_b32 s21, s21, exec_lo
.LBB47_1304:
	s_wait_xcnt 0x0
	s_or_b32 exec_lo, exec_lo, s18
	s_mov_b32 s20, 0
	s_mov_b32 s22, 0
	;; [unrolled: 1-line block ×3, first 2 shown]
                                        ; implicit-def: $sgpr0
                                        ; implicit-def: $vgpr0_vgpr1
                                        ; implicit-def: $vgpr3
	s_and_saveexec_b32 s18, s21
	s_cbranch_execz .LBB47_1312
; %bb.1305:
	v_mul_lo_u32 v0, v6, s10
	s_and_b32 s0, s1, 0xff
	s_delay_alu instid0(SALU_CYCLE_1) | instskip(NEXT) | instid1(VALU_DEP_1)
	s_cmp_lt_i32 s0, 11
	v_ashrrev_i32_e32 v1, 31, v0
	s_delay_alu instid0(VALU_DEP_1)
	v_add_nc_u64_e32 v[0:1], s[2:3], v[0:1]
	s_cbranch_scc1 .LBB47_1315
; %bb.1306:
	s_and_b32 s19, 0xffff, s0
	s_mov_b32 s21, 0
	s_cmp_gt_i32 s19, 25
	s_cbranch_scc0 .LBB47_1316
; %bb.1307:
	s_cmp_gt_i32 s19, 28
	s_cbranch_scc0 .LBB47_1317
; %bb.1308:
	;; [unrolled: 3-line block ×4, first 2 shown]
	s_cmp_eq_u32 s19, 46
	s_mov_b32 s23, 0
	s_cbranch_scc0 .LBB47_1320
; %bb.1311:
	s_wait_loadcnt 0x0
	global_load_b32 v3, v[0:1], off
	s_mov_b32 s22, -1
	s_branch .LBB47_1322
.LBB47_1312:
	s_or_b32 exec_lo, exec_lo, s18
	s_and_saveexec_b32 s18, s17
	s_cbranch_execnz .LBB47_1385
.LBB47_1313:
	s_or_b32 exec_lo, exec_lo, s18
	s_and_saveexec_b32 s17, s20
	s_delay_alu instid0(SALU_CYCLE_1)
	s_xor_b32 s17, exec_lo, s17
	s_cbranch_execz .LBB47_1386
.LBB47_1314:
	s_wait_loadcnt 0x0
	global_load_u8 v3, v[0:1], off
	s_or_b32 s19, s19, exec_lo
	s_wait_loadcnt 0x0
	v_cmp_ne_u16_e32 vcc_lo, 0, v3
	v_cndmask_b32_e64 v3, 0, 1.0, vcc_lo
	s_delay_alu instid0(VALU_DEP_1)
	v_lshrrev_b32_e32 v3, 16, v3
	s_wait_xcnt 0x0
	s_or_b32 exec_lo, exec_lo, s17
	s_and_saveexec_b32 s17, s22
	s_cbranch_execz .LBB47_1432
	s_branch .LBB47_1387
.LBB47_1315:
	s_mov_b32 s23, -1
	s_mov_b32 s21, 0
	s_mov_b32 s20, s17
                                        ; implicit-def: $vgpr3
	s_branch .LBB47_1384
.LBB47_1316:
	s_mov_b32 s20, s17
                                        ; implicit-def: $vgpr3
	s_cbranch_execnz .LBB47_1351
	s_branch .LBB47_1383
.LBB47_1317:
	s_mov_b32 s23, -1
	s_mov_b32 s20, s17
                                        ; implicit-def: $vgpr3
	s_branch .LBB47_1332
.LBB47_1318:
	s_mov_b32 s23, -1
	s_mov_b32 s20, s17
                                        ; implicit-def: $vgpr3
	s_branch .LBB47_1327
.LBB47_1319:
	s_mov_b32 s23, -1
	s_mov_b32 s20, s17
	s_branch .LBB47_1321
.LBB47_1320:
	s_mov_b32 s20, -1
.LBB47_1321:
                                        ; implicit-def: $vgpr3
.LBB47_1322:
	s_and_b32 vcc_lo, exec_lo, s23
	s_cbranch_vccz .LBB47_1326
; %bb.1323:
	s_cmp_eq_u32 s19, 44
	s_cbranch_scc0 .LBB47_1325
; %bb.1324:
	s_wait_loadcnt 0x0
	global_load_u8 v3, v[0:1], off
	s_mov_b32 s20, 0
	s_mov_b32 s22, -1
	s_wait_loadcnt 0x0
	v_lshlrev_b32_e32 v4, 23, v3
	v_cmp_ne_u32_e32 vcc_lo, 0xff, v3
	s_delay_alu instid0(VALU_DEP_2) | instskip(SKIP_1) | instid1(VALU_DEP_2)
	v_cndmask_b32_e32 v4, 0x7f800001, v4, vcc_lo
	v_cmp_ne_u32_e32 vcc_lo, 0, v3
	v_cndmask_b32_e32 v3, 0x400000, v4, vcc_lo
	s_delay_alu instid0(VALU_DEP_1) | instskip(NEXT) | instid1(VALU_DEP_1)
	v_add_nc_u32_e32 v4, 0x7fff, v3
	v_lshrrev_b32_e32 v4, 16, v4
	v_cmp_o_f32_e32 vcc_lo, v3, v3
	s_delay_alu instid0(VALU_DEP_2)
	v_cndmask_b32_e32 v3, 0x7fc0, v4, vcc_lo
	s_branch .LBB47_1326
.LBB47_1325:
	s_mov_b32 s20, -1
                                        ; implicit-def: $vgpr3
.LBB47_1326:
	s_mov_b32 s23, 0
.LBB47_1327:
	s_delay_alu instid0(SALU_CYCLE_1)
	s_and_b32 vcc_lo, exec_lo, s23
	s_cbranch_vccz .LBB47_1331
; %bb.1328:
	s_cmp_eq_u32 s19, 29
	s_cbranch_scc0 .LBB47_1330
; %bb.1329:
	global_load_b64 v[4:5], v[0:1], off
	s_mov_b32 s20, 0
	s_mov_b32 s22, -1
	s_mov_b32 s23, 0
	s_wait_loadcnt 0x0
	v_clz_i32_u32_e32 v3, v5
	s_delay_alu instid0(VALU_DEP_1) | instskip(NEXT) | instid1(VALU_DEP_1)
	v_min_u32_e32 v3, 32, v3
	v_lshlrev_b64_e32 v[4:5], v3, v[4:5]
	v_sub_nc_u32_e32 v3, 32, v3
	s_delay_alu instid0(VALU_DEP_2) | instskip(NEXT) | instid1(VALU_DEP_1)
	v_min_u32_e32 v4, 1, v4
	v_or_b32_e32 v4, v5, v4
	s_delay_alu instid0(VALU_DEP_1) | instskip(NEXT) | instid1(VALU_DEP_1)
	v_cvt_f32_u32_e32 v4, v4
	v_ldexp_f32 v3, v4, v3
	s_delay_alu instid0(VALU_DEP_1) | instskip(NEXT) | instid1(VALU_DEP_1)
	v_bfe_u32 v4, v3, 16, 1
	v_add3_u32 v3, v3, v4, 0x7fff
	s_delay_alu instid0(VALU_DEP_1)
	v_lshrrev_b32_e32 v3, 16, v3
	s_branch .LBB47_1332
.LBB47_1330:
	s_mov_b32 s20, -1
                                        ; implicit-def: $vgpr3
.LBB47_1331:
	s_mov_b32 s23, 0
.LBB47_1332:
	s_delay_alu instid0(SALU_CYCLE_1)
	s_and_b32 vcc_lo, exec_lo, s23
	s_cbranch_vccz .LBB47_1350
; %bb.1333:
	s_cmp_lt_i32 s19, 27
	s_cbranch_scc1 .LBB47_1336
; %bb.1334:
	s_cmp_gt_i32 s19, 27
	s_cbranch_scc0 .LBB47_1337
; %bb.1335:
	s_wait_loadcnt 0x0
	global_load_b32 v3, v[0:1], off
	s_mov_b32 s22, 0
	s_wait_loadcnt 0x0
	v_cvt_f32_u32_e32 v3, v3
	s_delay_alu instid0(VALU_DEP_1) | instskip(NEXT) | instid1(VALU_DEP_1)
	v_bfe_u32 v4, v3, 16, 1
	v_add3_u32 v3, v3, v4, 0x7fff
	s_delay_alu instid0(VALU_DEP_1)
	v_lshrrev_b32_e32 v3, 16, v3
	s_branch .LBB47_1338
.LBB47_1336:
	s_mov_b32 s22, -1
                                        ; implicit-def: $vgpr3
	s_branch .LBB47_1341
.LBB47_1337:
	s_mov_b32 s22, -1
                                        ; implicit-def: $vgpr3
.LBB47_1338:
	s_delay_alu instid0(SALU_CYCLE_1)
	s_and_not1_b32 vcc_lo, exec_lo, s22
	s_cbranch_vccnz .LBB47_1340
; %bb.1339:
	s_wait_loadcnt 0x0
	global_load_u16 v3, v[0:1], off
	s_wait_loadcnt 0x0
	v_cvt_f32_u32_e32 v3, v3
	s_delay_alu instid0(VALU_DEP_1) | instskip(NEXT) | instid1(VALU_DEP_1)
	v_bfe_u32 v4, v3, 16, 1
	v_add3_u32 v3, v3, v4, 0x7fff
	s_delay_alu instid0(VALU_DEP_1)
	v_lshrrev_b32_e32 v3, 16, v3
.LBB47_1340:
	s_mov_b32 s22, 0
.LBB47_1341:
	s_delay_alu instid0(SALU_CYCLE_1)
	s_and_not1_b32 vcc_lo, exec_lo, s22
	s_cbranch_vccnz .LBB47_1349
; %bb.1342:
	s_wait_loadcnt 0x0
	global_load_u8 v3, v[0:1], off
	s_mov_b32 s22, 0
	s_mov_b32 s23, exec_lo
	s_wait_loadcnt 0x0
	v_cmpx_lt_i16_e32 0x7f, v3
	s_xor_b32 s23, exec_lo, s23
	s_cbranch_execz .LBB47_1362
; %bb.1343:
	s_mov_b32 s22, -1
	s_mov_b32 s24, exec_lo
	v_cmpx_eq_u16_e32 0x80, v3
; %bb.1344:
	s_xor_b32 s22, exec_lo, -1
; %bb.1345:
	s_or_b32 exec_lo, exec_lo, s24
	s_delay_alu instid0(SALU_CYCLE_1)
	s_and_b32 s22, s22, exec_lo
	s_or_saveexec_b32 s23, s23
	v_mov_b32_e32 v4, 0x7f800001
	s_xor_b32 exec_lo, exec_lo, s23
	s_cbranch_execnz .LBB47_1363
.LBB47_1346:
	s_or_b32 exec_lo, exec_lo, s23
	s_and_saveexec_b32 s23, s22
	s_cbranch_execz .LBB47_1348
.LBB47_1347:
	v_and_b32_e32 v4, 0xffff, v3
	s_delay_alu instid0(VALU_DEP_1) | instskip(SKIP_1) | instid1(VALU_DEP_2)
	v_and_b32_e32 v5, 7, v4
	v_bfe_u32 v9, v4, 3, 4
	v_clz_i32_u32_e32 v7, v5
	s_delay_alu instid0(VALU_DEP_2) | instskip(NEXT) | instid1(VALU_DEP_2)
	v_cmp_eq_u32_e32 vcc_lo, 0, v9
	v_min_u32_e32 v7, 32, v7
	s_delay_alu instid0(VALU_DEP_1) | instskip(NEXT) | instid1(VALU_DEP_1)
	v_subrev_nc_u32_e32 v8, 28, v7
	v_dual_lshlrev_b32 v4, v8, v4 :: v_dual_sub_nc_u32 v7, 29, v7
	s_delay_alu instid0(VALU_DEP_1) | instskip(NEXT) | instid1(VALU_DEP_1)
	v_dual_lshlrev_b32 v3, 24, v3 :: v_dual_bitop2_b32 v4, 7, v4 bitop3:0x40
	v_cndmask_b32_e32 v4, v5, v4, vcc_lo
	s_delay_alu instid0(VALU_DEP_3) | instskip(NEXT) | instid1(VALU_DEP_3)
	v_cndmask_b32_e32 v7, v9, v7, vcc_lo
	v_and_b32_e32 v3, 0x80000000, v3
	s_delay_alu instid0(VALU_DEP_3) | instskip(NEXT) | instid1(VALU_DEP_3)
	v_lshlrev_b32_e32 v4, 20, v4
	v_lshl_add_u32 v5, v7, 23, 0x3b800000
	s_delay_alu instid0(VALU_DEP_1)
	v_or3_b32 v4, v3, v5, v4
.LBB47_1348:
	s_or_b32 exec_lo, exec_lo, s23
	s_delay_alu instid0(VALU_DEP_1) | instskip(SKIP_1) | instid1(VALU_DEP_2)
	v_bfe_u32 v3, v4, 16, 1
	v_cmp_o_f32_e32 vcc_lo, v4, v4
	v_add3_u32 v3, v4, v3, 0x7fff
	s_delay_alu instid0(VALU_DEP_1) | instskip(NEXT) | instid1(VALU_DEP_1)
	v_lshrrev_b32_e32 v3, 16, v3
	v_cndmask_b32_e32 v3, 0x7fc0, v3, vcc_lo
.LBB47_1349:
	s_mov_b32 s22, -1
.LBB47_1350:
	s_branch .LBB47_1383
.LBB47_1351:
	s_cmp_gt_i32 s19, 22
	s_cbranch_scc0 .LBB47_1361
; %bb.1352:
	s_cmp_lt_i32 s19, 24
	s_cbranch_scc1 .LBB47_1364
; %bb.1353:
	s_cmp_gt_i32 s19, 24
	s_cbranch_scc0 .LBB47_1365
; %bb.1354:
	s_wait_loadcnt 0x0
	global_load_u8 v3, v[0:1], off
	s_mov_b32 s22, exec_lo
	s_wait_loadcnt 0x0
	v_cmpx_lt_i16_e32 0x7f, v3
	s_xor_b32 s22, exec_lo, s22
	s_cbranch_execz .LBB47_1377
; %bb.1355:
	s_mov_b32 s21, -1
	s_mov_b32 s23, exec_lo
	v_cmpx_eq_u16_e32 0x80, v3
; %bb.1356:
	s_xor_b32 s21, exec_lo, -1
; %bb.1357:
	s_or_b32 exec_lo, exec_lo, s23
	s_delay_alu instid0(SALU_CYCLE_1)
	s_and_b32 s21, s21, exec_lo
	s_or_saveexec_b32 s22, s22
	v_mov_b32_e32 v4, 0x7f800001
	s_xor_b32 exec_lo, exec_lo, s22
	s_cbranch_execnz .LBB47_1378
.LBB47_1358:
	s_or_b32 exec_lo, exec_lo, s22
	s_and_saveexec_b32 s22, s21
	s_cbranch_execz .LBB47_1360
.LBB47_1359:
	v_and_b32_e32 v4, 0xffff, v3
	s_delay_alu instid0(VALU_DEP_1) | instskip(SKIP_1) | instid1(VALU_DEP_2)
	v_and_b32_e32 v5, 3, v4
	v_bfe_u32 v9, v4, 2, 5
	v_clz_i32_u32_e32 v7, v5
	s_delay_alu instid0(VALU_DEP_2) | instskip(NEXT) | instid1(VALU_DEP_2)
	v_cmp_eq_u32_e32 vcc_lo, 0, v9
	v_min_u32_e32 v7, 32, v7
	s_delay_alu instid0(VALU_DEP_1) | instskip(NEXT) | instid1(VALU_DEP_1)
	v_subrev_nc_u32_e32 v8, 29, v7
	v_dual_lshlrev_b32 v4, v8, v4 :: v_dual_sub_nc_u32 v7, 30, v7
	s_delay_alu instid0(VALU_DEP_1) | instskip(NEXT) | instid1(VALU_DEP_1)
	v_dual_lshlrev_b32 v3, 24, v3 :: v_dual_bitop2_b32 v4, 3, v4 bitop3:0x40
	v_cndmask_b32_e32 v4, v5, v4, vcc_lo
	s_delay_alu instid0(VALU_DEP_3) | instskip(NEXT) | instid1(VALU_DEP_3)
	v_cndmask_b32_e32 v7, v9, v7, vcc_lo
	v_and_b32_e32 v3, 0x80000000, v3
	s_delay_alu instid0(VALU_DEP_3) | instskip(NEXT) | instid1(VALU_DEP_3)
	v_lshlrev_b32_e32 v4, 21, v4
	v_lshl_add_u32 v5, v7, 23, 0x37800000
	s_delay_alu instid0(VALU_DEP_1)
	v_or3_b32 v4, v3, v5, v4
.LBB47_1360:
	s_or_b32 exec_lo, exec_lo, s22
	s_delay_alu instid0(VALU_DEP_1) | instskip(SKIP_2) | instid1(VALU_DEP_2)
	v_bfe_u32 v3, v4, 16, 1
	v_cmp_o_f32_e32 vcc_lo, v4, v4
	s_mov_b32 s21, 0
	v_add3_u32 v3, v4, v3, 0x7fff
	s_delay_alu instid0(VALU_DEP_1) | instskip(NEXT) | instid1(VALU_DEP_1)
	v_lshrrev_b32_e32 v3, 16, v3
	v_cndmask_b32_e32 v3, 0x7fc0, v3, vcc_lo
	s_branch .LBB47_1366
.LBB47_1361:
	s_mov_b32 s21, -1
                                        ; implicit-def: $vgpr3
	s_branch .LBB47_1372
.LBB47_1362:
	s_or_saveexec_b32 s23, s23
	v_mov_b32_e32 v4, 0x7f800001
	s_xor_b32 exec_lo, exec_lo, s23
	s_cbranch_execz .LBB47_1346
.LBB47_1363:
	v_cmp_ne_u16_e32 vcc_lo, 0, v3
	v_mov_b32_e32 v4, 0
	s_and_not1_b32 s22, s22, exec_lo
	s_and_b32 s24, vcc_lo, exec_lo
	s_delay_alu instid0(SALU_CYCLE_1)
	s_or_b32 s22, s22, s24
	s_or_b32 exec_lo, exec_lo, s23
	s_and_saveexec_b32 s23, s22
	s_cbranch_execnz .LBB47_1347
	s_branch .LBB47_1348
.LBB47_1364:
	s_mov_b32 s21, -1
                                        ; implicit-def: $vgpr3
	s_branch .LBB47_1369
.LBB47_1365:
	s_mov_b32 s21, -1
                                        ; implicit-def: $vgpr3
.LBB47_1366:
	s_delay_alu instid0(SALU_CYCLE_1)
	s_and_b32 vcc_lo, exec_lo, s21
	s_cbranch_vccz .LBB47_1368
; %bb.1367:
	s_wait_loadcnt 0x0
	global_load_u8 v3, v[0:1], off
	s_wait_loadcnt 0x0
	v_lshlrev_b32_e32 v3, 24, v3
	s_delay_alu instid0(VALU_DEP_1) | instskip(NEXT) | instid1(VALU_DEP_1)
	v_and_b32_e32 v4, 0x7f000000, v3
	v_clz_i32_u32_e32 v5, v4
	v_add_nc_u32_e32 v8, 0x1000000, v4
	v_cmp_ne_u32_e32 vcc_lo, 0, v4
	s_delay_alu instid0(VALU_DEP_3) | instskip(NEXT) | instid1(VALU_DEP_1)
	v_min_u32_e32 v5, 32, v5
	v_sub_nc_u32_e64 v5, v5, 4 clamp
	s_delay_alu instid0(VALU_DEP_1) | instskip(NEXT) | instid1(VALU_DEP_1)
	v_dual_lshlrev_b32 v7, v5, v4 :: v_dual_lshlrev_b32 v5, 23, v5
	v_lshrrev_b32_e32 v7, 4, v7
	s_delay_alu instid0(VALU_DEP_1) | instskip(NEXT) | instid1(VALU_DEP_1)
	v_dual_sub_nc_u32 v5, v7, v5 :: v_dual_ashrrev_i32 v7, 8, v8
	v_add_nc_u32_e32 v5, 0x3c000000, v5
	s_delay_alu instid0(VALU_DEP_1) | instskip(NEXT) | instid1(VALU_DEP_1)
	v_and_or_b32 v5, 0x7f800000, v7, v5
	v_cndmask_b32_e32 v4, 0, v5, vcc_lo
	s_delay_alu instid0(VALU_DEP_1) | instskip(SKIP_1) | instid1(VALU_DEP_2)
	v_and_or_b32 v3, 0x80000000, v3, v4
	v_bfe_u32 v4, v4, 16, 1
	v_cmp_o_f32_e32 vcc_lo, v3, v3
	s_delay_alu instid0(VALU_DEP_2) | instskip(NEXT) | instid1(VALU_DEP_1)
	v_add3_u32 v4, v3, v4, 0x7fff
	v_lshrrev_b32_e32 v4, 16, v4
	s_delay_alu instid0(VALU_DEP_1)
	v_cndmask_b32_e32 v3, 0x7fc0, v4, vcc_lo
.LBB47_1368:
	s_mov_b32 s21, 0
.LBB47_1369:
	s_delay_alu instid0(SALU_CYCLE_1)
	s_and_not1_b32 vcc_lo, exec_lo, s21
	s_cbranch_vccnz .LBB47_1371
; %bb.1370:
	s_wait_loadcnt 0x0
	global_load_u8 v3, v[0:1], off
	s_wait_loadcnt 0x0
	v_lshlrev_b32_e32 v4, 25, v3
	v_lshlrev_b16 v3, 8, v3
	s_delay_alu instid0(VALU_DEP_1) | instskip(NEXT) | instid1(VALU_DEP_3)
	v_and_or_b32 v7, 0x7f00, v3, 0.5
	v_lshrrev_b32_e32 v5, 4, v4
	v_bfe_i32 v3, v3, 0, 16
	s_delay_alu instid0(VALU_DEP_3) | instskip(NEXT) | instid1(VALU_DEP_3)
	v_add_f32_e32 v7, -0.5, v7
	v_or_b32_e32 v5, 0x70000000, v5
	s_delay_alu instid0(VALU_DEP_1) | instskip(SKIP_1) | instid1(VALU_DEP_2)
	v_mul_f32_e32 v5, 0x7800000, v5
	v_cmp_gt_u32_e32 vcc_lo, 0x8000000, v4
	v_cndmask_b32_e32 v4, v5, v7, vcc_lo
	s_delay_alu instid0(VALU_DEP_1) | instskip(SKIP_1) | instid1(VALU_DEP_2)
	v_and_or_b32 v3, 0x80000000, v3, v4
	v_bfe_u32 v4, v4, 16, 1
	v_cmp_o_f32_e32 vcc_lo, v3, v3
	s_delay_alu instid0(VALU_DEP_2) | instskip(NEXT) | instid1(VALU_DEP_1)
	v_add3_u32 v4, v3, v4, 0x7fff
	v_lshrrev_b32_e32 v4, 16, v4
	s_delay_alu instid0(VALU_DEP_1)
	v_cndmask_b32_e32 v3, 0x7fc0, v4, vcc_lo
.LBB47_1371:
	s_mov_b32 s21, 0
	s_mov_b32 s22, -1
.LBB47_1372:
	s_and_not1_b32 vcc_lo, exec_lo, s21
	s_mov_b32 s21, 0
	s_cbranch_vccnz .LBB47_1383
; %bb.1373:
	s_cmp_gt_i32 s19, 14
	s_cbranch_scc0 .LBB47_1376
; %bb.1374:
	s_cmp_eq_u32 s19, 15
	s_cbranch_scc0 .LBB47_1379
; %bb.1375:
	s_wait_loadcnt 0x0
	global_load_u16 v3, v[0:1], off
	s_mov_b32 s20, 0
	s_mov_b32 s22, -1
	s_branch .LBB47_1381
.LBB47_1376:
	s_mov_b32 s21, -1
	s_branch .LBB47_1380
.LBB47_1377:
	s_or_saveexec_b32 s22, s22
	v_mov_b32_e32 v4, 0x7f800001
	s_xor_b32 exec_lo, exec_lo, s22
	s_cbranch_execz .LBB47_1358
.LBB47_1378:
	v_cmp_ne_u16_e32 vcc_lo, 0, v3
	v_mov_b32_e32 v4, 0
	s_and_not1_b32 s21, s21, exec_lo
	s_and_b32 s23, vcc_lo, exec_lo
	s_delay_alu instid0(SALU_CYCLE_1)
	s_or_b32 s21, s21, s23
	s_or_b32 exec_lo, exec_lo, s22
	s_and_saveexec_b32 s22, s21
	s_cbranch_execnz .LBB47_1359
	s_branch .LBB47_1360
.LBB47_1379:
	s_mov_b32 s20, -1
.LBB47_1380:
                                        ; implicit-def: $vgpr3
.LBB47_1381:
	s_and_b32 vcc_lo, exec_lo, s21
	s_mov_b32 s21, 0
	s_cbranch_vccz .LBB47_1383
; %bb.1382:
	s_cmp_lg_u32 s19, 11
	s_mov_b32 s21, -1
	s_cselect_b32 s19, -1, 0
	s_and_not1_b32 s20, s20, exec_lo
	s_and_b32 s19, s19, exec_lo
	s_delay_alu instid0(SALU_CYCLE_1)
	s_or_b32 s20, s20, s19
.LBB47_1383:
	s_mov_b32 s23, 0
.LBB47_1384:
	s_and_b32 s19, s22, exec_lo
	s_and_b32 s22, s23, exec_lo
	s_and_not1_b32 s17, s17, exec_lo
	s_and_b32 s23, s20, exec_lo
	s_and_b32 s20, s21, exec_lo
	s_or_b32 s17, s17, s23
	s_wait_xcnt 0x0
	s_or_b32 exec_lo, exec_lo, s18
	s_and_saveexec_b32 s18, s17
	s_cbranch_execz .LBB47_1313
.LBB47_1385:
	s_or_b32 s16, s16, exec_lo
	s_and_not1_b32 s20, s20, exec_lo
	s_trap 2
	s_or_b32 exec_lo, exec_lo, s18
	s_and_saveexec_b32 s17, s20
	s_delay_alu instid0(SALU_CYCLE_1)
	s_xor_b32 s17, exec_lo, s17
	s_cbranch_execnz .LBB47_1314
.LBB47_1386:
	s_or_b32 exec_lo, exec_lo, s17
	s_and_saveexec_b32 s17, s22
	s_cbranch_execz .LBB47_1432
.LBB47_1387:
	s_sext_i32_i16 s18, s0
	s_delay_alu instid0(SALU_CYCLE_1)
	s_cmp_lt_i32 s18, 5
	s_cbranch_scc1 .LBB47_1392
; %bb.1388:
	s_cmp_lt_i32 s18, 8
	s_cbranch_scc1 .LBB47_1393
; %bb.1389:
	s_cmp_lt_i32 s18, 9
	s_cbranch_scc1 .LBB47_1394
; %bb.1390:
	s_cmp_gt_i32 s18, 9
	s_cbranch_scc0 .LBB47_1395
; %bb.1391:
	global_load_b64 v[4:5], v[0:1], off
	s_mov_b32 s18, 0
	s_wait_loadcnt 0x0
	v_cvt_f32_f64_e32 v3, v[4:5]
	s_delay_alu instid0(VALU_DEP_1) | instskip(SKIP_1) | instid1(VALU_DEP_2)
	v_bfe_u32 v4, v3, 16, 1
	v_cmp_o_f32_e32 vcc_lo, v3, v3
	v_add3_u32 v4, v3, v4, 0x7fff
	s_delay_alu instid0(VALU_DEP_1) | instskip(NEXT) | instid1(VALU_DEP_1)
	v_lshrrev_b32_e32 v4, 16, v4
	v_cndmask_b32_e32 v3, 0x7fc0, v4, vcc_lo
	s_branch .LBB47_1396
.LBB47_1392:
                                        ; implicit-def: $vgpr3
	s_branch .LBB47_1413
.LBB47_1393:
                                        ; implicit-def: $vgpr3
	s_branch .LBB47_1402
.LBB47_1394:
	s_mov_b32 s18, -1
                                        ; implicit-def: $vgpr3
	s_branch .LBB47_1399
.LBB47_1395:
	s_mov_b32 s18, -1
                                        ; implicit-def: $vgpr3
.LBB47_1396:
	s_delay_alu instid0(SALU_CYCLE_1)
	s_and_not1_b32 vcc_lo, exec_lo, s18
	s_cbranch_vccnz .LBB47_1398
; %bb.1397:
	s_wait_loadcnt 0x0
	global_load_b32 v3, v[0:1], off
	s_wait_loadcnt 0x0
	v_bfe_u32 v4, v3, 16, 1
	v_cmp_o_f32_e32 vcc_lo, v3, v3
	s_delay_alu instid0(VALU_DEP_2) | instskip(NEXT) | instid1(VALU_DEP_1)
	v_add3_u32 v4, v3, v4, 0x7fff
	v_lshrrev_b32_e32 v4, 16, v4
	s_delay_alu instid0(VALU_DEP_1)
	v_cndmask_b32_e32 v3, 0x7fc0, v4, vcc_lo
.LBB47_1398:
	s_mov_b32 s18, 0
.LBB47_1399:
	s_delay_alu instid0(SALU_CYCLE_1)
	s_and_not1_b32 vcc_lo, exec_lo, s18
	s_cbranch_vccnz .LBB47_1401
; %bb.1400:
	s_wait_loadcnt 0x0
	global_load_b32 v3, v[0:1], off
	s_wait_loadcnt 0x0
	v_cvt_f32_f16_e32 v4, v3
	v_cmp_o_f16_e32 vcc_lo, v3, v3
	s_delay_alu instid0(VALU_DEP_2) | instskip(NEXT) | instid1(VALU_DEP_1)
	v_bfe_u32 v5, v4, 16, 1
	v_add3_u32 v4, v4, v5, 0x7fff
	s_delay_alu instid0(VALU_DEP_1) | instskip(NEXT) | instid1(VALU_DEP_1)
	v_lshrrev_b32_e32 v4, 16, v4
	v_cndmask_b32_e32 v3, 0x7fc0, v4, vcc_lo
.LBB47_1401:
	s_cbranch_execnz .LBB47_1412
.LBB47_1402:
	s_sext_i32_i16 s18, s0
	s_delay_alu instid0(SALU_CYCLE_1)
	s_cmp_lt_i32 s18, 6
	s_cbranch_scc1 .LBB47_1405
; %bb.1403:
	s_cmp_gt_i32 s18, 6
	s_cbranch_scc0 .LBB47_1406
; %bb.1404:
	global_load_b64 v[4:5], v[0:1], off
	s_mov_b32 s18, 0
	s_wait_loadcnt 0x0
	v_cvt_f32_f64_e32 v3, v[4:5]
	s_delay_alu instid0(VALU_DEP_1) | instskip(SKIP_1) | instid1(VALU_DEP_2)
	v_bfe_u32 v4, v3, 16, 1
	v_cmp_o_f32_e32 vcc_lo, v3, v3
	v_add3_u32 v4, v3, v4, 0x7fff
	s_delay_alu instid0(VALU_DEP_1) | instskip(NEXT) | instid1(VALU_DEP_1)
	v_lshrrev_b32_e32 v4, 16, v4
	v_cndmask_b32_e32 v3, 0x7fc0, v4, vcc_lo
	s_branch .LBB47_1407
.LBB47_1405:
	s_mov_b32 s18, -1
                                        ; implicit-def: $vgpr3
	s_branch .LBB47_1410
.LBB47_1406:
	s_mov_b32 s18, -1
                                        ; implicit-def: $vgpr3
.LBB47_1407:
	s_delay_alu instid0(SALU_CYCLE_1)
	s_and_not1_b32 vcc_lo, exec_lo, s18
	s_cbranch_vccnz .LBB47_1409
; %bb.1408:
	s_wait_loadcnt 0x0
	global_load_b32 v3, v[0:1], off
	s_wait_loadcnt 0x0
	v_bfe_u32 v4, v3, 16, 1
	v_cmp_o_f32_e32 vcc_lo, v3, v3
	s_delay_alu instid0(VALU_DEP_2) | instskip(NEXT) | instid1(VALU_DEP_1)
	v_add3_u32 v4, v3, v4, 0x7fff
	v_lshrrev_b32_e32 v4, 16, v4
	s_delay_alu instid0(VALU_DEP_1)
	v_cndmask_b32_e32 v3, 0x7fc0, v4, vcc_lo
.LBB47_1409:
	s_mov_b32 s18, 0
.LBB47_1410:
	s_delay_alu instid0(SALU_CYCLE_1)
	s_and_not1_b32 vcc_lo, exec_lo, s18
	s_cbranch_vccnz .LBB47_1412
; %bb.1411:
	s_wait_loadcnt 0x0
	global_load_u16 v3, v[0:1], off
	s_wait_loadcnt 0x0
	v_cvt_f32_f16_e32 v4, v3
	v_cmp_o_f16_e32 vcc_lo, v3, v3
	s_delay_alu instid0(VALU_DEP_2) | instskip(NEXT) | instid1(VALU_DEP_1)
	v_bfe_u32 v5, v4, 16, 1
	v_add3_u32 v4, v4, v5, 0x7fff
	s_delay_alu instid0(VALU_DEP_1) | instskip(NEXT) | instid1(VALU_DEP_1)
	v_lshrrev_b32_e32 v4, 16, v4
	v_cndmask_b32_e32 v3, 0x7fc0, v4, vcc_lo
.LBB47_1412:
	s_cbranch_execnz .LBB47_1431
.LBB47_1413:
	s_sext_i32_i16 s18, s0
	s_delay_alu instid0(SALU_CYCLE_1)
	s_cmp_lt_i32 s18, 2
	s_cbranch_scc1 .LBB47_1417
; %bb.1414:
	s_cmp_lt_i32 s18, 3
	s_cbranch_scc1 .LBB47_1418
; %bb.1415:
	s_cmp_gt_i32 s18, 3
	s_cbranch_scc0 .LBB47_1419
; %bb.1416:
	global_load_b64 v[4:5], v[0:1], off
	s_mov_b32 s18, 0
	s_wait_loadcnt 0x0
	v_xor_b32_e32 v3, v4, v5
	v_cls_i32_e32 v7, v5
	s_delay_alu instid0(VALU_DEP_2) | instskip(NEXT) | instid1(VALU_DEP_1)
	v_ashrrev_i32_e32 v3, 31, v3
	v_add_nc_u32_e32 v3, 32, v3
	s_delay_alu instid0(VALU_DEP_1) | instskip(NEXT) | instid1(VALU_DEP_1)
	v_add_min_u32_e64 v3, v7, -1, v3
	v_lshlrev_b64_e32 v[4:5], v3, v[4:5]
	v_sub_nc_u32_e32 v3, 32, v3
	s_delay_alu instid0(VALU_DEP_2) | instskip(NEXT) | instid1(VALU_DEP_1)
	v_min_u32_e32 v4, 1, v4
	v_or_b32_e32 v4, v5, v4
	s_delay_alu instid0(VALU_DEP_1) | instskip(NEXT) | instid1(VALU_DEP_1)
	v_cvt_f32_i32_e32 v4, v4
	v_ldexp_f32 v3, v4, v3
	s_delay_alu instid0(VALU_DEP_1) | instskip(NEXT) | instid1(VALU_DEP_1)
	v_bfe_u32 v4, v3, 16, 1
	v_add3_u32 v3, v3, v4, 0x7fff
	s_delay_alu instid0(VALU_DEP_1)
	v_lshrrev_b32_e32 v3, 16, v3
	s_branch .LBB47_1420
.LBB47_1417:
                                        ; implicit-def: $vgpr3
	s_branch .LBB47_1426
.LBB47_1418:
	s_mov_b32 s18, -1
                                        ; implicit-def: $vgpr3
	s_branch .LBB47_1423
.LBB47_1419:
	s_mov_b32 s18, -1
                                        ; implicit-def: $vgpr3
.LBB47_1420:
	s_delay_alu instid0(SALU_CYCLE_1)
	s_and_not1_b32 vcc_lo, exec_lo, s18
	s_cbranch_vccnz .LBB47_1422
; %bb.1421:
	s_wait_loadcnt 0x0
	global_load_b32 v3, v[0:1], off
	s_wait_loadcnt 0x0
	v_cvt_f32_i32_e32 v3, v3
	s_delay_alu instid0(VALU_DEP_1) | instskip(NEXT) | instid1(VALU_DEP_1)
	v_bfe_u32 v4, v3, 16, 1
	v_add3_u32 v3, v3, v4, 0x7fff
	s_delay_alu instid0(VALU_DEP_1)
	v_lshrrev_b32_e32 v3, 16, v3
.LBB47_1422:
	s_mov_b32 s18, 0
.LBB47_1423:
	s_delay_alu instid0(SALU_CYCLE_1)
	s_and_not1_b32 vcc_lo, exec_lo, s18
	s_cbranch_vccnz .LBB47_1425
; %bb.1424:
	s_wait_loadcnt 0x0
	global_load_i16 v3, v[0:1], off
	s_wait_loadcnt 0x0
	v_cvt_f32_i32_e32 v3, v3
	s_delay_alu instid0(VALU_DEP_1) | instskip(NEXT) | instid1(VALU_DEP_1)
	v_bfe_u32 v4, v3, 16, 1
	v_add3_u32 v3, v3, v4, 0x7fff
	s_delay_alu instid0(VALU_DEP_1)
	v_lshrrev_b32_e32 v3, 16, v3
.LBB47_1425:
	s_cbranch_execnz .LBB47_1431
.LBB47_1426:
	s_sext_i32_i16 s0, s0
	s_delay_alu instid0(SALU_CYCLE_1)
	s_cmp_gt_i32 s0, 0
	s_mov_b32 s0, 0
	s_cbranch_scc0 .LBB47_1428
; %bb.1427:
	s_wait_loadcnt 0x0
	global_load_i8 v3, v[0:1], off
	s_wait_loadcnt 0x0
	v_cvt_f32_i32_e32 v3, v3
	s_delay_alu instid0(VALU_DEP_1) | instskip(NEXT) | instid1(VALU_DEP_1)
	v_bfe_u32 v4, v3, 16, 1
	v_add3_u32 v3, v3, v4, 0x7fff
	s_delay_alu instid0(VALU_DEP_1)
	v_lshrrev_b32_e32 v3, 16, v3
	s_branch .LBB47_1429
.LBB47_1428:
	s_mov_b32 s0, -1
                                        ; implicit-def: $vgpr3
.LBB47_1429:
	s_delay_alu instid0(SALU_CYCLE_1)
	s_and_not1_b32 vcc_lo, exec_lo, s0
	s_cbranch_vccnz .LBB47_1431
; %bb.1430:
	global_load_u8 v0, v[0:1], off
	s_wait_loadcnt 0x0
	v_cvt_f32_ubyte0_e32 v0, v0
	s_delay_alu instid0(VALU_DEP_1) | instskip(NEXT) | instid1(VALU_DEP_1)
	v_bfe_u32 v1, v0, 16, 1
	v_add3_u32 v0, v0, v1, 0x7fff
	s_delay_alu instid0(VALU_DEP_1)
	v_lshrrev_b32_e32 v3, 16, v0
.LBB47_1431:
	s_or_b32 s19, s19, exec_lo
.LBB47_1432:
	s_wait_xcnt 0x0
	s_or_b32 exec_lo, exec_lo, s17
	s_mov_b32 s0, 0
	s_mov_b32 s20, 0
                                        ; implicit-def: $sgpr17
                                        ; implicit-def: $vgpr0_vgpr1
	s_and_saveexec_b32 s18, s19
	s_cbranch_execz .LBB47_1442
; %bb.1433:
	s_wait_loadcnt 0x0
	v_lshlrev_b32_e32 v0, 16, v2
	s_mov_b32 s0, exec_lo
	s_delay_alu instid0(VALU_DEP_1)
	v_cmpx_nlt_f32_e32 0, v0
	s_cbranch_execz .LBB47_1435
; %bb.1434:
	v_lshlrev_b32_e32 v1, 16, v3
	s_delay_alu instid0(VALU_DEP_1) | instskip(NEXT) | instid1(VALU_DEP_1)
	v_mul_f32_e32 v0, v0, v1
	v_bfe_u32 v1, v0, 16, 1
	s_delay_alu instid0(VALU_DEP_1) | instskip(NEXT) | instid1(VALU_DEP_1)
	v_add3_u32 v1, v0, v1, 0x7fff
	v_lshrrev_b32_e32 v1, 16, v1
	v_cmp_o_f32_e32 vcc_lo, v0, v0
	s_delay_alu instid0(VALU_DEP_2)
	v_cndmask_b32_e32 v2, 0x7fc0, v1, vcc_lo
.LBB47_1435:
	s_or_b32 exec_lo, exec_lo, s0
	v_mul_lo_u32 v0, v6, s8
	s_and_b32 s17, s11, 0xff
	s_delay_alu instid0(SALU_CYCLE_1) | instskip(NEXT) | instid1(VALU_DEP_1)
	s_cmp_lt_i32 s17, 11
	v_ashrrev_i32_e32 v1, 31, v0
	s_delay_alu instid0(VALU_DEP_1)
	v_add_nc_u64_e32 v[0:1], s[4:5], v[0:1]
	s_cbranch_scc1 .LBB47_1445
; %bb.1436:
	s_and_b32 s19, 0xffff, s17
	s_mov_b32 s20, -1
	s_cmp_gt_i32 s19, 25
	s_mov_b32 s0, s15
	s_cbranch_scc0 .LBB47_1473
; %bb.1437:
	s_cmp_gt_i32 s19, 28
	s_mov_b32 s0, s15
	s_cbranch_scc0 .LBB47_1457
; %bb.1438:
	;; [unrolled: 4-line block ×4, first 2 shown]
	s_cmp_eq_u32 s19, 46
	s_mov_b32 s0, -1
	s_cbranch_scc0 .LBB47_1446
; %bb.1441:
	v_and_b32_e32 v3, 0xffff, v2
	s_mov_b32 s0, 0
	s_mov_b32 s20, 0
	global_store_b32 v[0:1], v3, off
	s_branch .LBB47_1447
.LBB47_1442:
	s_or_b32 exec_lo, exec_lo, s18
	s_and_saveexec_b32 s18, s15
	s_cbranch_execnz .LBB47_1515
.LBB47_1443:
	s_or_b32 exec_lo, exec_lo, s18
	s_and_saveexec_b32 s15, s0
	s_delay_alu instid0(SALU_CYCLE_1)
	s_xor_b32 s0, exec_lo, s15
	s_cbranch_execz .LBB47_1516
.LBB47_1444:
	s_wait_loadcnt 0x0
	v_and_b32_e32 v3, 0x7fff, v2
	s_delay_alu instid0(VALU_DEP_1)
	v_cmp_ne_u16_e32 vcc_lo, 0, v3
	v_cndmask_b32_e64 v3, 0, 1, vcc_lo
	global_store_b8 v[0:1], v3, off
	s_wait_xcnt 0x0
	s_or_b32 exec_lo, exec_lo, s0
	s_and_saveexec_b32 s0, s20
	s_delay_alu instid0(SALU_CYCLE_1)
	s_xor_b32 s0, exec_lo, s0
	s_cbranch_execz .LBB47_1554
	s_branch .LBB47_1517
.LBB47_1445:
	s_mov_b32 s21, 0
	s_mov_b32 s20, -1
	s_mov_b32 s0, s15
	s_branch .LBB47_1514
.LBB47_1446:
	s_mov_b32 s20, 0
.LBB47_1447:
	s_delay_alu instid0(SALU_CYCLE_1)
	s_and_b32 vcc_lo, exec_lo, s20
	s_cbranch_vccz .LBB47_1452
; %bb.1448:
	s_cmp_eq_u32 s19, 44
	s_mov_b32 s0, -1
	s_cbranch_scc0 .LBB47_1452
; %bb.1449:
	s_wait_xcnt 0x0
	v_and_b32_e32 v3, 0xffff, v2
	v_mov_b32_e32 v4, 0xff
	s_mov_b32 s20, exec_lo
	s_delay_alu instid0(VALU_DEP_2) | instskip(NEXT) | instid1(VALU_DEP_1)
	v_bfe_u32 v5, v3, 7, 8
	v_cmpx_ne_u32_e32 0xff, v5
	s_cbranch_execz .LBB47_1451
; %bb.1450:
	v_dual_lshlrev_b32 v4, 16, v3 :: v_dual_bitop2_b32 v6, 64, v3 bitop3:0x40
	v_lshrrev_b32_e32 v3, 7, v3
	s_delay_alu instid0(VALU_DEP_2) | instskip(NEXT) | instid1(VALU_DEP_3)
	v_and_or_b32 v4, 0x3f0000, v4, v5
	v_cmp_ne_u32_e32 vcc_lo, 0, v6
	s_delay_alu instid0(VALU_DEP_2) | instskip(SKIP_1) | instid1(SALU_CYCLE_1)
	v_cmp_ne_u32_e64 s0, 0, v4
	s_and_b32 s0, vcc_lo, s0
	v_cndmask_b32_e64 v4, 0, 1, s0
	s_delay_alu instid0(VALU_DEP_1)
	v_add_nc_u32_e32 v4, v3, v4
.LBB47_1451:
	s_or_b32 exec_lo, exec_lo, s20
	s_mov_b32 s0, 0
	global_store_b8 v[0:1], v4, off
.LBB47_1452:
	s_mov_b32 s20, 0
.LBB47_1453:
	s_delay_alu instid0(SALU_CYCLE_1)
	s_and_b32 vcc_lo, exec_lo, s20
	s_cbranch_vccz .LBB47_1456
; %bb.1454:
	s_cmp_eq_u32 s19, 29
	s_mov_b32 s0, -1
	s_cbranch_scc0 .LBB47_1456
; %bb.1455:
	s_wait_xcnt 0x0
	v_lshlrev_b32_e32 v3, 16, v2
	s_mov_b32 s0, 0
	s_mov_b32 s20, 0
	s_delay_alu instid0(VALU_DEP_1) | instskip(NEXT) | instid1(VALU_DEP_1)
	v_trunc_f32_e32 v3, v3
	v_mul_f32_e32 v4, 0x2f800000, v3
	s_delay_alu instid0(VALU_DEP_1) | instskip(NEXT) | instid1(VALU_DEP_1)
	v_floor_f32_e32 v4, v4
	v_fmamk_f32 v3, v4, 0xcf800000, v3
	v_cvt_u32_f32_e32 v5, v4
	s_delay_alu instid0(VALU_DEP_2)
	v_cvt_u32_f32_e32 v4, v3
	global_store_b64 v[0:1], v[4:5], off
	s_branch .LBB47_1457
.LBB47_1456:
	s_mov_b32 s20, 0
.LBB47_1457:
	s_delay_alu instid0(SALU_CYCLE_1)
	s_and_b32 vcc_lo, exec_lo, s20
	s_cbranch_vccz .LBB47_1472
; %bb.1458:
	s_cmp_lt_i32 s19, 27
	s_mov_b32 s20, -1
	s_cbranch_scc1 .LBB47_1464
; %bb.1459:
	s_cmp_gt_i32 s19, 27
	s_cbranch_scc0 .LBB47_1461
; %bb.1460:
	s_wait_xcnt 0x0
	v_lshlrev_b32_e32 v3, 16, v2
	s_mov_b32 s20, 0
	s_delay_alu instid0(VALU_DEP_1)
	v_cvt_u32_f32_e32 v3, v3
	global_store_b32 v[0:1], v3, off
.LBB47_1461:
	s_and_not1_b32 vcc_lo, exec_lo, s20
	s_cbranch_vccnz .LBB47_1463
; %bb.1462:
	s_wait_xcnt 0x0
	v_lshlrev_b32_e32 v3, 16, v2
	s_delay_alu instid0(VALU_DEP_1)
	v_cvt_u32_f32_e32 v3, v3
	global_store_b16 v[0:1], v3, off
.LBB47_1463:
	s_mov_b32 s20, 0
.LBB47_1464:
	s_delay_alu instid0(SALU_CYCLE_1)
	s_and_not1_b32 vcc_lo, exec_lo, s20
	s_cbranch_vccnz .LBB47_1472
; %bb.1465:
	s_wait_xcnt 0x0
	v_dual_mov_b32 v6, 0x80 :: v_dual_lshlrev_b32 v5, 16, v2
	s_mov_b32 s20, exec_lo
	s_delay_alu instid0(VALU_DEP_1) | instskip(NEXT) | instid1(VALU_DEP_1)
	v_and_b32_e32 v4, 0x7fffffff, v5
	v_cmpx_gt_u32_e32 0x43800000, v4
	s_cbranch_execz .LBB47_1471
; %bb.1466:
	v_and_b32_e32 v3, 0xffff, v2
	v_cmp_lt_u32_e32 vcc_lo, 0x3bffffff, v4
	s_mov_b32 s21, 0
                                        ; implicit-def: $vgpr4
	s_and_saveexec_b32 s22, vcc_lo
	s_delay_alu instid0(SALU_CYCLE_1)
	s_xor_b32 s22, exec_lo, s22
	s_cbranch_execz .LBB47_1569
; %bb.1467:
	v_bfe_u32 v4, v3, 4, 1
	s_mov_b32 s21, exec_lo
	s_delay_alu instid0(VALU_DEP_1) | instskip(NEXT) | instid1(VALU_DEP_1)
	v_add3_u32 v4, v5, v4, 0x487ffff
                                        ; implicit-def: $vgpr5
	v_lshrrev_b32_e32 v4, 20, v4
	s_and_not1_saveexec_b32 s22, s22
	s_cbranch_execnz .LBB47_1570
.LBB47_1468:
	s_or_b32 exec_lo, exec_lo, s22
	v_mov_b32_e32 v6, 0
	s_and_saveexec_b32 s22, s21
.LBB47_1469:
	v_lshrrev_b32_e32 v3, 8, v3
	s_delay_alu instid0(VALU_DEP_1)
	v_and_or_b32 v6, 0x80, v3, v4
.LBB47_1470:
	s_or_b32 exec_lo, exec_lo, s22
.LBB47_1471:
	s_delay_alu instid0(SALU_CYCLE_1)
	s_or_b32 exec_lo, exec_lo, s20
	global_store_b8 v[0:1], v6, off
.LBB47_1472:
	s_mov_b32 s20, 0
.LBB47_1473:
	s_delay_alu instid0(SALU_CYCLE_1)
	s_and_b32 vcc_lo, exec_lo, s20
	s_mov_b32 s20, 0
	s_cbranch_vccz .LBB47_1513
; %bb.1474:
	s_cmp_gt_i32 s19, 22
	s_mov_b32 s21, -1
	s_cbranch_scc0 .LBB47_1506
; %bb.1475:
	s_cmp_lt_i32 s19, 24
	s_cbranch_scc1 .LBB47_1495
; %bb.1476:
	s_cmp_gt_i32 s19, 24
	s_cbranch_scc0 .LBB47_1484
; %bb.1477:
	s_wait_xcnt 0x0
	v_dual_mov_b32 v6, 0x80 :: v_dual_lshlrev_b32 v5, 16, v2
	s_mov_b32 s21, exec_lo
	s_delay_alu instid0(VALU_DEP_1) | instskip(NEXT) | instid1(VALU_DEP_1)
	v_and_b32_e32 v4, 0x7fffffff, v5
	v_cmpx_gt_u32_e32 0x47800000, v4
	s_cbranch_execz .LBB47_1483
; %bb.1478:
	v_and_b32_e32 v3, 0xffff, v2
	v_cmp_lt_u32_e32 vcc_lo, 0x37ffffff, v4
	s_mov_b32 s22, 0
                                        ; implicit-def: $vgpr4
	s_and_saveexec_b32 s23, vcc_lo
	s_delay_alu instid0(SALU_CYCLE_1)
	s_xor_b32 s23, exec_lo, s23
	s_cbranch_execz .LBB47_1695
; %bb.1479:
	v_bfe_u32 v4, v3, 5, 1
	s_mov_b32 s22, exec_lo
	s_delay_alu instid0(VALU_DEP_1) | instskip(NEXT) | instid1(VALU_DEP_1)
	v_add3_u32 v4, v5, v4, 0x88fffff
                                        ; implicit-def: $vgpr5
	v_lshrrev_b32_e32 v4, 21, v4
	s_and_not1_saveexec_b32 s23, s23
	s_cbranch_execnz .LBB47_1696
.LBB47_1480:
	s_or_b32 exec_lo, exec_lo, s23
	v_mov_b32_e32 v6, 0
	s_and_saveexec_b32 s23, s22
.LBB47_1481:
	v_lshrrev_b32_e32 v3, 8, v3
	s_delay_alu instid0(VALU_DEP_1)
	v_and_or_b32 v6, 0x80, v3, v4
.LBB47_1482:
	s_or_b32 exec_lo, exec_lo, s23
.LBB47_1483:
	s_delay_alu instid0(SALU_CYCLE_1)
	s_or_b32 exec_lo, exec_lo, s21
	s_mov_b32 s21, 0
	global_store_b8 v[0:1], v6, off
.LBB47_1484:
	s_and_b32 vcc_lo, exec_lo, s21
	s_cbranch_vccz .LBB47_1494
; %bb.1485:
	s_wait_xcnt 0x0
	v_lshlrev_b32_e32 v5, 16, v2
	v_and_b32_e32 v3, 0xffff, v2
	s_mov_b32 s21, exec_lo
                                        ; implicit-def: $vgpr4
	s_delay_alu instid0(VALU_DEP_2) | instskip(NEXT) | instid1(VALU_DEP_1)
	v_and_b32_e32 v6, 0x7fffffff, v5
	v_cmpx_gt_u32_e32 0x43f00000, v6
	s_xor_b32 s21, exec_lo, s21
	s_cbranch_execz .LBB47_1491
; %bb.1486:
	s_mov_b32 s22, exec_lo
                                        ; implicit-def: $vgpr4
	v_cmpx_lt_u32_e32 0x3c7fffff, v6
	s_xor_b32 s22, exec_lo, s22
; %bb.1487:
	v_bfe_u32 v4, v3, 4, 1
	s_delay_alu instid0(VALU_DEP_1) | instskip(NEXT) | instid1(VALU_DEP_1)
	v_add3_u32 v4, v5, v4, 0x407ffff
	v_and_b32_e32 v5, 0xff00000, v4
	v_lshrrev_b32_e32 v4, 20, v4
	s_delay_alu instid0(VALU_DEP_2) | instskip(NEXT) | instid1(VALU_DEP_2)
	v_cmp_ne_u32_e32 vcc_lo, 0x7f00000, v5
                                        ; implicit-def: $vgpr5
	v_cndmask_b32_e32 v4, 0x7e, v4, vcc_lo
; %bb.1488:
	s_and_not1_saveexec_b32 s22, s22
; %bb.1489:
	v_add_f32_e64 v4, 0x46800000, |v5|
; %bb.1490:
	s_or_b32 exec_lo, exec_lo, s22
                                        ; implicit-def: $vgpr6
.LBB47_1491:
	s_and_not1_saveexec_b32 s21, s21
; %bb.1492:
	v_mov_b32_e32 v4, 0x7f
	v_cmp_lt_u32_e32 vcc_lo, 0x7f800000, v6
	s_delay_alu instid0(VALU_DEP_2)
	v_cndmask_b32_e32 v4, 0x7e, v4, vcc_lo
; %bb.1493:
	s_or_b32 exec_lo, exec_lo, s21
	v_lshrrev_b32_e32 v3, 8, v3
	s_delay_alu instid0(VALU_DEP_1)
	v_and_or_b32 v3, 0x80, v3, v4
	global_store_b8 v[0:1], v3, off
.LBB47_1494:
	s_mov_b32 s21, 0
.LBB47_1495:
	s_delay_alu instid0(SALU_CYCLE_1)
	s_and_not1_b32 vcc_lo, exec_lo, s21
	s_cbranch_vccnz .LBB47_1505
; %bb.1496:
	s_wait_xcnt 0x0
	v_lshlrev_b32_e32 v5, 16, v2
	v_and_b32_e32 v3, 0xffff, v2
	s_mov_b32 s21, exec_lo
                                        ; implicit-def: $vgpr4
	s_delay_alu instid0(VALU_DEP_2) | instskip(NEXT) | instid1(VALU_DEP_1)
	v_and_b32_e32 v6, 0x7fffffff, v5
	v_cmpx_gt_u32_e32 0x47800000, v6
	s_xor_b32 s21, exec_lo, s21
	s_cbranch_execz .LBB47_1502
; %bb.1497:
	s_mov_b32 s22, exec_lo
                                        ; implicit-def: $vgpr4
	v_cmpx_lt_u32_e32 0x387fffff, v6
	s_xor_b32 s22, exec_lo, s22
; %bb.1498:
	v_bfe_u32 v4, v3, 5, 1
	s_delay_alu instid0(VALU_DEP_1) | instskip(NEXT) | instid1(VALU_DEP_1)
	v_add3_u32 v4, v5, v4, 0x80fffff
                                        ; implicit-def: $vgpr5
	v_lshrrev_b32_e32 v4, 21, v4
; %bb.1499:
	s_and_not1_saveexec_b32 s22, s22
; %bb.1500:
	v_add_f32_e64 v4, 0x43000000, |v5|
; %bb.1501:
	s_or_b32 exec_lo, exec_lo, s22
                                        ; implicit-def: $vgpr6
.LBB47_1502:
	s_and_not1_saveexec_b32 s21, s21
; %bb.1503:
	v_mov_b32_e32 v4, 0x7f
	v_cmp_lt_u32_e32 vcc_lo, 0x7f800000, v6
	s_delay_alu instid0(VALU_DEP_2)
	v_cndmask_b32_e32 v4, 0x7c, v4, vcc_lo
; %bb.1504:
	s_or_b32 exec_lo, exec_lo, s21
	v_lshrrev_b32_e32 v3, 8, v3
	s_delay_alu instid0(VALU_DEP_1)
	v_and_or_b32 v3, 0x80, v3, v4
	global_store_b8 v[0:1], v3, off
.LBB47_1505:
	s_mov_b32 s21, 0
.LBB47_1506:
	s_delay_alu instid0(SALU_CYCLE_1)
	s_and_not1_b32 vcc_lo, exec_lo, s21
	s_mov_b32 s21, 0
	s_cbranch_vccnz .LBB47_1514
; %bb.1507:
	s_cmp_gt_i32 s19, 14
	s_mov_b32 s21, -1
	s_cbranch_scc0 .LBB47_1511
; %bb.1508:
	s_cmp_eq_u32 s19, 15
	s_mov_b32 s0, -1
	s_cbranch_scc0 .LBB47_1510
; %bb.1509:
	s_mov_b32 s0, 0
	global_store_b16 v[0:1], v2, off
.LBB47_1510:
	s_mov_b32 s21, 0
.LBB47_1511:
	s_delay_alu instid0(SALU_CYCLE_1)
	s_and_b32 vcc_lo, exec_lo, s21
	s_mov_b32 s21, 0
	s_cbranch_vccz .LBB47_1514
; %bb.1512:
	s_cmp_lg_u32 s19, 11
	s_mov_b32 s21, -1
	s_cselect_b32 s19, -1, 0
	s_and_not1_b32 s0, s0, exec_lo
	s_and_b32 s19, s19, exec_lo
	s_delay_alu instid0(SALU_CYCLE_1)
	s_or_b32 s0, s0, s19
	s_branch .LBB47_1514
.LBB47_1513:
	s_mov_b32 s21, 0
.LBB47_1514:
	s_and_not1_b32 s15, s15, exec_lo
	s_and_b32 s19, s0, exec_lo
	s_and_b32 s20, s20, exec_lo
	;; [unrolled: 1-line block ×3, first 2 shown]
	s_or_b32 s15, s15, s19
	s_wait_xcnt 0x0
	s_or_b32 exec_lo, exec_lo, s18
	s_and_saveexec_b32 s18, s15
	s_cbranch_execz .LBB47_1443
.LBB47_1515:
	s_or_b32 s16, s16, exec_lo
	s_and_not1_b32 s0, s0, exec_lo
	s_trap 2
	s_or_b32 exec_lo, exec_lo, s18
	s_and_saveexec_b32 s15, s0
	s_delay_alu instid0(SALU_CYCLE_1)
	s_xor_b32 s0, exec_lo, s15
	s_cbranch_execnz .LBB47_1444
.LBB47_1516:
	s_or_b32 exec_lo, exec_lo, s0
	s_and_saveexec_b32 s0, s20
	s_delay_alu instid0(SALU_CYCLE_1)
	s_xor_b32 s0, exec_lo, s0
	s_cbranch_execz .LBB47_1554
.LBB47_1517:
	s_sext_i32_i16 s18, s17
	s_mov_b32 s15, -1
	s_cmp_lt_i32 s18, 5
	s_cbranch_scc1 .LBB47_1538
; %bb.1518:
	s_cmp_lt_i32 s18, 8
	s_cbranch_scc1 .LBB47_1528
; %bb.1519:
	;; [unrolled: 3-line block ×3, first 2 shown]
	s_cmp_gt_i32 s18, 9
	s_cbranch_scc0 .LBB47_1522
; %bb.1521:
	s_wait_loadcnt 0x0
	v_dual_mov_b32 v6, 0 :: v_dual_lshlrev_b32 v3, 16, v2
	s_mov_b32 s15, 0
	s_delay_alu instid0(VALU_DEP_1) | instskip(NEXT) | instid1(VALU_DEP_2)
	v_cvt_f64_f32_e32 v[4:5], v3
	v_mov_b32_e32 v7, v6
	global_store_b128 v[0:1], v[4:7], off
.LBB47_1522:
	s_and_not1_b32 vcc_lo, exec_lo, s15
	s_cbranch_vccnz .LBB47_1524
; %bb.1523:
	s_wait_loadcnt 0x0
	v_dual_mov_b32 v5, 0 :: v_dual_lshlrev_b32 v4, 16, v2
	global_store_b64 v[0:1], v[4:5], off
.LBB47_1524:
	s_mov_b32 s15, 0
.LBB47_1525:
	s_delay_alu instid0(SALU_CYCLE_1)
	s_and_not1_b32 vcc_lo, exec_lo, s15
	s_cbranch_vccnz .LBB47_1527
; %bb.1526:
	s_wait_loadcnt 0x0
	v_lshlrev_b32_e32 v3, 16, v2
	s_delay_alu instid0(VALU_DEP_1) | instskip(NEXT) | instid1(VALU_DEP_1)
	v_cvt_f16_f32_e32 v3, v3
	v_and_b32_e32 v3, 0xffff, v3
	global_store_b32 v[0:1], v3, off
.LBB47_1527:
	s_mov_b32 s15, 0
.LBB47_1528:
	s_delay_alu instid0(SALU_CYCLE_1)
	s_and_not1_b32 vcc_lo, exec_lo, s15
	s_cbranch_vccnz .LBB47_1537
; %bb.1529:
	s_sext_i32_i16 s18, s17
	s_mov_b32 s15, -1
	s_cmp_lt_i32 s18, 6
	s_cbranch_scc1 .LBB47_1535
; %bb.1530:
	s_cmp_gt_i32 s18, 6
	s_cbranch_scc0 .LBB47_1532
; %bb.1531:
	s_wait_loadcnt 0x0
	v_lshlrev_b32_e32 v3, 16, v2
	s_mov_b32 s15, 0
	s_delay_alu instid0(VALU_DEP_1)
	v_cvt_f64_f32_e32 v[4:5], v3
	global_store_b64 v[0:1], v[4:5], off
.LBB47_1532:
	s_and_not1_b32 vcc_lo, exec_lo, s15
	s_cbranch_vccnz .LBB47_1534
; %bb.1533:
	s_wait_loadcnt 0x0
	v_lshlrev_b32_e32 v3, 16, v2
	global_store_b32 v[0:1], v3, off
.LBB47_1534:
	s_mov_b32 s15, 0
.LBB47_1535:
	s_delay_alu instid0(SALU_CYCLE_1)
	s_and_not1_b32 vcc_lo, exec_lo, s15
	s_cbranch_vccnz .LBB47_1537
; %bb.1536:
	s_wait_loadcnt 0x0
	v_lshlrev_b32_e32 v3, 16, v2
	s_delay_alu instid0(VALU_DEP_1)
	v_cvt_f16_f32_e32 v3, v3
	global_store_b16 v[0:1], v3, off
.LBB47_1537:
	s_mov_b32 s15, 0
.LBB47_1538:
	s_delay_alu instid0(SALU_CYCLE_1)
	s_and_not1_b32 vcc_lo, exec_lo, s15
	s_cbranch_vccnz .LBB47_1554
; %bb.1539:
	s_sext_i32_i16 s18, s17
	s_mov_b32 s15, -1
	s_cmp_lt_i32 s18, 2
	s_cbranch_scc1 .LBB47_1549
; %bb.1540:
	s_cmp_lt_i32 s18, 3
	s_cbranch_scc1 .LBB47_1546
; %bb.1541:
	s_cmp_gt_i32 s18, 3
	s_cbranch_scc0 .LBB47_1543
; %bb.1542:
	s_wait_loadcnt 0x0
	v_lshlrev_b32_e32 v3, 16, v2
	s_mov_b32 s15, 0
	s_delay_alu instid0(VALU_DEP_1) | instskip(NEXT) | instid1(VALU_DEP_1)
	v_trunc_f32_e32 v3, v3
	v_mul_f32_e64 v4, 0x2f800000, |v3|
	s_delay_alu instid0(VALU_DEP_1) | instskip(SKIP_1) | instid1(VALU_DEP_2)
	v_floor_f32_e32 v5, v4
	v_ashrrev_i32_e32 v4, 31, v3
	v_fma_f32 v6, 0xcf800000, v5, |v3|
	v_cvt_u32_f32_e32 v3, v5
	s_delay_alu instid0(VALU_DEP_3) | instskip(NEXT) | instid1(VALU_DEP_3)
	v_mov_b32_e32 v5, v4
	v_cvt_u32_f32_e32 v6, v6
	s_delay_alu instid0(VALU_DEP_3) | instskip(NEXT) | instid1(VALU_DEP_2)
	v_xor_b32_e32 v7, v3, v4
	v_xor_b32_e32 v6, v6, v4
	s_delay_alu instid0(VALU_DEP_1)
	v_sub_nc_u64_e32 v[4:5], v[6:7], v[4:5]
	global_store_b64 v[0:1], v[4:5], off
.LBB47_1543:
	s_and_not1_b32 vcc_lo, exec_lo, s15
	s_cbranch_vccnz .LBB47_1545
; %bb.1544:
	s_wait_loadcnt 0x0
	v_lshlrev_b32_e32 v3, 16, v2
	s_delay_alu instid0(VALU_DEP_1)
	v_cvt_i32_f32_e32 v3, v3
	global_store_b32 v[0:1], v3, off
.LBB47_1545:
	s_mov_b32 s15, 0
.LBB47_1546:
	s_delay_alu instid0(SALU_CYCLE_1)
	s_and_not1_b32 vcc_lo, exec_lo, s15
	s_cbranch_vccnz .LBB47_1548
; %bb.1547:
	s_wait_loadcnt 0x0
	v_lshlrev_b32_e32 v3, 16, v2
	s_delay_alu instid0(VALU_DEP_1)
	v_cvt_i32_f32_e32 v3, v3
	global_store_b16 v[0:1], v3, off
.LBB47_1548:
	s_mov_b32 s15, 0
.LBB47_1549:
	s_delay_alu instid0(SALU_CYCLE_1)
	s_and_not1_b32 vcc_lo, exec_lo, s15
	s_cbranch_vccnz .LBB47_1554
; %bb.1550:
	s_wait_loadcnt 0x0
	v_lshlrev_b32_e32 v2, 16, v2
	s_sext_i32_i16 s15, s17
	s_delay_alu instid0(SALU_CYCLE_1)
	s_cmp_gt_i32 s15, 0
	s_mov_b32 s15, -1
	s_cbranch_scc0 .LBB47_1552
; %bb.1551:
	s_wait_xcnt 0x0
	v_cvt_i32_f32_e32 v3, v2
	s_mov_b32 s15, 0
	global_store_b8 v[0:1], v3, off
.LBB47_1552:
	s_and_not1_b32 vcc_lo, exec_lo, s15
	s_cbranch_vccnz .LBB47_1554
; %bb.1553:
	v_trunc_f32_e32 v2, v2
	s_wait_xcnt 0x0
	s_delay_alu instid0(VALU_DEP_1) | instskip(NEXT) | instid1(VALU_DEP_1)
	v_mul_f32_e64 v3, 0x2f800000, |v2|
	v_floor_f32_e32 v3, v3
	s_delay_alu instid0(VALU_DEP_1) | instskip(SKIP_1) | instid1(VALU_DEP_2)
	v_fma_f32 v3, 0xcf800000, v3, |v2|
	v_ashrrev_i32_e32 v2, 31, v2
	v_cvt_u32_f32_e32 v3, v3
	s_delay_alu instid0(VALU_DEP_1) | instskip(NEXT) | instid1(VALU_DEP_1)
	v_xor_b32_e32 v3, v3, v2
	v_sub_nc_u32_e32 v2, v3, v2
	global_store_b8 v[0:1], v2, off
.LBB47_1554:
	s_wait_xcnt 0x0
	s_or_b32 exec_lo, exec_lo, s0
	s_delay_alu instid0(SALU_CYCLE_1)
	s_and_b32 s15, s16, exec_lo
                                        ; implicit-def: $vgpr6
.LBB47_1555:
	s_or_saveexec_b32 s14, s14
	s_mov_b32 s0, 0
                                        ; implicit-def: $sgpr16
                                        ; implicit-def: $vgpr0_vgpr1
                                        ; implicit-def: $vgpr4
	s_xor_b32 exec_lo, exec_lo, s14
	s_cbranch_execz .LBB47_2686
; %bb.1556:
	v_mul_lo_u32 v0, s9, v6
	s_and_b32 s0, s13, 0xff
	s_delay_alu instid0(SALU_CYCLE_1) | instskip(NEXT) | instid1(VALU_DEP_1)
	s_cmp_lt_i32 s0, 11
	v_ashrrev_i32_e32 v1, 31, v0
	s_wait_loadcnt 0x0
	s_delay_alu instid0(VALU_DEP_1)
	v_add_nc_u64_e32 v[2:3], s[6:7], v[0:1]
	s_cbranch_scc1 .LBB47_1563
; %bb.1557:
	s_and_b32 s12, 0xffff, s0
	s_mov_b32 s16, 0
	s_cmp_gt_i32 s12, 25
	s_cbranch_scc0 .LBB47_1565
; %bb.1558:
	s_cmp_gt_i32 s12, 28
	s_cbranch_scc0 .LBB47_1566
; %bb.1559:
	;; [unrolled: 3-line block ×4, first 2 shown]
	s_cmp_eq_u32 s12, 46
	s_mov_b32 s18, 0
	s_cbranch_scc0 .LBB47_1571
; %bb.1562:
	global_load_b32 v7, v[2:3], off
	s_mov_b32 s13, 0
	s_mov_b32 s17, -1
	s_branch .LBB47_1573
.LBB47_1563:
	s_mov_b32 s17, 0
	s_mov_b32 s12, s15
                                        ; implicit-def: $vgpr7
	s_cbranch_execnz .LBB47_1636
.LBB47_1564:
	s_and_not1_b32 vcc_lo, exec_lo, s17
	s_cbranch_vccz .LBB47_1681
	s_branch .LBB47_2684
.LBB47_1565:
	s_mov_b32 s17, 0
	s_mov_b32 s13, 0
                                        ; implicit-def: $vgpr7
	s_cbranch_execnz .LBB47_1601
	s_branch .LBB47_1632
.LBB47_1566:
	s_mov_b32 s18, -1
	s_mov_b32 s17, 0
	s_mov_b32 s13, 0
                                        ; implicit-def: $vgpr7
	s_branch .LBB47_1582
.LBB47_1567:
	s_mov_b32 s17, 0
	s_mov_b32 s13, 0
                                        ; implicit-def: $vgpr7
	s_cbranch_execnz .LBB47_1578
	s_branch .LBB47_1581
.LBB47_1568:
	s_mov_b32 s18, -1
	s_mov_b32 s17, 0
	s_mov_b32 s13, 0
	s_branch .LBB47_1572
.LBB47_1569:
	s_and_not1_saveexec_b32 s22, s22
	s_cbranch_execz .LBB47_1468
.LBB47_1570:
	v_add_f32_e64 v4, 0x46000000, |v5|
	s_and_not1_b32 s21, s21, exec_lo
	s_delay_alu instid0(VALU_DEP_1) | instskip(NEXT) | instid1(VALU_DEP_1)
	v_and_b32_e32 v4, 0xff, v4
	v_cmp_ne_u32_e32 vcc_lo, 0, v4
	s_and_b32 s23, vcc_lo, exec_lo
	s_delay_alu instid0(SALU_CYCLE_1)
	s_or_b32 s21, s21, s23
	s_or_b32 exec_lo, exec_lo, s22
	v_mov_b32_e32 v6, 0
	s_and_saveexec_b32 s22, s21
	s_cbranch_execnz .LBB47_1469
	s_branch .LBB47_1470
.LBB47_1571:
	s_mov_b32 s13, -1
	s_mov_b32 s17, 0
.LBB47_1572:
                                        ; implicit-def: $vgpr7
.LBB47_1573:
	s_and_b32 vcc_lo, exec_lo, s18
	s_cbranch_vccz .LBB47_1576
; %bb.1574:
	s_cmp_eq_u32 s12, 44
	s_cbranch_scc0 .LBB47_1577
; %bb.1575:
	global_load_u8 v1, v[2:3], off
	s_mov_b32 s13, 0
	s_mov_b32 s17, -1
	s_wait_loadcnt 0x0
	v_lshlrev_b32_e32 v4, 23, v1
	v_cmp_ne_u32_e32 vcc_lo, 0xff, v1
	s_delay_alu instid0(VALU_DEP_2) | instskip(SKIP_1) | instid1(VALU_DEP_2)
	v_cndmask_b32_e32 v4, 0x7f800001, v4, vcc_lo
	v_cmp_ne_u32_e32 vcc_lo, 0, v1
	v_cndmask_b32_e32 v1, 0x400000, v4, vcc_lo
	s_delay_alu instid0(VALU_DEP_1) | instskip(NEXT) | instid1(VALU_DEP_1)
	v_add_nc_u32_e32 v4, 0x7fff, v1
	v_lshrrev_b32_e32 v4, 16, v4
	v_cmp_o_f32_e32 vcc_lo, v1, v1
	s_delay_alu instid0(VALU_DEP_2)
	v_cndmask_b32_e32 v7, 0x7fc0, v4, vcc_lo
.LBB47_1576:
	s_branch .LBB47_1581
.LBB47_1577:
	s_mov_b32 s13, -1
                                        ; implicit-def: $vgpr7
	s_branch .LBB47_1581
.LBB47_1578:
	s_cmp_eq_u32 s12, 29
	s_cbranch_scc0 .LBB47_1580
; %bb.1579:
	global_load_b64 v[4:5], v[2:3], off
	s_mov_b32 s13, 0
	s_mov_b32 s17, -1
	s_mov_b32 s18, 0
	s_wait_loadcnt 0x0
	v_clz_i32_u32_e32 v1, v5
	s_delay_alu instid0(VALU_DEP_1) | instskip(NEXT) | instid1(VALU_DEP_1)
	v_min_u32_e32 v1, 32, v1
	v_lshlrev_b64_e32 v[4:5], v1, v[4:5]
	v_sub_nc_u32_e32 v1, 32, v1
	s_delay_alu instid0(VALU_DEP_2) | instskip(NEXT) | instid1(VALU_DEP_1)
	v_min_u32_e32 v4, 1, v4
	v_or_b32_e32 v4, v5, v4
	s_delay_alu instid0(VALU_DEP_1) | instskip(NEXT) | instid1(VALU_DEP_1)
	v_cvt_f32_u32_e32 v4, v4
	v_ldexp_f32 v1, v4, v1
	s_delay_alu instid0(VALU_DEP_1) | instskip(NEXT) | instid1(VALU_DEP_1)
	v_bfe_u32 v4, v1, 16, 1
	v_add3_u32 v1, v1, v4, 0x7fff
	s_delay_alu instid0(VALU_DEP_1)
	v_lshrrev_b32_e32 v7, 16, v1
	s_branch .LBB47_1582
.LBB47_1580:
	s_mov_b32 s13, -1
                                        ; implicit-def: $vgpr7
.LBB47_1581:
	s_mov_b32 s18, 0
.LBB47_1582:
	s_delay_alu instid0(SALU_CYCLE_1)
	s_and_b32 vcc_lo, exec_lo, s18
	s_cbranch_vccz .LBB47_1600
; %bb.1583:
	s_cmp_lt_i32 s12, 27
	s_cbranch_scc1 .LBB47_1586
; %bb.1584:
	s_cmp_gt_i32 s12, 27
	s_cbranch_scc0 .LBB47_1587
; %bb.1585:
	global_load_b32 v1, v[2:3], off
	s_mov_b32 s17, 0
	s_wait_loadcnt 0x0
	v_cvt_f32_u32_e32 v1, v1
	s_delay_alu instid0(VALU_DEP_1) | instskip(NEXT) | instid1(VALU_DEP_1)
	v_bfe_u32 v4, v1, 16, 1
	v_add3_u32 v1, v1, v4, 0x7fff
	s_delay_alu instid0(VALU_DEP_1)
	v_lshrrev_b32_e32 v7, 16, v1
	s_branch .LBB47_1588
.LBB47_1586:
	s_mov_b32 s17, -1
                                        ; implicit-def: $vgpr7
	s_branch .LBB47_1591
.LBB47_1587:
	s_mov_b32 s17, -1
                                        ; implicit-def: $vgpr7
.LBB47_1588:
	s_delay_alu instid0(SALU_CYCLE_1)
	s_and_not1_b32 vcc_lo, exec_lo, s17
	s_cbranch_vccnz .LBB47_1590
; %bb.1589:
	global_load_u16 v1, v[2:3], off
	s_wait_loadcnt 0x0
	v_cvt_f32_u32_e32 v1, v1
	s_delay_alu instid0(VALU_DEP_1) | instskip(NEXT) | instid1(VALU_DEP_1)
	v_bfe_u32 v4, v1, 16, 1
	v_add3_u32 v1, v1, v4, 0x7fff
	s_delay_alu instid0(VALU_DEP_1)
	v_lshrrev_b32_e32 v7, 16, v1
.LBB47_1590:
	s_mov_b32 s17, 0
.LBB47_1591:
	s_delay_alu instid0(SALU_CYCLE_1)
	s_and_not1_b32 vcc_lo, exec_lo, s17
	s_cbranch_vccnz .LBB47_1599
; %bb.1592:
	global_load_u8 v1, v[2:3], off
	s_mov_b32 s17, 0
	s_mov_b32 s18, exec_lo
	s_wait_loadcnt 0x0
	v_cmpx_lt_i16_e32 0x7f, v1
	s_xor_b32 s18, exec_lo, s18
	s_cbranch_execz .LBB47_1612
; %bb.1593:
	s_mov_b32 s17, -1
	s_mov_b32 s19, exec_lo
	v_cmpx_eq_u16_e32 0x80, v1
; %bb.1594:
	s_xor_b32 s17, exec_lo, -1
; %bb.1595:
	s_or_b32 exec_lo, exec_lo, s19
	s_delay_alu instid0(SALU_CYCLE_1)
	s_and_b32 s17, s17, exec_lo
	s_or_saveexec_b32 s18, s18
	v_mov_b32_e32 v4, 0x7f800001
	s_xor_b32 exec_lo, exec_lo, s18
	s_cbranch_execnz .LBB47_1613
.LBB47_1596:
	s_or_b32 exec_lo, exec_lo, s18
	s_and_saveexec_b32 s18, s17
	s_cbranch_execz .LBB47_1598
.LBB47_1597:
	v_and_b32_e32 v4, 0xffff, v1
	s_delay_alu instid0(VALU_DEP_1) | instskip(SKIP_1) | instid1(VALU_DEP_2)
	v_and_b32_e32 v5, 7, v4
	v_bfe_u32 v9, v4, 3, 4
	v_clz_i32_u32_e32 v7, v5
	s_delay_alu instid0(VALU_DEP_2) | instskip(NEXT) | instid1(VALU_DEP_2)
	v_cmp_eq_u32_e32 vcc_lo, 0, v9
	v_min_u32_e32 v7, 32, v7
	s_delay_alu instid0(VALU_DEP_1) | instskip(NEXT) | instid1(VALU_DEP_1)
	v_subrev_nc_u32_e32 v8, 28, v7
	v_dual_lshlrev_b32 v4, v8, v4 :: v_dual_sub_nc_u32 v7, 29, v7
	s_delay_alu instid0(VALU_DEP_1) | instskip(NEXT) | instid1(VALU_DEP_2)
	v_dual_lshlrev_b32 v1, 24, v1 :: v_dual_bitop2_b32 v4, 7, v4 bitop3:0x40
	v_cndmask_b32_e32 v7, v9, v7, vcc_lo
	s_delay_alu instid0(VALU_DEP_2) | instskip(NEXT) | instid1(VALU_DEP_3)
	v_cndmask_b32_e32 v4, v5, v4, vcc_lo
	v_and_b32_e32 v1, 0x80000000, v1
	s_delay_alu instid0(VALU_DEP_3) | instskip(NEXT) | instid1(VALU_DEP_3)
	v_lshl_add_u32 v5, v7, 23, 0x3b800000
	v_lshlrev_b32_e32 v4, 20, v4
	s_delay_alu instid0(VALU_DEP_1)
	v_or3_b32 v4, v1, v5, v4
.LBB47_1598:
	s_or_b32 exec_lo, exec_lo, s18
	s_delay_alu instid0(VALU_DEP_1) | instskip(SKIP_1) | instid1(VALU_DEP_2)
	v_bfe_u32 v1, v4, 16, 1
	v_cmp_o_f32_e32 vcc_lo, v4, v4
	v_add3_u32 v1, v4, v1, 0x7fff
	s_delay_alu instid0(VALU_DEP_1) | instskip(NEXT) | instid1(VALU_DEP_1)
	v_lshrrev_b32_e32 v1, 16, v1
	v_cndmask_b32_e32 v7, 0x7fc0, v1, vcc_lo
.LBB47_1599:
	s_mov_b32 s17, -1
.LBB47_1600:
	s_branch .LBB47_1632
.LBB47_1601:
	s_cmp_gt_i32 s12, 22
	s_cbranch_scc0 .LBB47_1611
; %bb.1602:
	s_cmp_lt_i32 s12, 24
	s_cbranch_scc1 .LBB47_1614
; %bb.1603:
	s_cmp_gt_i32 s12, 24
	s_cbranch_scc0 .LBB47_1615
; %bb.1604:
	global_load_u8 v1, v[2:3], off
	s_mov_b32 s17, exec_lo
	s_wait_loadcnt 0x0
	v_cmpx_lt_i16_e32 0x7f, v1
	s_xor_b32 s17, exec_lo, s17
	s_cbranch_execz .LBB47_1626
; %bb.1605:
	s_mov_b32 s16, -1
	s_mov_b32 s18, exec_lo
	v_cmpx_eq_u16_e32 0x80, v1
; %bb.1606:
	s_xor_b32 s16, exec_lo, -1
; %bb.1607:
	s_or_b32 exec_lo, exec_lo, s18
	s_delay_alu instid0(SALU_CYCLE_1)
	s_and_b32 s16, s16, exec_lo
	s_or_saveexec_b32 s17, s17
	v_mov_b32_e32 v4, 0x7f800001
	s_xor_b32 exec_lo, exec_lo, s17
	s_cbranch_execnz .LBB47_1627
.LBB47_1608:
	s_or_b32 exec_lo, exec_lo, s17
	s_and_saveexec_b32 s17, s16
	s_cbranch_execz .LBB47_1610
.LBB47_1609:
	v_and_b32_e32 v4, 0xffff, v1
	s_delay_alu instid0(VALU_DEP_1) | instskip(SKIP_1) | instid1(VALU_DEP_2)
	v_and_b32_e32 v5, 3, v4
	v_bfe_u32 v9, v4, 2, 5
	v_clz_i32_u32_e32 v7, v5
	s_delay_alu instid0(VALU_DEP_2) | instskip(NEXT) | instid1(VALU_DEP_2)
	v_cmp_eq_u32_e32 vcc_lo, 0, v9
	v_min_u32_e32 v7, 32, v7
	s_delay_alu instid0(VALU_DEP_1) | instskip(NEXT) | instid1(VALU_DEP_1)
	v_subrev_nc_u32_e32 v8, 29, v7
	v_dual_lshlrev_b32 v4, v8, v4 :: v_dual_sub_nc_u32 v7, 30, v7
	s_delay_alu instid0(VALU_DEP_1) | instskip(NEXT) | instid1(VALU_DEP_2)
	v_dual_lshlrev_b32 v1, 24, v1 :: v_dual_bitop2_b32 v4, 3, v4 bitop3:0x40
	v_cndmask_b32_e32 v7, v9, v7, vcc_lo
	s_delay_alu instid0(VALU_DEP_2) | instskip(NEXT) | instid1(VALU_DEP_3)
	v_cndmask_b32_e32 v4, v5, v4, vcc_lo
	v_and_b32_e32 v1, 0x80000000, v1
	s_delay_alu instid0(VALU_DEP_3) | instskip(NEXT) | instid1(VALU_DEP_3)
	v_lshl_add_u32 v5, v7, 23, 0x37800000
	v_lshlrev_b32_e32 v4, 21, v4
	s_delay_alu instid0(VALU_DEP_1)
	v_or3_b32 v4, v1, v5, v4
.LBB47_1610:
	s_or_b32 exec_lo, exec_lo, s17
	s_delay_alu instid0(VALU_DEP_1) | instskip(SKIP_2) | instid1(VALU_DEP_2)
	v_bfe_u32 v1, v4, 16, 1
	v_cmp_o_f32_e32 vcc_lo, v4, v4
	s_mov_b32 s16, 0
	v_add3_u32 v1, v4, v1, 0x7fff
	s_delay_alu instid0(VALU_DEP_1) | instskip(NEXT) | instid1(VALU_DEP_1)
	v_lshrrev_b32_e32 v1, 16, v1
	v_cndmask_b32_e32 v7, 0x7fc0, v1, vcc_lo
	s_branch .LBB47_1616
.LBB47_1611:
                                        ; implicit-def: $vgpr7
	s_mov_b32 s16, 0
	s_branch .LBB47_1622
.LBB47_1612:
	s_or_saveexec_b32 s18, s18
	v_mov_b32_e32 v4, 0x7f800001
	s_xor_b32 exec_lo, exec_lo, s18
	s_cbranch_execz .LBB47_1596
.LBB47_1613:
	v_cmp_ne_u16_e32 vcc_lo, 0, v1
	v_mov_b32_e32 v4, 0
	s_and_not1_b32 s17, s17, exec_lo
	s_and_b32 s19, vcc_lo, exec_lo
	s_delay_alu instid0(SALU_CYCLE_1)
	s_or_b32 s17, s17, s19
	s_or_b32 exec_lo, exec_lo, s18
	s_and_saveexec_b32 s18, s17
	s_cbranch_execnz .LBB47_1597
	s_branch .LBB47_1598
.LBB47_1614:
	s_mov_b32 s16, -1
                                        ; implicit-def: $vgpr7
	s_branch .LBB47_1619
.LBB47_1615:
	s_mov_b32 s16, -1
                                        ; implicit-def: $vgpr7
.LBB47_1616:
	s_delay_alu instid0(SALU_CYCLE_1)
	s_and_b32 vcc_lo, exec_lo, s16
	s_cbranch_vccz .LBB47_1618
; %bb.1617:
	global_load_u8 v1, v[2:3], off
	s_wait_loadcnt 0x0
	v_lshlrev_b32_e32 v1, 24, v1
	s_delay_alu instid0(VALU_DEP_1) | instskip(NEXT) | instid1(VALU_DEP_1)
	v_and_b32_e32 v4, 0x7f000000, v1
	v_clz_i32_u32_e32 v5, v4
	v_add_nc_u32_e32 v8, 0x1000000, v4
	v_cmp_ne_u32_e32 vcc_lo, 0, v4
	s_delay_alu instid0(VALU_DEP_3) | instskip(NEXT) | instid1(VALU_DEP_1)
	v_min_u32_e32 v5, 32, v5
	v_sub_nc_u32_e64 v5, v5, 4 clamp
	s_delay_alu instid0(VALU_DEP_1) | instskip(NEXT) | instid1(VALU_DEP_1)
	v_dual_lshlrev_b32 v7, v5, v4 :: v_dual_lshlrev_b32 v5, 23, v5
	v_lshrrev_b32_e32 v7, 4, v7
	s_delay_alu instid0(VALU_DEP_1) | instskip(NEXT) | instid1(VALU_DEP_1)
	v_dual_sub_nc_u32 v5, v7, v5 :: v_dual_ashrrev_i32 v7, 8, v8
	v_add_nc_u32_e32 v5, 0x3c000000, v5
	s_delay_alu instid0(VALU_DEP_1) | instskip(NEXT) | instid1(VALU_DEP_1)
	v_and_or_b32 v5, 0x7f800000, v7, v5
	v_cndmask_b32_e32 v4, 0, v5, vcc_lo
	s_delay_alu instid0(VALU_DEP_1) | instskip(SKIP_1) | instid1(VALU_DEP_2)
	v_and_or_b32 v1, 0x80000000, v1, v4
	v_bfe_u32 v4, v4, 16, 1
	v_cmp_o_f32_e32 vcc_lo, v1, v1
	s_delay_alu instid0(VALU_DEP_2) | instskip(NEXT) | instid1(VALU_DEP_1)
	v_add3_u32 v4, v1, v4, 0x7fff
	v_lshrrev_b32_e32 v4, 16, v4
	s_delay_alu instid0(VALU_DEP_1)
	v_cndmask_b32_e32 v7, 0x7fc0, v4, vcc_lo
.LBB47_1618:
	s_mov_b32 s16, 0
.LBB47_1619:
	s_delay_alu instid0(SALU_CYCLE_1)
	s_and_not1_b32 vcc_lo, exec_lo, s16
	s_cbranch_vccnz .LBB47_1621
; %bb.1620:
	global_load_u8 v1, v[2:3], off
	s_wait_loadcnt 0x0
	v_lshlrev_b32_e32 v4, 25, v1
	v_lshlrev_b16 v1, 8, v1
	s_delay_alu instid0(VALU_DEP_1) | instskip(SKIP_1) | instid1(VALU_DEP_2)
	v_and_or_b32 v7, 0x7f00, v1, 0.5
	v_bfe_i32 v1, v1, 0, 16
	v_dual_add_f32 v7, -0.5, v7 :: v_dual_lshrrev_b32 v5, 4, v4
	v_cmp_gt_u32_e32 vcc_lo, 0x8000000, v4
	s_delay_alu instid0(VALU_DEP_2) | instskip(NEXT) | instid1(VALU_DEP_1)
	v_or_b32_e32 v5, 0x70000000, v5
	v_mul_f32_e32 v5, 0x7800000, v5
	s_delay_alu instid0(VALU_DEP_1) | instskip(NEXT) | instid1(VALU_DEP_1)
	v_cndmask_b32_e32 v4, v5, v7, vcc_lo
	v_and_or_b32 v1, 0x80000000, v1, v4
	v_bfe_u32 v4, v4, 16, 1
	s_delay_alu instid0(VALU_DEP_2) | instskip(NEXT) | instid1(VALU_DEP_2)
	v_cmp_o_f32_e32 vcc_lo, v1, v1
	v_add3_u32 v4, v1, v4, 0x7fff
	s_delay_alu instid0(VALU_DEP_1) | instskip(NEXT) | instid1(VALU_DEP_1)
	v_lshrrev_b32_e32 v4, 16, v4
	v_cndmask_b32_e32 v7, 0x7fc0, v4, vcc_lo
.LBB47_1621:
	s_mov_b32 s17, -1
	s_mov_b32 s16, 0
	s_cbranch_execnz .LBB47_1632
.LBB47_1622:
	s_cmp_gt_i32 s12, 14
	s_cbranch_scc0 .LBB47_1625
; %bb.1623:
	s_cmp_eq_u32 s12, 15
	s_cbranch_scc0 .LBB47_1628
; %bb.1624:
	s_wait_loadcnt 0x0
	global_load_u16 v7, v[2:3], off
	s_mov_b32 s13, 0
	s_mov_b32 s17, -1
	s_branch .LBB47_1630
.LBB47_1625:
	s_mov_b32 s16, -1
	s_branch .LBB47_1629
.LBB47_1626:
	s_or_saveexec_b32 s17, s17
	v_mov_b32_e32 v4, 0x7f800001
	s_xor_b32 exec_lo, exec_lo, s17
	s_cbranch_execz .LBB47_1608
.LBB47_1627:
	v_cmp_ne_u16_e32 vcc_lo, 0, v1
	v_mov_b32_e32 v4, 0
	s_and_not1_b32 s16, s16, exec_lo
	s_and_b32 s18, vcc_lo, exec_lo
	s_delay_alu instid0(SALU_CYCLE_1)
	s_or_b32 s16, s16, s18
	s_or_b32 exec_lo, exec_lo, s17
	s_and_saveexec_b32 s17, s16
	s_cbranch_execnz .LBB47_1609
	s_branch .LBB47_1610
.LBB47_1628:
	s_mov_b32 s13, -1
.LBB47_1629:
                                        ; implicit-def: $vgpr7
.LBB47_1630:
	s_and_b32 vcc_lo, exec_lo, s16
	s_mov_b32 s16, 0
	s_cbranch_vccz .LBB47_1632
; %bb.1631:
	s_cmp_lg_u32 s12, 11
	s_mov_b32 s16, -1
	s_cselect_b32 s13, -1, 0
.LBB47_1632:
	s_delay_alu instid0(SALU_CYCLE_1)
	s_and_b32 vcc_lo, exec_lo, s13
	s_mov_b32 s12, s15
	s_cbranch_vccnz .LBB47_1693
; %bb.1633:
	s_and_not1_b32 vcc_lo, exec_lo, s16
	s_cbranch_vccnz .LBB47_1635
.LBB47_1634:
	global_load_u8 v1, v[2:3], off
	s_mov_b32 s17, -1
	s_wait_loadcnt 0x0
	v_cmp_ne_u16_e32 vcc_lo, 0, v1
	v_cndmask_b32_e64 v1, 0, 1.0, vcc_lo
	s_delay_alu instid0(VALU_DEP_1)
	v_lshrrev_b32_e32 v7, 16, v1
.LBB47_1635:
	s_branch .LBB47_1564
.LBB47_1636:
	s_and_b32 s13, 0xffff, s0
	s_delay_alu instid0(SALU_CYCLE_1)
	s_cmp_lt_i32 s13, 5
	s_cbranch_scc1 .LBB47_1641
; %bb.1637:
	s_cmp_lt_i32 s13, 8
	s_cbranch_scc1 .LBB47_1642
; %bb.1638:
	;; [unrolled: 3-line block ×3, first 2 shown]
	s_cmp_gt_i32 s13, 9
	s_cbranch_scc0 .LBB47_1644
; %bb.1640:
	global_load_b64 v[4:5], v[2:3], off
	s_mov_b32 s16, 0
	s_wait_loadcnt 0x0
	v_cvt_f32_f64_e32 v1, v[4:5]
	s_delay_alu instid0(VALU_DEP_1) | instskip(SKIP_1) | instid1(VALU_DEP_2)
	v_bfe_u32 v4, v1, 16, 1
	v_cmp_o_f32_e32 vcc_lo, v1, v1
	v_add3_u32 v4, v1, v4, 0x7fff
	s_delay_alu instid0(VALU_DEP_1) | instskip(NEXT) | instid1(VALU_DEP_1)
	v_lshrrev_b32_e32 v4, 16, v4
	v_cndmask_b32_e32 v7, 0x7fc0, v4, vcc_lo
	s_branch .LBB47_1645
.LBB47_1641:
                                        ; implicit-def: $vgpr7
	s_branch .LBB47_1662
.LBB47_1642:
                                        ; implicit-def: $vgpr7
	s_branch .LBB47_1651
.LBB47_1643:
	s_mov_b32 s16, -1
                                        ; implicit-def: $vgpr7
	s_branch .LBB47_1648
.LBB47_1644:
	s_mov_b32 s16, -1
                                        ; implicit-def: $vgpr7
.LBB47_1645:
	s_delay_alu instid0(SALU_CYCLE_1)
	s_and_not1_b32 vcc_lo, exec_lo, s16
	s_cbranch_vccnz .LBB47_1647
; %bb.1646:
	global_load_b32 v1, v[2:3], off
	s_wait_loadcnt 0x0
	v_bfe_u32 v4, v1, 16, 1
	v_cmp_o_f32_e32 vcc_lo, v1, v1
	s_delay_alu instid0(VALU_DEP_2) | instskip(NEXT) | instid1(VALU_DEP_1)
	v_add3_u32 v4, v1, v4, 0x7fff
	v_lshrrev_b32_e32 v4, 16, v4
	s_delay_alu instid0(VALU_DEP_1)
	v_cndmask_b32_e32 v7, 0x7fc0, v4, vcc_lo
.LBB47_1647:
	s_mov_b32 s16, 0
.LBB47_1648:
	s_delay_alu instid0(SALU_CYCLE_1)
	s_and_not1_b32 vcc_lo, exec_lo, s16
	s_cbranch_vccnz .LBB47_1650
; %bb.1649:
	global_load_b32 v1, v[2:3], off
	s_wait_loadcnt 0x0
	v_cvt_f32_f16_e32 v4, v1
	v_cmp_o_f16_e32 vcc_lo, v1, v1
	s_delay_alu instid0(VALU_DEP_2) | instskip(NEXT) | instid1(VALU_DEP_1)
	v_bfe_u32 v5, v4, 16, 1
	v_add3_u32 v4, v4, v5, 0x7fff
	s_delay_alu instid0(VALU_DEP_1) | instskip(NEXT) | instid1(VALU_DEP_1)
	v_lshrrev_b32_e32 v4, 16, v4
	v_cndmask_b32_e32 v7, 0x7fc0, v4, vcc_lo
.LBB47_1650:
	s_cbranch_execnz .LBB47_1661
.LBB47_1651:
	s_cmp_lt_i32 s13, 6
	s_cbranch_scc1 .LBB47_1654
; %bb.1652:
	s_cmp_gt_i32 s13, 6
	s_cbranch_scc0 .LBB47_1655
; %bb.1653:
	global_load_b64 v[4:5], v[2:3], off
	s_mov_b32 s16, 0
	s_wait_loadcnt 0x0
	v_cvt_f32_f64_e32 v1, v[4:5]
	s_delay_alu instid0(VALU_DEP_1) | instskip(SKIP_1) | instid1(VALU_DEP_2)
	v_bfe_u32 v4, v1, 16, 1
	v_cmp_o_f32_e32 vcc_lo, v1, v1
	v_add3_u32 v4, v1, v4, 0x7fff
	s_delay_alu instid0(VALU_DEP_1) | instskip(NEXT) | instid1(VALU_DEP_1)
	v_lshrrev_b32_e32 v4, 16, v4
	v_cndmask_b32_e32 v7, 0x7fc0, v4, vcc_lo
	s_branch .LBB47_1656
.LBB47_1654:
	s_mov_b32 s16, -1
                                        ; implicit-def: $vgpr7
	s_branch .LBB47_1659
.LBB47_1655:
	s_mov_b32 s16, -1
                                        ; implicit-def: $vgpr7
.LBB47_1656:
	s_delay_alu instid0(SALU_CYCLE_1)
	s_and_not1_b32 vcc_lo, exec_lo, s16
	s_cbranch_vccnz .LBB47_1658
; %bb.1657:
	global_load_b32 v1, v[2:3], off
	s_wait_loadcnt 0x0
	v_bfe_u32 v4, v1, 16, 1
	v_cmp_o_f32_e32 vcc_lo, v1, v1
	s_delay_alu instid0(VALU_DEP_2) | instskip(NEXT) | instid1(VALU_DEP_1)
	v_add3_u32 v4, v1, v4, 0x7fff
	v_lshrrev_b32_e32 v4, 16, v4
	s_delay_alu instid0(VALU_DEP_1)
	v_cndmask_b32_e32 v7, 0x7fc0, v4, vcc_lo
.LBB47_1658:
	s_mov_b32 s16, 0
.LBB47_1659:
	s_delay_alu instid0(SALU_CYCLE_1)
	s_and_not1_b32 vcc_lo, exec_lo, s16
	s_cbranch_vccnz .LBB47_1661
; %bb.1660:
	global_load_u16 v1, v[2:3], off
	s_wait_loadcnt 0x0
	v_cvt_f32_f16_e32 v4, v1
	v_cmp_o_f16_e32 vcc_lo, v1, v1
	s_delay_alu instid0(VALU_DEP_2) | instskip(NEXT) | instid1(VALU_DEP_1)
	v_bfe_u32 v5, v4, 16, 1
	v_add3_u32 v4, v4, v5, 0x7fff
	s_delay_alu instid0(VALU_DEP_1) | instskip(NEXT) | instid1(VALU_DEP_1)
	v_lshrrev_b32_e32 v4, 16, v4
	v_cndmask_b32_e32 v7, 0x7fc0, v4, vcc_lo
.LBB47_1661:
	s_cbranch_execnz .LBB47_1680
.LBB47_1662:
	s_cmp_lt_i32 s13, 2
	s_cbranch_scc1 .LBB47_1666
; %bb.1663:
	s_cmp_lt_i32 s13, 3
	s_cbranch_scc1 .LBB47_1667
; %bb.1664:
	s_cmp_gt_i32 s13, 3
	s_cbranch_scc0 .LBB47_1668
; %bb.1665:
	global_load_b64 v[4:5], v[2:3], off
	s_mov_b32 s16, 0
	s_wait_loadcnt 0x0
	v_xor_b32_e32 v1, v4, v5
	v_cls_i32_e32 v7, v5
	s_delay_alu instid0(VALU_DEP_2) | instskip(NEXT) | instid1(VALU_DEP_1)
	v_ashrrev_i32_e32 v1, 31, v1
	v_add_nc_u32_e32 v1, 32, v1
	s_delay_alu instid0(VALU_DEP_1) | instskip(NEXT) | instid1(VALU_DEP_1)
	v_add_min_u32_e64 v1, v7, -1, v1
	v_lshlrev_b64_e32 v[4:5], v1, v[4:5]
	v_sub_nc_u32_e32 v1, 32, v1
	s_delay_alu instid0(VALU_DEP_2) | instskip(NEXT) | instid1(VALU_DEP_1)
	v_min_u32_e32 v4, 1, v4
	v_or_b32_e32 v4, v5, v4
	s_delay_alu instid0(VALU_DEP_1) | instskip(NEXT) | instid1(VALU_DEP_1)
	v_cvt_f32_i32_e32 v4, v4
	v_ldexp_f32 v1, v4, v1
	s_delay_alu instid0(VALU_DEP_1) | instskip(NEXT) | instid1(VALU_DEP_1)
	v_bfe_u32 v4, v1, 16, 1
	v_add3_u32 v1, v1, v4, 0x7fff
	s_delay_alu instid0(VALU_DEP_1)
	v_lshrrev_b32_e32 v7, 16, v1
	s_branch .LBB47_1669
.LBB47_1666:
                                        ; implicit-def: $vgpr7
	s_branch .LBB47_1675
.LBB47_1667:
	s_mov_b32 s16, -1
                                        ; implicit-def: $vgpr7
	s_branch .LBB47_1672
.LBB47_1668:
	s_mov_b32 s16, -1
                                        ; implicit-def: $vgpr7
.LBB47_1669:
	s_delay_alu instid0(SALU_CYCLE_1)
	s_and_not1_b32 vcc_lo, exec_lo, s16
	s_cbranch_vccnz .LBB47_1671
; %bb.1670:
	global_load_b32 v1, v[2:3], off
	s_wait_loadcnt 0x0
	v_cvt_f32_i32_e32 v1, v1
	s_delay_alu instid0(VALU_DEP_1) | instskip(NEXT) | instid1(VALU_DEP_1)
	v_bfe_u32 v4, v1, 16, 1
	v_add3_u32 v1, v1, v4, 0x7fff
	s_delay_alu instid0(VALU_DEP_1)
	v_lshrrev_b32_e32 v7, 16, v1
.LBB47_1671:
	s_mov_b32 s16, 0
.LBB47_1672:
	s_delay_alu instid0(SALU_CYCLE_1)
	s_and_not1_b32 vcc_lo, exec_lo, s16
	s_cbranch_vccnz .LBB47_1674
; %bb.1673:
	global_load_i16 v1, v[2:3], off
	s_wait_loadcnt 0x0
	v_cvt_f32_i32_e32 v1, v1
	s_delay_alu instid0(VALU_DEP_1) | instskip(NEXT) | instid1(VALU_DEP_1)
	v_bfe_u32 v4, v1, 16, 1
	v_add3_u32 v1, v1, v4, 0x7fff
	s_delay_alu instid0(VALU_DEP_1)
	v_lshrrev_b32_e32 v7, 16, v1
.LBB47_1674:
	s_cbranch_execnz .LBB47_1680
.LBB47_1675:
	s_cmp_gt_i32 s13, 0
	s_mov_b32 s13, 0
	s_cbranch_scc0 .LBB47_1677
; %bb.1676:
	global_load_i8 v1, v[2:3], off
	s_wait_loadcnt 0x0
	v_cvt_f32_i32_e32 v1, v1
	s_delay_alu instid0(VALU_DEP_1) | instskip(NEXT) | instid1(VALU_DEP_1)
	v_bfe_u32 v4, v1, 16, 1
	v_add3_u32 v1, v1, v4, 0x7fff
	s_delay_alu instid0(VALU_DEP_1)
	v_lshrrev_b32_e32 v7, 16, v1
	s_branch .LBB47_1678
.LBB47_1677:
	s_mov_b32 s13, -1
                                        ; implicit-def: $vgpr7
.LBB47_1678:
	s_delay_alu instid0(SALU_CYCLE_1)
	s_and_not1_b32 vcc_lo, exec_lo, s13
	s_cbranch_vccnz .LBB47_1680
; %bb.1679:
	global_load_u8 v1, v[2:3], off
	s_wait_loadcnt 0x0
	v_cvt_f32_ubyte0_e32 v1, v1
	s_wait_xcnt 0x0
	s_delay_alu instid0(VALU_DEP_1) | instskip(NEXT) | instid1(VALU_DEP_1)
	v_bfe_u32 v2, v1, 16, 1
	v_add3_u32 v1, v1, v2, 0x7fff
	s_delay_alu instid0(VALU_DEP_1)
	v_lshrrev_b32_e32 v7, 16, v1
.LBB47_1680:
.LBB47_1681:
	s_wait_xcnt 0x0
	v_mul_lo_u32 v2, s10, v6
	s_and_b32 s1, s1, 0xff
	s_delay_alu instid0(SALU_CYCLE_1) | instskip(NEXT) | instid1(VALU_DEP_1)
	s_cmp_lt_i32 s1, 11
	v_ashrrev_i32_e32 v3, 31, v2
	s_delay_alu instid0(VALU_DEP_1)
	v_add_nc_u64_e32 v[4:5], s[2:3], v[2:3]
	s_cbranch_scc1 .LBB47_1688
; %bb.1682:
	s_and_b32 s13, 0xffff, s1
	s_mov_b32 s17, 0
	s_cmp_gt_i32 s13, 25
	s_cbranch_scc0 .LBB47_1690
; %bb.1683:
	s_cmp_gt_i32 s13, 28
	s_cbranch_scc0 .LBB47_1691
; %bb.1684:
	;; [unrolled: 3-line block ×4, first 2 shown]
	s_cmp_eq_u32 s13, 46
	s_mov_b32 s19, 0
	s_cbranch_scc0 .LBB47_1697
; %bb.1687:
	global_load_b32 v1, v[4:5], off
	s_mov_b32 s16, 0
	s_mov_b32 s18, -1
	s_branch .LBB47_1699
.LBB47_1688:
	s_mov_b32 s18, 0
                                        ; implicit-def: $vgpr1
	s_cbranch_execnz .LBB47_1764
.LBB47_1689:
	s_and_not1_b32 vcc_lo, exec_lo, s18
	s_cbranch_vccnz .LBB47_2684
	s_branch .LBB47_1811
.LBB47_1690:
	s_mov_b32 s18, 0
	s_mov_b32 s16, 0
                                        ; implicit-def: $vgpr1
	s_cbranch_execnz .LBB47_1728
	s_branch .LBB47_1760
.LBB47_1691:
	s_mov_b32 s19, -1
	s_mov_b32 s18, 0
	s_mov_b32 s16, 0
                                        ; implicit-def: $vgpr1
	s_branch .LBB47_1709
.LBB47_1692:
	s_mov_b32 s19, -1
	s_mov_b32 s18, 0
	s_mov_b32 s16, 0
                                        ; implicit-def: $vgpr1
	s_branch .LBB47_1704
.LBB47_1693:
	s_or_b32 s12, s15, exec_lo
	s_trap 2
	s_cbranch_execz .LBB47_1634
	s_branch .LBB47_1635
.LBB47_1694:
	s_mov_b32 s19, -1
	s_mov_b32 s18, 0
	s_mov_b32 s16, 0
	s_branch .LBB47_1698
.LBB47_1695:
	s_and_not1_saveexec_b32 s23, s23
	s_cbranch_execz .LBB47_1480
.LBB47_1696:
	v_add_f32_e64 v4, 0x42800000, |v5|
	s_and_not1_b32 s22, s22, exec_lo
	s_delay_alu instid0(VALU_DEP_1) | instskip(NEXT) | instid1(VALU_DEP_1)
	v_and_b32_e32 v4, 0xff, v4
	v_cmp_ne_u32_e32 vcc_lo, 0, v4
	s_and_b32 s24, vcc_lo, exec_lo
	s_delay_alu instid0(SALU_CYCLE_1)
	s_or_b32 s22, s22, s24
	s_or_b32 exec_lo, exec_lo, s23
	v_mov_b32_e32 v6, 0
	s_and_saveexec_b32 s23, s22
	s_cbranch_execnz .LBB47_1481
	s_branch .LBB47_1482
.LBB47_1697:
	s_mov_b32 s16, -1
	s_mov_b32 s18, 0
.LBB47_1698:
                                        ; implicit-def: $vgpr1
.LBB47_1699:
	s_and_b32 vcc_lo, exec_lo, s19
	s_cbranch_vccz .LBB47_1703
; %bb.1700:
	s_cmp_eq_u32 s13, 44
	s_cbranch_scc0 .LBB47_1702
; %bb.1701:
	s_wait_loadcnt 0x0
	global_load_u8 v1, v[4:5], off
	s_mov_b32 s16, 0
	s_mov_b32 s18, -1
	s_wait_loadcnt 0x0
	v_lshlrev_b32_e32 v3, 23, v1
	v_cmp_ne_u32_e32 vcc_lo, 0xff, v1
	s_delay_alu instid0(VALU_DEP_2) | instskip(SKIP_1) | instid1(VALU_DEP_2)
	v_cndmask_b32_e32 v3, 0x7f800001, v3, vcc_lo
	v_cmp_ne_u32_e32 vcc_lo, 0, v1
	v_cndmask_b32_e32 v1, 0x400000, v3, vcc_lo
	s_delay_alu instid0(VALU_DEP_1) | instskip(SKIP_1) | instid1(VALU_DEP_2)
	v_add_nc_u32_e32 v3, 0x7fff, v1
	v_cmp_o_f32_e32 vcc_lo, v1, v1
	v_lshrrev_b32_e32 v3, 16, v3
	s_delay_alu instid0(VALU_DEP_1)
	v_cndmask_b32_e32 v1, 0x7fc0, v3, vcc_lo
	s_branch .LBB47_1703
.LBB47_1702:
	s_mov_b32 s16, -1
                                        ; implicit-def: $vgpr1
.LBB47_1703:
	s_mov_b32 s19, 0
.LBB47_1704:
	s_delay_alu instid0(SALU_CYCLE_1)
	s_and_b32 vcc_lo, exec_lo, s19
	s_cbranch_vccz .LBB47_1708
; %bb.1705:
	s_cmp_eq_u32 s13, 29
	s_cbranch_scc0 .LBB47_1707
; %bb.1706:
	global_load_b64 v[8:9], v[4:5], off
	s_mov_b32 s16, 0
	s_mov_b32 s18, -1
	s_mov_b32 s19, 0
	s_wait_loadcnt 0x0
	v_clz_i32_u32_e32 v1, v9
	s_delay_alu instid0(VALU_DEP_1) | instskip(NEXT) | instid1(VALU_DEP_1)
	v_min_u32_e32 v1, 32, v1
	v_lshlrev_b64_e32 v[8:9], v1, v[8:9]
	v_sub_nc_u32_e32 v1, 32, v1
	s_delay_alu instid0(VALU_DEP_2) | instskip(NEXT) | instid1(VALU_DEP_1)
	v_min_u32_e32 v3, 1, v8
	v_or_b32_e32 v3, v9, v3
	s_delay_alu instid0(VALU_DEP_1) | instskip(NEXT) | instid1(VALU_DEP_1)
	v_cvt_f32_u32_e32 v3, v3
	v_ldexp_f32 v1, v3, v1
	s_delay_alu instid0(VALU_DEP_1) | instskip(NEXT) | instid1(VALU_DEP_1)
	v_bfe_u32 v3, v1, 16, 1
	v_add3_u32 v1, v1, v3, 0x7fff
	s_delay_alu instid0(VALU_DEP_1)
	v_lshrrev_b32_e32 v1, 16, v1
	s_branch .LBB47_1709
.LBB47_1707:
	s_mov_b32 s16, -1
                                        ; implicit-def: $vgpr1
.LBB47_1708:
	s_mov_b32 s19, 0
.LBB47_1709:
	s_delay_alu instid0(SALU_CYCLE_1)
	s_and_b32 vcc_lo, exec_lo, s19
	s_cbranch_vccz .LBB47_1727
; %bb.1710:
	s_cmp_lt_i32 s13, 27
	s_cbranch_scc1 .LBB47_1713
; %bb.1711:
	s_cmp_gt_i32 s13, 27
	s_cbranch_scc0 .LBB47_1714
; %bb.1712:
	s_wait_loadcnt 0x0
	global_load_b32 v1, v[4:5], off
	s_mov_b32 s18, 0
	s_wait_loadcnt 0x0
	v_cvt_f32_u32_e32 v1, v1
	s_delay_alu instid0(VALU_DEP_1) | instskip(NEXT) | instid1(VALU_DEP_1)
	v_bfe_u32 v3, v1, 16, 1
	v_add3_u32 v1, v1, v3, 0x7fff
	s_delay_alu instid0(VALU_DEP_1)
	v_lshrrev_b32_e32 v1, 16, v1
	s_branch .LBB47_1715
.LBB47_1713:
	s_mov_b32 s18, -1
                                        ; implicit-def: $vgpr1
	s_branch .LBB47_1718
.LBB47_1714:
	s_mov_b32 s18, -1
                                        ; implicit-def: $vgpr1
.LBB47_1715:
	s_delay_alu instid0(SALU_CYCLE_1)
	s_and_not1_b32 vcc_lo, exec_lo, s18
	s_cbranch_vccnz .LBB47_1717
; %bb.1716:
	s_wait_loadcnt 0x0
	global_load_u16 v1, v[4:5], off
	s_wait_loadcnt 0x0
	v_cvt_f32_u32_e32 v1, v1
	s_delay_alu instid0(VALU_DEP_1) | instskip(NEXT) | instid1(VALU_DEP_1)
	v_bfe_u32 v3, v1, 16, 1
	v_add3_u32 v1, v1, v3, 0x7fff
	s_delay_alu instid0(VALU_DEP_1)
	v_lshrrev_b32_e32 v1, 16, v1
.LBB47_1717:
	s_mov_b32 s18, 0
.LBB47_1718:
	s_delay_alu instid0(SALU_CYCLE_1)
	s_and_not1_b32 vcc_lo, exec_lo, s18
	s_cbranch_vccnz .LBB47_1726
; %bb.1719:
	s_wait_loadcnt 0x0
	global_load_u8 v1, v[4:5], off
	s_mov_b32 s18, 0
	s_mov_b32 s19, exec_lo
	s_wait_loadcnt 0x0
	v_cmpx_lt_i16_e32 0x7f, v1
	s_xor_b32 s19, exec_lo, s19
	s_cbranch_execz .LBB47_1739
; %bb.1720:
	s_mov_b32 s18, -1
	s_mov_b32 s20, exec_lo
	v_cmpx_eq_u16_e32 0x80, v1
; %bb.1721:
	s_xor_b32 s18, exec_lo, -1
; %bb.1722:
	s_or_b32 exec_lo, exec_lo, s20
	s_delay_alu instid0(SALU_CYCLE_1)
	s_and_b32 s18, s18, exec_lo
	s_or_saveexec_b32 s19, s19
	v_mov_b32_e32 v3, 0x7f800001
	s_xor_b32 exec_lo, exec_lo, s19
	s_cbranch_execnz .LBB47_1740
.LBB47_1723:
	s_or_b32 exec_lo, exec_lo, s19
	s_and_saveexec_b32 s19, s18
	s_cbranch_execz .LBB47_1725
.LBB47_1724:
	v_and_b32_e32 v3, 0xffff, v1
	s_delay_alu instid0(VALU_DEP_1) | instskip(SKIP_1) | instid1(VALU_DEP_2)
	v_and_b32_e32 v8, 7, v3
	v_bfe_u32 v11, v3, 3, 4
	v_clz_i32_u32_e32 v9, v8
	s_delay_alu instid0(VALU_DEP_2) | instskip(NEXT) | instid1(VALU_DEP_2)
	v_cmp_eq_u32_e32 vcc_lo, 0, v11
	v_min_u32_e32 v9, 32, v9
	s_delay_alu instid0(VALU_DEP_1) | instskip(NEXT) | instid1(VALU_DEP_1)
	v_subrev_nc_u32_e32 v10, 28, v9
	v_dual_lshlrev_b32 v3, v10, v3 :: v_dual_sub_nc_u32 v9, 29, v9
	s_delay_alu instid0(VALU_DEP_1) | instskip(NEXT) | instid1(VALU_DEP_1)
	v_dual_lshlrev_b32 v1, 24, v1 :: v_dual_bitop2_b32 v3, 7, v3 bitop3:0x40
	v_dual_cndmask_b32 v3, v8, v3, vcc_lo :: v_dual_cndmask_b32 v9, v11, v9, vcc_lo
	s_delay_alu instid0(VALU_DEP_2) | instskip(NEXT) | instid1(VALU_DEP_2)
	v_and_b32_e32 v1, 0x80000000, v1
	v_lshlrev_b32_e32 v3, 20, v3
	s_delay_alu instid0(VALU_DEP_3) | instskip(NEXT) | instid1(VALU_DEP_1)
	v_lshl_add_u32 v8, v9, 23, 0x3b800000
	v_or3_b32 v3, v1, v8, v3
.LBB47_1725:
	s_or_b32 exec_lo, exec_lo, s19
	s_delay_alu instid0(VALU_DEP_1) | instskip(SKIP_1) | instid1(VALU_DEP_2)
	v_bfe_u32 v1, v3, 16, 1
	v_cmp_o_f32_e32 vcc_lo, v3, v3
	v_add3_u32 v1, v3, v1, 0x7fff
	s_delay_alu instid0(VALU_DEP_1) | instskip(NEXT) | instid1(VALU_DEP_1)
	v_lshrrev_b32_e32 v1, 16, v1
	v_cndmask_b32_e32 v1, 0x7fc0, v1, vcc_lo
.LBB47_1726:
	s_mov_b32 s18, -1
.LBB47_1727:
	s_branch .LBB47_1760
.LBB47_1728:
	s_cmp_gt_i32 s13, 22
	s_cbranch_scc0 .LBB47_1738
; %bb.1729:
	s_cmp_lt_i32 s13, 24
	s_cbranch_scc1 .LBB47_1741
; %bb.1730:
	s_cmp_gt_i32 s13, 24
	s_cbranch_scc0 .LBB47_1742
; %bb.1731:
	s_wait_loadcnt 0x0
	global_load_u8 v1, v[4:5], off
	s_mov_b32 s18, exec_lo
	s_wait_loadcnt 0x0
	v_cmpx_lt_i16_e32 0x7f, v1
	s_xor_b32 s18, exec_lo, s18
	s_cbranch_execz .LBB47_1754
; %bb.1732:
	s_mov_b32 s17, -1
	s_mov_b32 s19, exec_lo
	v_cmpx_eq_u16_e32 0x80, v1
; %bb.1733:
	s_xor_b32 s17, exec_lo, -1
; %bb.1734:
	s_or_b32 exec_lo, exec_lo, s19
	s_delay_alu instid0(SALU_CYCLE_1)
	s_and_b32 s17, s17, exec_lo
	s_or_saveexec_b32 s18, s18
	v_mov_b32_e32 v3, 0x7f800001
	s_xor_b32 exec_lo, exec_lo, s18
	s_cbranch_execnz .LBB47_1755
.LBB47_1735:
	s_or_b32 exec_lo, exec_lo, s18
	s_and_saveexec_b32 s18, s17
	s_cbranch_execz .LBB47_1737
.LBB47_1736:
	v_and_b32_e32 v3, 0xffff, v1
	s_delay_alu instid0(VALU_DEP_1) | instskip(SKIP_1) | instid1(VALU_DEP_2)
	v_and_b32_e32 v8, 3, v3
	v_bfe_u32 v11, v3, 2, 5
	v_clz_i32_u32_e32 v9, v8
	s_delay_alu instid0(VALU_DEP_2) | instskip(NEXT) | instid1(VALU_DEP_2)
	v_cmp_eq_u32_e32 vcc_lo, 0, v11
	v_min_u32_e32 v9, 32, v9
	s_delay_alu instid0(VALU_DEP_1) | instskip(NEXT) | instid1(VALU_DEP_1)
	v_subrev_nc_u32_e32 v10, 29, v9
	v_dual_lshlrev_b32 v3, v10, v3 :: v_dual_sub_nc_u32 v9, 30, v9
	s_delay_alu instid0(VALU_DEP_1) | instskip(NEXT) | instid1(VALU_DEP_1)
	v_dual_lshlrev_b32 v1, 24, v1 :: v_dual_bitop2_b32 v3, 3, v3 bitop3:0x40
	v_dual_cndmask_b32 v3, v8, v3, vcc_lo :: v_dual_cndmask_b32 v9, v11, v9, vcc_lo
	s_delay_alu instid0(VALU_DEP_2) | instskip(NEXT) | instid1(VALU_DEP_2)
	v_and_b32_e32 v1, 0x80000000, v1
	v_lshlrev_b32_e32 v3, 21, v3
	s_delay_alu instid0(VALU_DEP_3) | instskip(NEXT) | instid1(VALU_DEP_1)
	v_lshl_add_u32 v8, v9, 23, 0x37800000
	v_or3_b32 v3, v1, v8, v3
.LBB47_1737:
	s_or_b32 exec_lo, exec_lo, s18
	s_delay_alu instid0(VALU_DEP_1) | instskip(SKIP_2) | instid1(VALU_DEP_2)
	v_bfe_u32 v1, v3, 16, 1
	v_cmp_o_f32_e32 vcc_lo, v3, v3
	s_mov_b32 s17, 0
	v_add3_u32 v1, v3, v1, 0x7fff
	s_delay_alu instid0(VALU_DEP_1) | instskip(NEXT) | instid1(VALU_DEP_1)
	v_lshrrev_b32_e32 v1, 16, v1
	v_cndmask_b32_e32 v1, 0x7fc0, v1, vcc_lo
	s_branch .LBB47_1743
.LBB47_1738:
	s_mov_b32 s17, -1
                                        ; implicit-def: $vgpr1
	s_branch .LBB47_1749
.LBB47_1739:
	s_or_saveexec_b32 s19, s19
	v_mov_b32_e32 v3, 0x7f800001
	s_xor_b32 exec_lo, exec_lo, s19
	s_cbranch_execz .LBB47_1723
.LBB47_1740:
	v_cmp_ne_u16_e32 vcc_lo, 0, v1
	v_mov_b32_e32 v3, 0
	s_and_not1_b32 s18, s18, exec_lo
	s_and_b32 s20, vcc_lo, exec_lo
	s_delay_alu instid0(SALU_CYCLE_1)
	s_or_b32 s18, s18, s20
	s_or_b32 exec_lo, exec_lo, s19
	s_and_saveexec_b32 s19, s18
	s_cbranch_execnz .LBB47_1724
	s_branch .LBB47_1725
.LBB47_1741:
	s_mov_b32 s17, -1
                                        ; implicit-def: $vgpr1
	s_branch .LBB47_1746
.LBB47_1742:
	s_mov_b32 s17, -1
                                        ; implicit-def: $vgpr1
.LBB47_1743:
	s_delay_alu instid0(SALU_CYCLE_1)
	s_and_b32 vcc_lo, exec_lo, s17
	s_cbranch_vccz .LBB47_1745
; %bb.1744:
	s_wait_loadcnt 0x0
	global_load_u8 v1, v[4:5], off
	s_wait_loadcnt 0x0
	v_lshlrev_b32_e32 v1, 24, v1
	s_delay_alu instid0(VALU_DEP_1) | instskip(NEXT) | instid1(VALU_DEP_1)
	v_and_b32_e32 v3, 0x7f000000, v1
	v_clz_i32_u32_e32 v8, v3
	v_cmp_ne_u32_e32 vcc_lo, 0, v3
	v_add_nc_u32_e32 v10, 0x1000000, v3
	s_delay_alu instid0(VALU_DEP_3) | instskip(NEXT) | instid1(VALU_DEP_1)
	v_min_u32_e32 v8, 32, v8
	v_sub_nc_u32_e64 v8, v8, 4 clamp
	s_delay_alu instid0(VALU_DEP_1) | instskip(NEXT) | instid1(VALU_DEP_1)
	v_dual_lshlrev_b32 v9, v8, v3 :: v_dual_lshlrev_b32 v8, 23, v8
	v_lshrrev_b32_e32 v9, 4, v9
	s_delay_alu instid0(VALU_DEP_1) | instskip(NEXT) | instid1(VALU_DEP_1)
	v_dual_sub_nc_u32 v8, v9, v8 :: v_dual_ashrrev_i32 v9, 8, v10
	v_add_nc_u32_e32 v8, 0x3c000000, v8
	s_delay_alu instid0(VALU_DEP_1) | instskip(NEXT) | instid1(VALU_DEP_1)
	v_and_or_b32 v8, 0x7f800000, v9, v8
	v_cndmask_b32_e32 v3, 0, v8, vcc_lo
	s_delay_alu instid0(VALU_DEP_1) | instskip(SKIP_1) | instid1(VALU_DEP_2)
	v_and_or_b32 v1, 0x80000000, v1, v3
	v_bfe_u32 v3, v3, 16, 1
	v_cmp_o_f32_e32 vcc_lo, v1, v1
	s_delay_alu instid0(VALU_DEP_2) | instskip(NEXT) | instid1(VALU_DEP_1)
	v_add3_u32 v3, v1, v3, 0x7fff
	v_lshrrev_b32_e32 v3, 16, v3
	s_delay_alu instid0(VALU_DEP_1)
	v_cndmask_b32_e32 v1, 0x7fc0, v3, vcc_lo
.LBB47_1745:
	s_mov_b32 s17, 0
.LBB47_1746:
	s_delay_alu instid0(SALU_CYCLE_1)
	s_and_not1_b32 vcc_lo, exec_lo, s17
	s_cbranch_vccnz .LBB47_1748
; %bb.1747:
	s_wait_loadcnt 0x0
	global_load_u8 v1, v[4:5], off
	s_wait_loadcnt 0x0
	v_lshlrev_b32_e32 v3, 25, v1
	v_lshlrev_b16 v1, 8, v1
	s_delay_alu instid0(VALU_DEP_1) | instskip(NEXT) | instid1(VALU_DEP_3)
	v_and_or_b32 v9, 0x7f00, v1, 0.5
	v_lshrrev_b32_e32 v8, 4, v3
	v_bfe_i32 v1, v1, 0, 16
	s_delay_alu instid0(VALU_DEP_3) | instskip(NEXT) | instid1(VALU_DEP_3)
	v_add_f32_e32 v9, -0.5, v9
	v_or_b32_e32 v8, 0x70000000, v8
	s_delay_alu instid0(VALU_DEP_1) | instskip(SKIP_1) | instid1(VALU_DEP_2)
	v_mul_f32_e32 v8, 0x7800000, v8
	v_cmp_gt_u32_e32 vcc_lo, 0x8000000, v3
	v_cndmask_b32_e32 v3, v8, v9, vcc_lo
	s_delay_alu instid0(VALU_DEP_1) | instskip(SKIP_1) | instid1(VALU_DEP_2)
	v_and_or_b32 v1, 0x80000000, v1, v3
	v_bfe_u32 v3, v3, 16, 1
	v_cmp_o_f32_e32 vcc_lo, v1, v1
	s_delay_alu instid0(VALU_DEP_2) | instskip(NEXT) | instid1(VALU_DEP_1)
	v_add3_u32 v3, v1, v3, 0x7fff
	v_lshrrev_b32_e32 v3, 16, v3
	s_delay_alu instid0(VALU_DEP_1)
	v_cndmask_b32_e32 v1, 0x7fc0, v3, vcc_lo
.LBB47_1748:
	s_mov_b32 s17, 0
	s_mov_b32 s18, -1
.LBB47_1749:
	s_and_not1_b32 vcc_lo, exec_lo, s17
	s_mov_b32 s17, 0
	s_cbranch_vccnz .LBB47_1760
; %bb.1750:
	s_cmp_gt_i32 s13, 14
	s_cbranch_scc0 .LBB47_1753
; %bb.1751:
	s_cmp_eq_u32 s13, 15
	s_cbranch_scc0 .LBB47_1756
; %bb.1752:
	s_wait_loadcnt 0x0
	global_load_u16 v1, v[4:5], off
	s_mov_b32 s16, 0
	s_mov_b32 s18, -1
	s_branch .LBB47_1758
.LBB47_1753:
	s_mov_b32 s17, -1
	s_branch .LBB47_1757
.LBB47_1754:
	s_or_saveexec_b32 s18, s18
	v_mov_b32_e32 v3, 0x7f800001
	s_xor_b32 exec_lo, exec_lo, s18
	s_cbranch_execz .LBB47_1735
.LBB47_1755:
	v_cmp_ne_u16_e32 vcc_lo, 0, v1
	v_mov_b32_e32 v3, 0
	s_and_not1_b32 s17, s17, exec_lo
	s_and_b32 s19, vcc_lo, exec_lo
	s_delay_alu instid0(SALU_CYCLE_1)
	s_or_b32 s17, s17, s19
	s_or_b32 exec_lo, exec_lo, s18
	s_and_saveexec_b32 s18, s17
	s_cbranch_execnz .LBB47_1736
	s_branch .LBB47_1737
.LBB47_1756:
	s_mov_b32 s16, -1
.LBB47_1757:
                                        ; implicit-def: $vgpr1
.LBB47_1758:
	s_and_b32 vcc_lo, exec_lo, s17
	s_mov_b32 s17, 0
	s_cbranch_vccz .LBB47_1760
; %bb.1759:
	s_cmp_lg_u32 s13, 11
	s_mov_b32 s17, -1
	s_cselect_b32 s16, -1, 0
.LBB47_1760:
	s_delay_alu instid0(SALU_CYCLE_1)
	s_and_b32 vcc_lo, exec_lo, s16
	s_cbranch_vccnz .LBB47_1825
; %bb.1761:
	s_and_not1_b32 vcc_lo, exec_lo, s17
	s_cbranch_vccnz .LBB47_1763
.LBB47_1762:
	s_wait_loadcnt 0x0
	global_load_u8 v1, v[4:5], off
	s_mov_b32 s18, -1
	s_wait_loadcnt 0x0
	v_cmp_ne_u16_e32 vcc_lo, 0, v1
	v_cndmask_b32_e64 v1, 0, 1.0, vcc_lo
	s_delay_alu instid0(VALU_DEP_1)
	v_lshrrev_b32_e32 v1, 16, v1
.LBB47_1763:
	s_branch .LBB47_1689
.LBB47_1764:
	s_and_b32 s13, 0xffff, s1
	s_delay_alu instid0(SALU_CYCLE_1)
	s_cmp_lt_i32 s13, 5
	s_cbranch_scc1 .LBB47_1769
; %bb.1765:
	s_cmp_lt_i32 s13, 8
	s_cbranch_scc1 .LBB47_1770
; %bb.1766:
	;; [unrolled: 3-line block ×3, first 2 shown]
	s_cmp_gt_i32 s13, 9
	s_cbranch_scc0 .LBB47_1772
; %bb.1768:
	global_load_b64 v[8:9], v[4:5], off
	s_mov_b32 s16, 0
	s_wait_loadcnt 0x0
	v_cvt_f32_f64_e32 v1, v[8:9]
	s_delay_alu instid0(VALU_DEP_1) | instskip(SKIP_1) | instid1(VALU_DEP_2)
	v_bfe_u32 v3, v1, 16, 1
	v_cmp_o_f32_e32 vcc_lo, v1, v1
	v_add3_u32 v3, v1, v3, 0x7fff
	s_delay_alu instid0(VALU_DEP_1) | instskip(NEXT) | instid1(VALU_DEP_1)
	v_lshrrev_b32_e32 v3, 16, v3
	v_cndmask_b32_e32 v1, 0x7fc0, v3, vcc_lo
	s_branch .LBB47_1773
.LBB47_1769:
                                        ; implicit-def: $vgpr1
	s_branch .LBB47_1791
.LBB47_1770:
	s_mov_b32 s16, -1
                                        ; implicit-def: $vgpr1
	s_branch .LBB47_1779
.LBB47_1771:
	s_mov_b32 s16, -1
                                        ; implicit-def: $vgpr1
	s_branch .LBB47_1776
.LBB47_1772:
	s_mov_b32 s16, -1
                                        ; implicit-def: $vgpr1
.LBB47_1773:
	s_delay_alu instid0(SALU_CYCLE_1)
	s_and_not1_b32 vcc_lo, exec_lo, s16
	s_cbranch_vccnz .LBB47_1775
; %bb.1774:
	s_wait_loadcnt 0x0
	global_load_b32 v1, v[4:5], off
	s_wait_loadcnt 0x0
	v_bfe_u32 v3, v1, 16, 1
	v_cmp_o_f32_e32 vcc_lo, v1, v1
	s_delay_alu instid0(VALU_DEP_2) | instskip(NEXT) | instid1(VALU_DEP_1)
	v_add3_u32 v3, v1, v3, 0x7fff
	v_lshrrev_b32_e32 v3, 16, v3
	s_delay_alu instid0(VALU_DEP_1)
	v_cndmask_b32_e32 v1, 0x7fc0, v3, vcc_lo
.LBB47_1775:
	s_mov_b32 s16, 0
.LBB47_1776:
	s_delay_alu instid0(SALU_CYCLE_1)
	s_and_not1_b32 vcc_lo, exec_lo, s16
	s_cbranch_vccnz .LBB47_1778
; %bb.1777:
	s_wait_loadcnt 0x0
	global_load_b32 v1, v[4:5], off
	s_wait_loadcnt 0x0
	v_cvt_f32_f16_e32 v3, v1
	v_cmp_o_f16_e32 vcc_lo, v1, v1
	s_delay_alu instid0(VALU_DEP_2) | instskip(NEXT) | instid1(VALU_DEP_1)
	v_bfe_u32 v8, v3, 16, 1
	v_add3_u32 v3, v3, v8, 0x7fff
	s_delay_alu instid0(VALU_DEP_1) | instskip(NEXT) | instid1(VALU_DEP_1)
	v_lshrrev_b32_e32 v3, 16, v3
	v_cndmask_b32_e32 v1, 0x7fc0, v3, vcc_lo
.LBB47_1778:
	s_mov_b32 s16, 0
.LBB47_1779:
	s_delay_alu instid0(SALU_CYCLE_1)
	s_and_not1_b32 vcc_lo, exec_lo, s16
	s_cbranch_vccnz .LBB47_1790
; %bb.1780:
	s_cmp_lt_i32 s13, 6
	s_cbranch_scc1 .LBB47_1783
; %bb.1781:
	s_cmp_gt_i32 s13, 6
	s_cbranch_scc0 .LBB47_1784
; %bb.1782:
	global_load_b64 v[8:9], v[4:5], off
	s_mov_b32 s16, 0
	s_wait_loadcnt 0x0
	v_cvt_f32_f64_e32 v1, v[8:9]
	s_delay_alu instid0(VALU_DEP_1) | instskip(SKIP_1) | instid1(VALU_DEP_2)
	v_bfe_u32 v3, v1, 16, 1
	v_cmp_o_f32_e32 vcc_lo, v1, v1
	v_add3_u32 v3, v1, v3, 0x7fff
	s_delay_alu instid0(VALU_DEP_1) | instskip(NEXT) | instid1(VALU_DEP_1)
	v_lshrrev_b32_e32 v3, 16, v3
	v_cndmask_b32_e32 v1, 0x7fc0, v3, vcc_lo
	s_branch .LBB47_1785
.LBB47_1783:
	s_mov_b32 s16, -1
                                        ; implicit-def: $vgpr1
	s_branch .LBB47_1788
.LBB47_1784:
	s_mov_b32 s16, -1
                                        ; implicit-def: $vgpr1
.LBB47_1785:
	s_delay_alu instid0(SALU_CYCLE_1)
	s_and_not1_b32 vcc_lo, exec_lo, s16
	s_cbranch_vccnz .LBB47_1787
; %bb.1786:
	s_wait_loadcnt 0x0
	global_load_b32 v1, v[4:5], off
	s_wait_loadcnt 0x0
	v_bfe_u32 v3, v1, 16, 1
	v_cmp_o_f32_e32 vcc_lo, v1, v1
	s_delay_alu instid0(VALU_DEP_2) | instskip(NEXT) | instid1(VALU_DEP_1)
	v_add3_u32 v3, v1, v3, 0x7fff
	v_lshrrev_b32_e32 v3, 16, v3
	s_delay_alu instid0(VALU_DEP_1)
	v_cndmask_b32_e32 v1, 0x7fc0, v3, vcc_lo
.LBB47_1787:
	s_mov_b32 s16, 0
.LBB47_1788:
	s_delay_alu instid0(SALU_CYCLE_1)
	s_and_not1_b32 vcc_lo, exec_lo, s16
	s_cbranch_vccnz .LBB47_1790
; %bb.1789:
	s_wait_loadcnt 0x0
	global_load_u16 v1, v[4:5], off
	s_wait_loadcnt 0x0
	v_cvt_f32_f16_e32 v3, v1
	v_cmp_o_f16_e32 vcc_lo, v1, v1
	s_delay_alu instid0(VALU_DEP_2) | instskip(NEXT) | instid1(VALU_DEP_1)
	v_bfe_u32 v8, v3, 16, 1
	v_add3_u32 v3, v3, v8, 0x7fff
	s_delay_alu instid0(VALU_DEP_1) | instskip(NEXT) | instid1(VALU_DEP_1)
	v_lshrrev_b32_e32 v3, 16, v3
	v_cndmask_b32_e32 v1, 0x7fc0, v3, vcc_lo
.LBB47_1790:
	s_cbranch_execnz .LBB47_1810
.LBB47_1791:
	s_cmp_lt_i32 s13, 2
	s_cbranch_scc1 .LBB47_1795
; %bb.1792:
	s_cmp_lt_i32 s13, 3
	s_cbranch_scc1 .LBB47_1796
; %bb.1793:
	s_cmp_gt_i32 s13, 3
	s_cbranch_scc0 .LBB47_1797
; %bb.1794:
	global_load_b64 v[8:9], v[4:5], off
	s_mov_b32 s16, 0
	s_wait_loadcnt 0x0
	v_xor_b32_e32 v1, v8, v9
	v_cls_i32_e32 v3, v9
	s_delay_alu instid0(VALU_DEP_2) | instskip(NEXT) | instid1(VALU_DEP_1)
	v_ashrrev_i32_e32 v1, 31, v1
	v_add_nc_u32_e32 v1, 32, v1
	s_delay_alu instid0(VALU_DEP_1) | instskip(NEXT) | instid1(VALU_DEP_1)
	v_add_min_u32_e64 v1, v3, -1, v1
	v_lshlrev_b64_e32 v[8:9], v1, v[8:9]
	v_sub_nc_u32_e32 v1, 32, v1
	s_delay_alu instid0(VALU_DEP_2) | instskip(NEXT) | instid1(VALU_DEP_1)
	v_min_u32_e32 v3, 1, v8
	v_or_b32_e32 v3, v9, v3
	s_delay_alu instid0(VALU_DEP_1) | instskip(NEXT) | instid1(VALU_DEP_1)
	v_cvt_f32_i32_e32 v3, v3
	v_ldexp_f32 v1, v3, v1
	s_delay_alu instid0(VALU_DEP_1) | instskip(NEXT) | instid1(VALU_DEP_1)
	v_bfe_u32 v3, v1, 16, 1
	v_add3_u32 v1, v1, v3, 0x7fff
	s_delay_alu instid0(VALU_DEP_1)
	v_lshrrev_b32_e32 v1, 16, v1
	s_branch .LBB47_1798
.LBB47_1795:
	s_mov_b32 s16, -1
                                        ; implicit-def: $vgpr1
	s_branch .LBB47_1804
.LBB47_1796:
	s_mov_b32 s16, -1
                                        ; implicit-def: $vgpr1
	s_branch .LBB47_1801
.LBB47_1797:
	s_mov_b32 s16, -1
                                        ; implicit-def: $vgpr1
.LBB47_1798:
	s_delay_alu instid0(SALU_CYCLE_1)
	s_and_not1_b32 vcc_lo, exec_lo, s16
	s_cbranch_vccnz .LBB47_1800
; %bb.1799:
	s_wait_loadcnt 0x0
	global_load_b32 v1, v[4:5], off
	s_wait_loadcnt 0x0
	v_cvt_f32_i32_e32 v1, v1
	s_delay_alu instid0(VALU_DEP_1) | instskip(NEXT) | instid1(VALU_DEP_1)
	v_bfe_u32 v3, v1, 16, 1
	v_add3_u32 v1, v1, v3, 0x7fff
	s_delay_alu instid0(VALU_DEP_1)
	v_lshrrev_b32_e32 v1, 16, v1
.LBB47_1800:
	s_mov_b32 s16, 0
.LBB47_1801:
	s_delay_alu instid0(SALU_CYCLE_1)
	s_and_not1_b32 vcc_lo, exec_lo, s16
	s_cbranch_vccnz .LBB47_1803
; %bb.1802:
	s_wait_loadcnt 0x0
	global_load_i16 v1, v[4:5], off
	s_wait_loadcnt 0x0
	v_cvt_f32_i32_e32 v1, v1
	s_delay_alu instid0(VALU_DEP_1) | instskip(NEXT) | instid1(VALU_DEP_1)
	v_bfe_u32 v3, v1, 16, 1
	v_add3_u32 v1, v1, v3, 0x7fff
	s_delay_alu instid0(VALU_DEP_1)
	v_lshrrev_b32_e32 v1, 16, v1
.LBB47_1803:
	s_mov_b32 s16, 0
.LBB47_1804:
	s_delay_alu instid0(SALU_CYCLE_1)
	s_and_not1_b32 vcc_lo, exec_lo, s16
	s_cbranch_vccnz .LBB47_1810
; %bb.1805:
	s_cmp_gt_i32 s13, 0
	s_mov_b32 s13, 0
	s_cbranch_scc0 .LBB47_1807
; %bb.1806:
	s_wait_loadcnt 0x0
	global_load_i8 v1, v[4:5], off
	s_wait_loadcnt 0x0
	v_cvt_f32_i32_e32 v1, v1
	s_delay_alu instid0(VALU_DEP_1) | instskip(NEXT) | instid1(VALU_DEP_1)
	v_bfe_u32 v3, v1, 16, 1
	v_add3_u32 v1, v1, v3, 0x7fff
	s_delay_alu instid0(VALU_DEP_1)
	v_lshrrev_b32_e32 v1, 16, v1
	s_branch .LBB47_1808
.LBB47_1807:
	s_mov_b32 s13, -1
                                        ; implicit-def: $vgpr1
.LBB47_1808:
	s_delay_alu instid0(SALU_CYCLE_1)
	s_and_not1_b32 vcc_lo, exec_lo, s13
	s_cbranch_vccnz .LBB47_1810
; %bb.1809:
	s_wait_loadcnt 0x0
	global_load_u8 v1, v[4:5], off
	s_wait_loadcnt 0x0
	v_cvt_f32_ubyte0_e32 v1, v1
	s_delay_alu instid0(VALU_DEP_1) | instskip(NEXT) | instid1(VALU_DEP_1)
	v_bfe_u32 v3, v1, 16, 1
	v_add3_u32 v1, v1, v3, 0x7fff
	s_delay_alu instid0(VALU_DEP_1)
	v_lshrrev_b32_e32 v1, 16, v1
.LBB47_1810:
.LBB47_1811:
	s_wait_loadcnt 0x0
	v_lshlrev_b32_e32 v3, 16, v7
	s_mov_b32 s13, exec_lo
	s_wait_xcnt 0x0
	s_delay_alu instid0(VALU_DEP_1)
	v_cmpx_nlt_f32_e32 0, v3
	s_cbranch_execz .LBB47_1813
; %bb.1812:
	v_lshlrev_b32_e32 v1, 16, v1
	s_delay_alu instid0(VALU_DEP_1) | instskip(NEXT) | instid1(VALU_DEP_1)
	v_mul_f32_e32 v1, v3, v1
	v_bfe_u32 v3, v1, 16, 1
	v_cmp_o_f32_e32 vcc_lo, v1, v1
	s_delay_alu instid0(VALU_DEP_2) | instskip(NEXT) | instid1(VALU_DEP_1)
	v_add3_u32 v3, v1, v3, 0x7fff
	v_lshrrev_b32_e32 v3, 16, v3
	s_delay_alu instid0(VALU_DEP_1)
	v_cndmask_b32_e32 v7, 0x7fc0, v3, vcc_lo
.LBB47_1813:
	s_or_b32 exec_lo, exec_lo, s13
	s_lshl_b32 s9, s9, 7
	s_cmp_lt_i32 s0, 11
	v_add_nc_u32_e32 v0, s9, v0
	s_delay_alu instid0(VALU_DEP_1) | instskip(NEXT) | instid1(VALU_DEP_1)
	v_ashrrev_i32_e32 v1, 31, v0
	v_add_nc_u64_e32 v[4:5], s[6:7], v[0:1]
	s_cbranch_scc1 .LBB47_1820
; %bb.1814:
	s_and_b32 s13, 0xffff, s0
	s_mov_b32 s17, 0
	s_cmp_gt_i32 s13, 25
	s_cbranch_scc0 .LBB47_1822
; %bb.1815:
	s_cmp_gt_i32 s13, 28
	s_cbranch_scc0 .LBB47_1823
; %bb.1816:
	;; [unrolled: 3-line block ×4, first 2 shown]
	s_cmp_eq_u32 s13, 46
	s_mov_b32 s19, 0
	s_cbranch_scc0 .LBB47_1827
; %bb.1819:
	global_load_b32 v8, v[4:5], off
	s_mov_b32 s16, 0
	s_mov_b32 s18, -1
	s_branch .LBB47_1829
.LBB47_1820:
	s_mov_b32 s18, 0
                                        ; implicit-def: $vgpr8
	s_cbranch_execnz .LBB47_1895
.LBB47_1821:
	s_and_not1_b32 vcc_lo, exec_lo, s18
	s_cbranch_vccnz .LBB47_2684
	s_branch .LBB47_1943
.LBB47_1822:
	s_mov_b32 s19, -1
	s_mov_b32 s18, 0
	s_mov_b32 s16, 0
                                        ; implicit-def: $vgpr8
	s_branch .LBB47_1858
.LBB47_1823:
	s_mov_b32 s19, -1
	s_mov_b32 s18, 0
	s_mov_b32 s16, 0
                                        ; implicit-def: $vgpr8
	s_branch .LBB47_1839
.LBB47_1824:
	s_mov_b32 s19, -1
	s_mov_b32 s18, 0
	s_mov_b32 s16, 0
                                        ; implicit-def: $vgpr8
	s_branch .LBB47_1834
.LBB47_1825:
	s_or_b32 s12, s12, exec_lo
	s_trap 2
	s_cbranch_execz .LBB47_1762
	s_branch .LBB47_1763
.LBB47_1826:
	s_mov_b32 s19, -1
	s_mov_b32 s18, 0
	s_mov_b32 s16, 0
	s_branch .LBB47_1828
.LBB47_1827:
	s_mov_b32 s16, -1
	s_mov_b32 s18, 0
.LBB47_1828:
                                        ; implicit-def: $vgpr8
.LBB47_1829:
	s_and_b32 vcc_lo, exec_lo, s19
	s_cbranch_vccz .LBB47_1833
; %bb.1830:
	s_cmp_eq_u32 s13, 44
	s_cbranch_scc0 .LBB47_1832
; %bb.1831:
	global_load_u8 v1, v[4:5], off
	s_mov_b32 s16, 0
	s_mov_b32 s18, -1
	s_wait_loadcnt 0x0
	v_lshlrev_b32_e32 v3, 23, v1
	v_cmp_ne_u32_e32 vcc_lo, 0xff, v1
	s_delay_alu instid0(VALU_DEP_2) | instskip(SKIP_1) | instid1(VALU_DEP_2)
	v_cndmask_b32_e32 v3, 0x7f800001, v3, vcc_lo
	v_cmp_ne_u32_e32 vcc_lo, 0, v1
	v_cndmask_b32_e32 v1, 0x400000, v3, vcc_lo
	s_delay_alu instid0(VALU_DEP_1) | instskip(SKIP_1) | instid1(VALU_DEP_2)
	v_add_nc_u32_e32 v3, 0x7fff, v1
	v_cmp_o_f32_e32 vcc_lo, v1, v1
	v_lshrrev_b32_e32 v3, 16, v3
	s_delay_alu instid0(VALU_DEP_1)
	v_cndmask_b32_e32 v8, 0x7fc0, v3, vcc_lo
	s_branch .LBB47_1833
.LBB47_1832:
	s_mov_b32 s16, -1
                                        ; implicit-def: $vgpr8
.LBB47_1833:
	s_mov_b32 s19, 0
.LBB47_1834:
	s_delay_alu instid0(SALU_CYCLE_1)
	s_and_b32 vcc_lo, exec_lo, s19
	s_cbranch_vccz .LBB47_1838
; %bb.1835:
	s_cmp_eq_u32 s13, 29
	s_cbranch_scc0 .LBB47_1837
; %bb.1836:
	s_wait_loadcnt 0x0
	global_load_b64 v[8:9], v[4:5], off
	s_mov_b32 s16, 0
	s_mov_b32 s18, -1
	s_mov_b32 s19, 0
	s_wait_loadcnt 0x0
	v_clz_i32_u32_e32 v1, v9
	s_delay_alu instid0(VALU_DEP_1) | instskip(NEXT) | instid1(VALU_DEP_1)
	v_min_u32_e32 v1, 32, v1
	v_lshlrev_b64_e32 v[8:9], v1, v[8:9]
	v_sub_nc_u32_e32 v1, 32, v1
	s_delay_alu instid0(VALU_DEP_2) | instskip(NEXT) | instid1(VALU_DEP_1)
	v_min_u32_e32 v3, 1, v8
	v_or_b32_e32 v3, v9, v3
	s_delay_alu instid0(VALU_DEP_1) | instskip(NEXT) | instid1(VALU_DEP_1)
	v_cvt_f32_u32_e32 v3, v3
	v_ldexp_f32 v1, v3, v1
	s_delay_alu instid0(VALU_DEP_1) | instskip(NEXT) | instid1(VALU_DEP_1)
	v_bfe_u32 v3, v1, 16, 1
	v_add3_u32 v1, v1, v3, 0x7fff
	s_delay_alu instid0(VALU_DEP_1)
	v_lshrrev_b32_e32 v8, 16, v1
	s_branch .LBB47_1839
.LBB47_1837:
	s_mov_b32 s16, -1
                                        ; implicit-def: $vgpr8
.LBB47_1838:
	s_mov_b32 s19, 0
.LBB47_1839:
	s_delay_alu instid0(SALU_CYCLE_1)
	s_and_b32 vcc_lo, exec_lo, s19
	s_cbranch_vccz .LBB47_1857
; %bb.1840:
	s_cmp_lt_i32 s13, 27
	s_cbranch_scc1 .LBB47_1843
; %bb.1841:
	s_cmp_gt_i32 s13, 27
	s_cbranch_scc0 .LBB47_1844
; %bb.1842:
	global_load_b32 v1, v[4:5], off
	s_mov_b32 s18, 0
	s_wait_loadcnt 0x0
	v_cvt_f32_u32_e32 v1, v1
	s_delay_alu instid0(VALU_DEP_1) | instskip(NEXT) | instid1(VALU_DEP_1)
	v_bfe_u32 v3, v1, 16, 1
	v_add3_u32 v1, v1, v3, 0x7fff
	s_delay_alu instid0(VALU_DEP_1)
	v_lshrrev_b32_e32 v8, 16, v1
	s_branch .LBB47_1845
.LBB47_1843:
	s_mov_b32 s18, -1
                                        ; implicit-def: $vgpr8
	s_branch .LBB47_1848
.LBB47_1844:
	s_mov_b32 s18, -1
                                        ; implicit-def: $vgpr8
.LBB47_1845:
	s_delay_alu instid0(SALU_CYCLE_1)
	s_and_not1_b32 vcc_lo, exec_lo, s18
	s_cbranch_vccnz .LBB47_1847
; %bb.1846:
	global_load_u16 v1, v[4:5], off
	s_wait_loadcnt 0x0
	v_cvt_f32_u32_e32 v1, v1
	s_delay_alu instid0(VALU_DEP_1) | instskip(NEXT) | instid1(VALU_DEP_1)
	v_bfe_u32 v3, v1, 16, 1
	v_add3_u32 v1, v1, v3, 0x7fff
	s_delay_alu instid0(VALU_DEP_1)
	v_lshrrev_b32_e32 v8, 16, v1
.LBB47_1847:
	s_mov_b32 s18, 0
.LBB47_1848:
	s_delay_alu instid0(SALU_CYCLE_1)
	s_and_not1_b32 vcc_lo, exec_lo, s18
	s_cbranch_vccnz .LBB47_1856
; %bb.1849:
	global_load_u8 v1, v[4:5], off
	s_mov_b32 s18, 0
	s_mov_b32 s19, exec_lo
	s_wait_loadcnt 0x0
	v_cmpx_lt_i16_e32 0x7f, v1
	s_xor_b32 s19, exec_lo, s19
	s_cbranch_execz .LBB47_1870
; %bb.1850:
	s_mov_b32 s18, -1
	s_mov_b32 s20, exec_lo
	v_cmpx_eq_u16_e32 0x80, v1
; %bb.1851:
	s_xor_b32 s18, exec_lo, -1
; %bb.1852:
	s_or_b32 exec_lo, exec_lo, s20
	s_delay_alu instid0(SALU_CYCLE_1)
	s_and_b32 s18, s18, exec_lo
	s_or_saveexec_b32 s19, s19
	v_mov_b32_e32 v3, 0x7f800001
	s_xor_b32 exec_lo, exec_lo, s19
	s_cbranch_execnz .LBB47_1871
.LBB47_1853:
	s_or_b32 exec_lo, exec_lo, s19
	s_and_saveexec_b32 s19, s18
	s_cbranch_execz .LBB47_1855
.LBB47_1854:
	v_and_b32_e32 v3, 0xffff, v1
	s_delay_alu instid0(VALU_DEP_1) | instskip(SKIP_1) | instid1(VALU_DEP_2)
	v_and_b32_e32 v8, 7, v3
	v_bfe_u32 v11, v3, 3, 4
	v_clz_i32_u32_e32 v9, v8
	s_delay_alu instid0(VALU_DEP_2) | instskip(NEXT) | instid1(VALU_DEP_2)
	v_cmp_eq_u32_e32 vcc_lo, 0, v11
	v_min_u32_e32 v9, 32, v9
	s_delay_alu instid0(VALU_DEP_1) | instskip(NEXT) | instid1(VALU_DEP_1)
	v_subrev_nc_u32_e32 v10, 28, v9
	v_dual_lshlrev_b32 v3, v10, v3 :: v_dual_sub_nc_u32 v9, 29, v9
	s_delay_alu instid0(VALU_DEP_1) | instskip(NEXT) | instid1(VALU_DEP_1)
	v_dual_lshlrev_b32 v1, 24, v1 :: v_dual_bitop2_b32 v3, 7, v3 bitop3:0x40
	v_dual_cndmask_b32 v3, v8, v3, vcc_lo :: v_dual_cndmask_b32 v9, v11, v9, vcc_lo
	s_delay_alu instid0(VALU_DEP_2) | instskip(NEXT) | instid1(VALU_DEP_2)
	v_and_b32_e32 v1, 0x80000000, v1
	v_lshlrev_b32_e32 v3, 20, v3
	s_delay_alu instid0(VALU_DEP_3) | instskip(NEXT) | instid1(VALU_DEP_1)
	v_lshl_add_u32 v8, v9, 23, 0x3b800000
	v_or3_b32 v3, v1, v8, v3
.LBB47_1855:
	s_or_b32 exec_lo, exec_lo, s19
	s_delay_alu instid0(VALU_DEP_1) | instskip(SKIP_1) | instid1(VALU_DEP_2)
	v_bfe_u32 v1, v3, 16, 1
	v_cmp_o_f32_e32 vcc_lo, v3, v3
	v_add3_u32 v1, v3, v1, 0x7fff
	s_delay_alu instid0(VALU_DEP_1) | instskip(NEXT) | instid1(VALU_DEP_1)
	v_lshrrev_b32_e32 v1, 16, v1
	v_cndmask_b32_e32 v8, 0x7fc0, v1, vcc_lo
.LBB47_1856:
	s_mov_b32 s18, -1
.LBB47_1857:
	s_mov_b32 s19, 0
.LBB47_1858:
	s_delay_alu instid0(SALU_CYCLE_1)
	s_and_b32 vcc_lo, exec_lo, s19
	s_cbranch_vccz .LBB47_1891
; %bb.1859:
	s_cmp_gt_i32 s13, 22
	s_cbranch_scc0 .LBB47_1869
; %bb.1860:
	s_cmp_lt_i32 s13, 24
	s_cbranch_scc1 .LBB47_1872
; %bb.1861:
	s_cmp_gt_i32 s13, 24
	s_cbranch_scc0 .LBB47_1873
; %bb.1862:
	global_load_u8 v1, v[4:5], off
	s_mov_b32 s18, exec_lo
	s_wait_loadcnt 0x0
	v_cmpx_lt_i16_e32 0x7f, v1
	s_xor_b32 s18, exec_lo, s18
	s_cbranch_execz .LBB47_1885
; %bb.1863:
	s_mov_b32 s17, -1
	s_mov_b32 s19, exec_lo
	v_cmpx_eq_u16_e32 0x80, v1
; %bb.1864:
	s_xor_b32 s17, exec_lo, -1
; %bb.1865:
	s_or_b32 exec_lo, exec_lo, s19
	s_delay_alu instid0(SALU_CYCLE_1)
	s_and_b32 s17, s17, exec_lo
	s_or_saveexec_b32 s18, s18
	v_mov_b32_e32 v3, 0x7f800001
	s_xor_b32 exec_lo, exec_lo, s18
	s_cbranch_execnz .LBB47_1886
.LBB47_1866:
	s_or_b32 exec_lo, exec_lo, s18
	s_and_saveexec_b32 s18, s17
	s_cbranch_execz .LBB47_1868
.LBB47_1867:
	v_and_b32_e32 v3, 0xffff, v1
	s_delay_alu instid0(VALU_DEP_1) | instskip(SKIP_1) | instid1(VALU_DEP_2)
	v_and_b32_e32 v8, 3, v3
	v_bfe_u32 v11, v3, 2, 5
	v_clz_i32_u32_e32 v9, v8
	s_delay_alu instid0(VALU_DEP_2) | instskip(NEXT) | instid1(VALU_DEP_2)
	v_cmp_eq_u32_e32 vcc_lo, 0, v11
	v_min_u32_e32 v9, 32, v9
	s_delay_alu instid0(VALU_DEP_1) | instskip(NEXT) | instid1(VALU_DEP_1)
	v_subrev_nc_u32_e32 v10, 29, v9
	v_dual_lshlrev_b32 v3, v10, v3 :: v_dual_sub_nc_u32 v9, 30, v9
	s_delay_alu instid0(VALU_DEP_1) | instskip(NEXT) | instid1(VALU_DEP_1)
	v_dual_lshlrev_b32 v1, 24, v1 :: v_dual_bitop2_b32 v3, 3, v3 bitop3:0x40
	v_dual_cndmask_b32 v3, v8, v3, vcc_lo :: v_dual_cndmask_b32 v9, v11, v9, vcc_lo
	s_delay_alu instid0(VALU_DEP_2) | instskip(NEXT) | instid1(VALU_DEP_2)
	v_and_b32_e32 v1, 0x80000000, v1
	v_lshlrev_b32_e32 v3, 21, v3
	s_delay_alu instid0(VALU_DEP_3) | instskip(NEXT) | instid1(VALU_DEP_1)
	v_lshl_add_u32 v8, v9, 23, 0x37800000
	v_or3_b32 v3, v1, v8, v3
.LBB47_1868:
	s_or_b32 exec_lo, exec_lo, s18
	s_delay_alu instid0(VALU_DEP_1) | instskip(SKIP_2) | instid1(VALU_DEP_2)
	v_bfe_u32 v1, v3, 16, 1
	v_cmp_o_f32_e32 vcc_lo, v3, v3
	s_mov_b32 s17, 0
	v_add3_u32 v1, v3, v1, 0x7fff
	s_delay_alu instid0(VALU_DEP_1) | instskip(NEXT) | instid1(VALU_DEP_1)
	v_lshrrev_b32_e32 v1, 16, v1
	v_cndmask_b32_e32 v8, 0x7fc0, v1, vcc_lo
	s_branch .LBB47_1874
.LBB47_1869:
	s_mov_b32 s17, -1
                                        ; implicit-def: $vgpr8
	s_branch .LBB47_1880
.LBB47_1870:
	s_or_saveexec_b32 s19, s19
	v_mov_b32_e32 v3, 0x7f800001
	s_xor_b32 exec_lo, exec_lo, s19
	s_cbranch_execz .LBB47_1853
.LBB47_1871:
	v_cmp_ne_u16_e32 vcc_lo, 0, v1
	v_mov_b32_e32 v3, 0
	s_and_not1_b32 s18, s18, exec_lo
	s_and_b32 s20, vcc_lo, exec_lo
	s_delay_alu instid0(SALU_CYCLE_1)
	s_or_b32 s18, s18, s20
	s_or_b32 exec_lo, exec_lo, s19
	s_and_saveexec_b32 s19, s18
	s_cbranch_execnz .LBB47_1854
	s_branch .LBB47_1855
.LBB47_1872:
	s_mov_b32 s17, -1
                                        ; implicit-def: $vgpr8
	s_branch .LBB47_1877
.LBB47_1873:
	s_mov_b32 s17, -1
                                        ; implicit-def: $vgpr8
.LBB47_1874:
	s_delay_alu instid0(SALU_CYCLE_1)
	s_and_b32 vcc_lo, exec_lo, s17
	s_cbranch_vccz .LBB47_1876
; %bb.1875:
	global_load_u8 v1, v[4:5], off
	s_wait_loadcnt 0x0
	v_lshlrev_b32_e32 v1, 24, v1
	s_delay_alu instid0(VALU_DEP_1) | instskip(NEXT) | instid1(VALU_DEP_1)
	v_and_b32_e32 v3, 0x7f000000, v1
	v_clz_i32_u32_e32 v8, v3
	v_cmp_ne_u32_e32 vcc_lo, 0, v3
	v_add_nc_u32_e32 v10, 0x1000000, v3
	s_delay_alu instid0(VALU_DEP_3) | instskip(NEXT) | instid1(VALU_DEP_1)
	v_min_u32_e32 v8, 32, v8
	v_sub_nc_u32_e64 v8, v8, 4 clamp
	s_delay_alu instid0(VALU_DEP_1) | instskip(NEXT) | instid1(VALU_DEP_1)
	v_dual_lshlrev_b32 v9, v8, v3 :: v_dual_lshlrev_b32 v8, 23, v8
	v_lshrrev_b32_e32 v9, 4, v9
	s_delay_alu instid0(VALU_DEP_1) | instskip(NEXT) | instid1(VALU_DEP_1)
	v_dual_sub_nc_u32 v8, v9, v8 :: v_dual_ashrrev_i32 v9, 8, v10
	v_add_nc_u32_e32 v8, 0x3c000000, v8
	s_delay_alu instid0(VALU_DEP_1) | instskip(NEXT) | instid1(VALU_DEP_1)
	v_and_or_b32 v8, 0x7f800000, v9, v8
	v_cndmask_b32_e32 v3, 0, v8, vcc_lo
	s_delay_alu instid0(VALU_DEP_1) | instskip(SKIP_1) | instid1(VALU_DEP_2)
	v_and_or_b32 v1, 0x80000000, v1, v3
	v_bfe_u32 v3, v3, 16, 1
	v_cmp_o_f32_e32 vcc_lo, v1, v1
	s_delay_alu instid0(VALU_DEP_2) | instskip(NEXT) | instid1(VALU_DEP_1)
	v_add3_u32 v3, v1, v3, 0x7fff
	v_lshrrev_b32_e32 v3, 16, v3
	s_delay_alu instid0(VALU_DEP_1)
	v_cndmask_b32_e32 v8, 0x7fc0, v3, vcc_lo
.LBB47_1876:
	s_mov_b32 s17, 0
.LBB47_1877:
	s_delay_alu instid0(SALU_CYCLE_1)
	s_and_not1_b32 vcc_lo, exec_lo, s17
	s_cbranch_vccnz .LBB47_1879
; %bb.1878:
	global_load_u8 v1, v[4:5], off
	s_wait_loadcnt 0x0
	v_lshlrev_b32_e32 v3, 25, v1
	v_lshlrev_b16 v1, 8, v1
	s_delay_alu instid0(VALU_DEP_1) | instskip(NEXT) | instid1(VALU_DEP_3)
	v_and_or_b32 v9, 0x7f00, v1, 0.5
	v_lshrrev_b32_e32 v8, 4, v3
	v_bfe_i32 v1, v1, 0, 16
	s_delay_alu instid0(VALU_DEP_3) | instskip(NEXT) | instid1(VALU_DEP_3)
	v_add_f32_e32 v9, -0.5, v9
	v_or_b32_e32 v8, 0x70000000, v8
	s_delay_alu instid0(VALU_DEP_1) | instskip(SKIP_1) | instid1(VALU_DEP_2)
	v_mul_f32_e32 v8, 0x7800000, v8
	v_cmp_gt_u32_e32 vcc_lo, 0x8000000, v3
	v_cndmask_b32_e32 v3, v8, v9, vcc_lo
	s_delay_alu instid0(VALU_DEP_1) | instskip(SKIP_1) | instid1(VALU_DEP_2)
	v_and_or_b32 v1, 0x80000000, v1, v3
	v_bfe_u32 v3, v3, 16, 1
	v_cmp_o_f32_e32 vcc_lo, v1, v1
	s_delay_alu instid0(VALU_DEP_2) | instskip(NEXT) | instid1(VALU_DEP_1)
	v_add3_u32 v3, v1, v3, 0x7fff
	v_lshrrev_b32_e32 v3, 16, v3
	s_delay_alu instid0(VALU_DEP_1)
	v_cndmask_b32_e32 v8, 0x7fc0, v3, vcc_lo
.LBB47_1879:
	s_mov_b32 s17, 0
	s_mov_b32 s18, -1
.LBB47_1880:
	s_and_not1_b32 vcc_lo, exec_lo, s17
	s_mov_b32 s17, 0
	s_cbranch_vccnz .LBB47_1891
; %bb.1881:
	s_cmp_gt_i32 s13, 14
	s_cbranch_scc0 .LBB47_1884
; %bb.1882:
	s_cmp_eq_u32 s13, 15
	s_cbranch_scc0 .LBB47_1887
; %bb.1883:
	s_wait_loadcnt 0x0
	global_load_u16 v8, v[4:5], off
	s_mov_b32 s16, 0
	s_mov_b32 s18, -1
	s_branch .LBB47_1889
.LBB47_1884:
	s_mov_b32 s17, -1
	s_branch .LBB47_1888
.LBB47_1885:
	s_or_saveexec_b32 s18, s18
	v_mov_b32_e32 v3, 0x7f800001
	s_xor_b32 exec_lo, exec_lo, s18
	s_cbranch_execz .LBB47_1866
.LBB47_1886:
	v_cmp_ne_u16_e32 vcc_lo, 0, v1
	v_mov_b32_e32 v3, 0
	s_and_not1_b32 s17, s17, exec_lo
	s_and_b32 s19, vcc_lo, exec_lo
	s_delay_alu instid0(SALU_CYCLE_1)
	s_or_b32 s17, s17, s19
	s_or_b32 exec_lo, exec_lo, s18
	s_and_saveexec_b32 s18, s17
	s_cbranch_execnz .LBB47_1867
	s_branch .LBB47_1868
.LBB47_1887:
	s_mov_b32 s16, -1
.LBB47_1888:
                                        ; implicit-def: $vgpr8
.LBB47_1889:
	s_and_b32 vcc_lo, exec_lo, s17
	s_mov_b32 s17, 0
	s_cbranch_vccz .LBB47_1891
; %bb.1890:
	s_cmp_lg_u32 s13, 11
	s_mov_b32 s17, -1
	s_cselect_b32 s16, -1, 0
.LBB47_1891:
	s_delay_alu instid0(SALU_CYCLE_1)
	s_and_b32 vcc_lo, exec_lo, s16
	s_cbranch_vccnz .LBB47_1954
; %bb.1892:
	s_and_not1_b32 vcc_lo, exec_lo, s17
	s_cbranch_vccnz .LBB47_1894
.LBB47_1893:
	global_load_u8 v1, v[4:5], off
	s_mov_b32 s18, -1
	s_wait_loadcnt 0x0
	v_cmp_ne_u16_e32 vcc_lo, 0, v1
	v_cndmask_b32_e64 v1, 0, 1.0, vcc_lo
	s_delay_alu instid0(VALU_DEP_1)
	v_lshrrev_b32_e32 v8, 16, v1
.LBB47_1894:
	s_branch .LBB47_1821
.LBB47_1895:
	s_and_b32 s13, 0xffff, s0
	s_delay_alu instid0(SALU_CYCLE_1)
	s_cmp_lt_i32 s13, 5
	s_cbranch_scc1 .LBB47_1900
; %bb.1896:
	s_cmp_lt_i32 s13, 8
	s_cbranch_scc1 .LBB47_1901
; %bb.1897:
	;; [unrolled: 3-line block ×3, first 2 shown]
	s_cmp_gt_i32 s13, 9
	s_cbranch_scc0 .LBB47_1903
; %bb.1899:
	s_wait_loadcnt 0x0
	global_load_b64 v[8:9], v[4:5], off
	s_mov_b32 s16, 0
	s_wait_loadcnt 0x0
	v_cvt_f32_f64_e32 v1, v[8:9]
	s_delay_alu instid0(VALU_DEP_1) | instskip(SKIP_1) | instid1(VALU_DEP_2)
	v_bfe_u32 v3, v1, 16, 1
	v_cmp_o_f32_e32 vcc_lo, v1, v1
	v_add3_u32 v3, v1, v3, 0x7fff
	s_delay_alu instid0(VALU_DEP_1) | instskip(NEXT) | instid1(VALU_DEP_1)
	v_lshrrev_b32_e32 v3, 16, v3
	v_cndmask_b32_e32 v8, 0x7fc0, v3, vcc_lo
	s_branch .LBB47_1904
.LBB47_1900:
	s_mov_b32 s16, -1
                                        ; implicit-def: $vgpr8
	s_branch .LBB47_1922
.LBB47_1901:
	s_mov_b32 s16, -1
                                        ; implicit-def: $vgpr8
	s_branch .LBB47_1910
.LBB47_1902:
	s_mov_b32 s16, -1
                                        ; implicit-def: $vgpr8
	s_branch .LBB47_1907
.LBB47_1903:
	s_mov_b32 s16, -1
                                        ; implicit-def: $vgpr8
.LBB47_1904:
	s_delay_alu instid0(SALU_CYCLE_1)
	s_and_not1_b32 vcc_lo, exec_lo, s16
	s_cbranch_vccnz .LBB47_1906
; %bb.1905:
	global_load_b32 v1, v[4:5], off
	s_wait_loadcnt 0x0
	v_bfe_u32 v3, v1, 16, 1
	v_cmp_o_f32_e32 vcc_lo, v1, v1
	s_delay_alu instid0(VALU_DEP_2) | instskip(NEXT) | instid1(VALU_DEP_1)
	v_add3_u32 v3, v1, v3, 0x7fff
	v_lshrrev_b32_e32 v3, 16, v3
	s_delay_alu instid0(VALU_DEP_1)
	v_cndmask_b32_e32 v8, 0x7fc0, v3, vcc_lo
.LBB47_1906:
	s_mov_b32 s16, 0
.LBB47_1907:
	s_delay_alu instid0(SALU_CYCLE_1)
	s_and_not1_b32 vcc_lo, exec_lo, s16
	s_cbranch_vccnz .LBB47_1909
; %bb.1908:
	global_load_b32 v1, v[4:5], off
	s_wait_loadcnt 0x0
	v_cvt_f32_f16_e32 v3, v1
	v_cmp_o_f16_e32 vcc_lo, v1, v1
	s_delay_alu instid0(VALU_DEP_2) | instskip(NEXT) | instid1(VALU_DEP_1)
	v_bfe_u32 v8, v3, 16, 1
	v_add3_u32 v3, v3, v8, 0x7fff
	s_delay_alu instid0(VALU_DEP_1) | instskip(NEXT) | instid1(VALU_DEP_1)
	v_lshrrev_b32_e32 v3, 16, v3
	v_cndmask_b32_e32 v8, 0x7fc0, v3, vcc_lo
.LBB47_1909:
	s_mov_b32 s16, 0
.LBB47_1910:
	s_delay_alu instid0(SALU_CYCLE_1)
	s_and_not1_b32 vcc_lo, exec_lo, s16
	s_cbranch_vccnz .LBB47_1921
; %bb.1911:
	s_cmp_lt_i32 s13, 6
	s_cbranch_scc1 .LBB47_1914
; %bb.1912:
	s_cmp_gt_i32 s13, 6
	s_cbranch_scc0 .LBB47_1915
; %bb.1913:
	s_wait_loadcnt 0x0
	global_load_b64 v[8:9], v[4:5], off
	s_mov_b32 s16, 0
	s_wait_loadcnt 0x0
	v_cvt_f32_f64_e32 v1, v[8:9]
	s_delay_alu instid0(VALU_DEP_1) | instskip(SKIP_1) | instid1(VALU_DEP_2)
	v_bfe_u32 v3, v1, 16, 1
	v_cmp_o_f32_e32 vcc_lo, v1, v1
	v_add3_u32 v3, v1, v3, 0x7fff
	s_delay_alu instid0(VALU_DEP_1) | instskip(NEXT) | instid1(VALU_DEP_1)
	v_lshrrev_b32_e32 v3, 16, v3
	v_cndmask_b32_e32 v8, 0x7fc0, v3, vcc_lo
	s_branch .LBB47_1916
.LBB47_1914:
	s_mov_b32 s16, -1
                                        ; implicit-def: $vgpr8
	s_branch .LBB47_1919
.LBB47_1915:
	s_mov_b32 s16, -1
                                        ; implicit-def: $vgpr8
.LBB47_1916:
	s_delay_alu instid0(SALU_CYCLE_1)
	s_and_not1_b32 vcc_lo, exec_lo, s16
	s_cbranch_vccnz .LBB47_1918
; %bb.1917:
	global_load_b32 v1, v[4:5], off
	s_wait_loadcnt 0x0
	v_bfe_u32 v3, v1, 16, 1
	v_cmp_o_f32_e32 vcc_lo, v1, v1
	s_delay_alu instid0(VALU_DEP_2) | instskip(NEXT) | instid1(VALU_DEP_1)
	v_add3_u32 v3, v1, v3, 0x7fff
	v_lshrrev_b32_e32 v3, 16, v3
	s_delay_alu instid0(VALU_DEP_1)
	v_cndmask_b32_e32 v8, 0x7fc0, v3, vcc_lo
.LBB47_1918:
	s_mov_b32 s16, 0
.LBB47_1919:
	s_delay_alu instid0(SALU_CYCLE_1)
	s_and_not1_b32 vcc_lo, exec_lo, s16
	s_cbranch_vccnz .LBB47_1921
; %bb.1920:
	global_load_u16 v1, v[4:5], off
	s_wait_loadcnt 0x0
	v_cvt_f32_f16_e32 v3, v1
	v_cmp_o_f16_e32 vcc_lo, v1, v1
	s_delay_alu instid0(VALU_DEP_2) | instskip(NEXT) | instid1(VALU_DEP_1)
	v_bfe_u32 v8, v3, 16, 1
	v_add3_u32 v3, v3, v8, 0x7fff
	s_delay_alu instid0(VALU_DEP_1) | instskip(NEXT) | instid1(VALU_DEP_1)
	v_lshrrev_b32_e32 v3, 16, v3
	v_cndmask_b32_e32 v8, 0x7fc0, v3, vcc_lo
.LBB47_1921:
	s_mov_b32 s16, 0
.LBB47_1922:
	s_delay_alu instid0(SALU_CYCLE_1)
	s_and_not1_b32 vcc_lo, exec_lo, s16
	s_cbranch_vccnz .LBB47_1942
; %bb.1923:
	s_cmp_lt_i32 s13, 2
	s_cbranch_scc1 .LBB47_1927
; %bb.1924:
	s_cmp_lt_i32 s13, 3
	s_cbranch_scc1 .LBB47_1928
; %bb.1925:
	s_cmp_gt_i32 s13, 3
	s_cbranch_scc0 .LBB47_1929
; %bb.1926:
	s_wait_loadcnt 0x0
	global_load_b64 v[8:9], v[4:5], off
	s_mov_b32 s16, 0
	s_wait_loadcnt 0x0
	v_xor_b32_e32 v1, v8, v9
	v_cls_i32_e32 v3, v9
	s_delay_alu instid0(VALU_DEP_2) | instskip(NEXT) | instid1(VALU_DEP_1)
	v_ashrrev_i32_e32 v1, 31, v1
	v_add_nc_u32_e32 v1, 32, v1
	s_delay_alu instid0(VALU_DEP_1) | instskip(NEXT) | instid1(VALU_DEP_1)
	v_add_min_u32_e64 v1, v3, -1, v1
	v_lshlrev_b64_e32 v[8:9], v1, v[8:9]
	v_sub_nc_u32_e32 v1, 32, v1
	s_delay_alu instid0(VALU_DEP_2) | instskip(NEXT) | instid1(VALU_DEP_1)
	v_min_u32_e32 v3, 1, v8
	v_or_b32_e32 v3, v9, v3
	s_delay_alu instid0(VALU_DEP_1) | instskip(NEXT) | instid1(VALU_DEP_1)
	v_cvt_f32_i32_e32 v3, v3
	v_ldexp_f32 v1, v3, v1
	s_delay_alu instid0(VALU_DEP_1) | instskip(NEXT) | instid1(VALU_DEP_1)
	v_bfe_u32 v3, v1, 16, 1
	v_add3_u32 v1, v1, v3, 0x7fff
	s_delay_alu instid0(VALU_DEP_1)
	v_lshrrev_b32_e32 v8, 16, v1
	s_branch .LBB47_1930
.LBB47_1927:
	s_mov_b32 s16, -1
                                        ; implicit-def: $vgpr8
	s_branch .LBB47_1936
.LBB47_1928:
	s_mov_b32 s16, -1
                                        ; implicit-def: $vgpr8
	s_branch .LBB47_1933
.LBB47_1929:
	s_mov_b32 s16, -1
                                        ; implicit-def: $vgpr8
.LBB47_1930:
	s_delay_alu instid0(SALU_CYCLE_1)
	s_and_not1_b32 vcc_lo, exec_lo, s16
	s_cbranch_vccnz .LBB47_1932
; %bb.1931:
	global_load_b32 v1, v[4:5], off
	s_wait_loadcnt 0x0
	v_cvt_f32_i32_e32 v1, v1
	s_delay_alu instid0(VALU_DEP_1) | instskip(NEXT) | instid1(VALU_DEP_1)
	v_bfe_u32 v3, v1, 16, 1
	v_add3_u32 v1, v1, v3, 0x7fff
	s_delay_alu instid0(VALU_DEP_1)
	v_lshrrev_b32_e32 v8, 16, v1
.LBB47_1932:
	s_mov_b32 s16, 0
.LBB47_1933:
	s_delay_alu instid0(SALU_CYCLE_1)
	s_and_not1_b32 vcc_lo, exec_lo, s16
	s_cbranch_vccnz .LBB47_1935
; %bb.1934:
	global_load_i16 v1, v[4:5], off
	s_wait_loadcnt 0x0
	v_cvt_f32_i32_e32 v1, v1
	s_delay_alu instid0(VALU_DEP_1) | instskip(NEXT) | instid1(VALU_DEP_1)
	v_bfe_u32 v3, v1, 16, 1
	v_add3_u32 v1, v1, v3, 0x7fff
	s_delay_alu instid0(VALU_DEP_1)
	v_lshrrev_b32_e32 v8, 16, v1
.LBB47_1935:
	s_mov_b32 s16, 0
.LBB47_1936:
	s_delay_alu instid0(SALU_CYCLE_1)
	s_and_not1_b32 vcc_lo, exec_lo, s16
	s_cbranch_vccnz .LBB47_1942
; %bb.1937:
	s_cmp_gt_i32 s13, 0
	s_mov_b32 s13, 0
	s_cbranch_scc0 .LBB47_1939
; %bb.1938:
	global_load_i8 v1, v[4:5], off
	s_wait_loadcnt 0x0
	v_cvt_f32_i32_e32 v1, v1
	s_delay_alu instid0(VALU_DEP_1) | instskip(NEXT) | instid1(VALU_DEP_1)
	v_bfe_u32 v3, v1, 16, 1
	v_add3_u32 v1, v1, v3, 0x7fff
	s_delay_alu instid0(VALU_DEP_1)
	v_lshrrev_b32_e32 v8, 16, v1
	s_branch .LBB47_1940
.LBB47_1939:
	s_mov_b32 s13, -1
                                        ; implicit-def: $vgpr8
.LBB47_1940:
	s_delay_alu instid0(SALU_CYCLE_1)
	s_and_not1_b32 vcc_lo, exec_lo, s13
	s_cbranch_vccnz .LBB47_1942
; %bb.1941:
	global_load_u8 v1, v[4:5], off
	s_wait_loadcnt 0x0
	v_cvt_f32_ubyte0_e32 v1, v1
	s_delay_alu instid0(VALU_DEP_1) | instskip(NEXT) | instid1(VALU_DEP_1)
	v_bfe_u32 v3, v1, 16, 1
	v_add3_u32 v1, v1, v3, 0x7fff
	s_delay_alu instid0(VALU_DEP_1)
	v_lshrrev_b32_e32 v8, 16, v1
.LBB47_1942:
.LBB47_1943:
	s_lshl_b32 s10, s10, 7
	s_cmp_lt_i32 s1, 11
	v_add_nc_u32_e32 v2, s10, v2
	s_delay_alu instid0(VALU_DEP_1) | instskip(SKIP_1) | instid1(VALU_DEP_1)
	v_ashrrev_i32_e32 v3, 31, v2
	s_wait_xcnt 0x0
	v_add_nc_u64_e32 v[4:5], s[2:3], v[2:3]
	s_cbranch_scc1 .LBB47_1950
; %bb.1944:
	s_and_b32 s13, 0xffff, s1
	s_mov_b32 s17, 0
	s_cmp_gt_i32 s13, 25
	s_cbranch_scc0 .LBB47_1951
; %bb.1945:
	s_cmp_gt_i32 s13, 28
	s_cbranch_scc0 .LBB47_1952
; %bb.1946:
	;; [unrolled: 3-line block ×4, first 2 shown]
	s_cmp_eq_u32 s13, 46
	s_mov_b32 s19, 0
	s_cbranch_scc0 .LBB47_1956
; %bb.1949:
	global_load_b32 v1, v[4:5], off
	s_mov_b32 s16, 0
	s_mov_b32 s18, -1
	s_branch .LBB47_1958
.LBB47_1950:
	s_mov_b32 s13, -1
	s_mov_b32 s18, 0
                                        ; implicit-def: $vgpr1
	s_branch .LBB47_2024
.LBB47_1951:
	s_mov_b32 s19, -1
	s_mov_b32 s18, 0
	s_mov_b32 s16, 0
                                        ; implicit-def: $vgpr1
	s_branch .LBB47_1987
.LBB47_1952:
	s_mov_b32 s19, -1
	s_mov_b32 s18, 0
	s_mov_b32 s16, 0
                                        ; implicit-def: $vgpr1
	s_branch .LBB47_1968
.LBB47_1953:
	s_mov_b32 s19, -1
	s_mov_b32 s18, 0
	s_mov_b32 s16, 0
                                        ; implicit-def: $vgpr1
	s_branch .LBB47_1963
.LBB47_1954:
	s_or_b32 s12, s12, exec_lo
	s_trap 2
	s_cbranch_execz .LBB47_1893
	s_branch .LBB47_1894
.LBB47_1955:
	s_mov_b32 s19, -1
	s_mov_b32 s18, 0
	s_mov_b32 s16, 0
	s_branch .LBB47_1957
.LBB47_1956:
	s_mov_b32 s16, -1
	s_mov_b32 s18, 0
.LBB47_1957:
                                        ; implicit-def: $vgpr1
.LBB47_1958:
	s_and_b32 vcc_lo, exec_lo, s19
	s_cbranch_vccz .LBB47_1962
; %bb.1959:
	s_cmp_eq_u32 s13, 44
	s_cbranch_scc0 .LBB47_1961
; %bb.1960:
	s_wait_loadcnt 0x0
	global_load_u8 v1, v[4:5], off
	s_mov_b32 s16, 0
	s_mov_b32 s18, -1
	s_wait_loadcnt 0x0
	v_lshlrev_b32_e32 v3, 23, v1
	v_cmp_ne_u32_e32 vcc_lo, 0xff, v1
	s_delay_alu instid0(VALU_DEP_2) | instskip(SKIP_1) | instid1(VALU_DEP_2)
	v_cndmask_b32_e32 v3, 0x7f800001, v3, vcc_lo
	v_cmp_ne_u32_e32 vcc_lo, 0, v1
	v_cndmask_b32_e32 v1, 0x400000, v3, vcc_lo
	s_delay_alu instid0(VALU_DEP_1) | instskip(SKIP_1) | instid1(VALU_DEP_2)
	v_add_nc_u32_e32 v3, 0x7fff, v1
	v_cmp_o_f32_e32 vcc_lo, v1, v1
	v_lshrrev_b32_e32 v3, 16, v3
	s_delay_alu instid0(VALU_DEP_1)
	v_cndmask_b32_e32 v1, 0x7fc0, v3, vcc_lo
	s_branch .LBB47_1962
.LBB47_1961:
	s_mov_b32 s16, -1
                                        ; implicit-def: $vgpr1
.LBB47_1962:
	s_mov_b32 s19, 0
.LBB47_1963:
	s_delay_alu instid0(SALU_CYCLE_1)
	s_and_b32 vcc_lo, exec_lo, s19
	s_cbranch_vccz .LBB47_1967
; %bb.1964:
	s_cmp_eq_u32 s13, 29
	s_cbranch_scc0 .LBB47_1966
; %bb.1965:
	global_load_b64 v[10:11], v[4:5], off
	s_mov_b32 s16, 0
	s_mov_b32 s18, -1
	s_mov_b32 s19, 0
	s_wait_loadcnt 0x0
	v_clz_i32_u32_e32 v1, v11
	s_delay_alu instid0(VALU_DEP_1) | instskip(NEXT) | instid1(VALU_DEP_1)
	v_min_u32_e32 v1, 32, v1
	v_lshlrev_b64_e32 v[10:11], v1, v[10:11]
	v_sub_nc_u32_e32 v1, 32, v1
	s_delay_alu instid0(VALU_DEP_2) | instskip(NEXT) | instid1(VALU_DEP_1)
	v_min_u32_e32 v3, 1, v10
	v_or_b32_e32 v3, v11, v3
	s_delay_alu instid0(VALU_DEP_1) | instskip(NEXT) | instid1(VALU_DEP_1)
	v_cvt_f32_u32_e32 v3, v3
	v_ldexp_f32 v1, v3, v1
	s_delay_alu instid0(VALU_DEP_1) | instskip(NEXT) | instid1(VALU_DEP_1)
	v_bfe_u32 v3, v1, 16, 1
	v_add3_u32 v1, v1, v3, 0x7fff
	s_delay_alu instid0(VALU_DEP_1)
	v_lshrrev_b32_e32 v1, 16, v1
	s_branch .LBB47_1968
.LBB47_1966:
	s_mov_b32 s16, -1
                                        ; implicit-def: $vgpr1
.LBB47_1967:
	s_mov_b32 s19, 0
.LBB47_1968:
	s_delay_alu instid0(SALU_CYCLE_1)
	s_and_b32 vcc_lo, exec_lo, s19
	s_cbranch_vccz .LBB47_1986
; %bb.1969:
	s_cmp_lt_i32 s13, 27
	s_cbranch_scc1 .LBB47_1972
; %bb.1970:
	s_cmp_gt_i32 s13, 27
	s_cbranch_scc0 .LBB47_1973
; %bb.1971:
	s_wait_loadcnt 0x0
	global_load_b32 v1, v[4:5], off
	s_mov_b32 s18, 0
	s_wait_loadcnt 0x0
	v_cvt_f32_u32_e32 v1, v1
	s_delay_alu instid0(VALU_DEP_1) | instskip(NEXT) | instid1(VALU_DEP_1)
	v_bfe_u32 v3, v1, 16, 1
	v_add3_u32 v1, v1, v3, 0x7fff
	s_delay_alu instid0(VALU_DEP_1)
	v_lshrrev_b32_e32 v1, 16, v1
	s_branch .LBB47_1974
.LBB47_1972:
	s_mov_b32 s18, -1
                                        ; implicit-def: $vgpr1
	s_branch .LBB47_1977
.LBB47_1973:
	s_mov_b32 s18, -1
                                        ; implicit-def: $vgpr1
.LBB47_1974:
	s_delay_alu instid0(SALU_CYCLE_1)
	s_and_not1_b32 vcc_lo, exec_lo, s18
	s_cbranch_vccnz .LBB47_1976
; %bb.1975:
	s_wait_loadcnt 0x0
	global_load_u16 v1, v[4:5], off
	s_wait_loadcnt 0x0
	v_cvt_f32_u32_e32 v1, v1
	s_delay_alu instid0(VALU_DEP_1) | instskip(NEXT) | instid1(VALU_DEP_1)
	v_bfe_u32 v3, v1, 16, 1
	v_add3_u32 v1, v1, v3, 0x7fff
	s_delay_alu instid0(VALU_DEP_1)
	v_lshrrev_b32_e32 v1, 16, v1
.LBB47_1976:
	s_mov_b32 s18, 0
.LBB47_1977:
	s_delay_alu instid0(SALU_CYCLE_1)
	s_and_not1_b32 vcc_lo, exec_lo, s18
	s_cbranch_vccnz .LBB47_1985
; %bb.1978:
	s_wait_loadcnt 0x0
	global_load_u8 v1, v[4:5], off
	s_mov_b32 s18, 0
	s_mov_b32 s19, exec_lo
	s_wait_loadcnt 0x0
	v_cmpx_lt_i16_e32 0x7f, v1
	s_xor_b32 s19, exec_lo, s19
	s_cbranch_execz .LBB47_1999
; %bb.1979:
	s_mov_b32 s18, -1
	s_mov_b32 s20, exec_lo
	v_cmpx_eq_u16_e32 0x80, v1
; %bb.1980:
	s_xor_b32 s18, exec_lo, -1
; %bb.1981:
	s_or_b32 exec_lo, exec_lo, s20
	s_delay_alu instid0(SALU_CYCLE_1)
	s_and_b32 s18, s18, exec_lo
	s_or_saveexec_b32 s19, s19
	v_mov_b32_e32 v3, 0x7f800001
	s_xor_b32 exec_lo, exec_lo, s19
	s_cbranch_execnz .LBB47_2000
.LBB47_1982:
	s_or_b32 exec_lo, exec_lo, s19
	s_and_saveexec_b32 s19, s18
	s_cbranch_execz .LBB47_1984
.LBB47_1983:
	v_and_b32_e32 v3, 0xffff, v1
	s_delay_alu instid0(VALU_DEP_1) | instskip(SKIP_1) | instid1(VALU_DEP_2)
	v_and_b32_e32 v9, 7, v3
	v_bfe_u32 v12, v3, 3, 4
	v_clz_i32_u32_e32 v10, v9
	s_delay_alu instid0(VALU_DEP_2) | instskip(NEXT) | instid1(VALU_DEP_2)
	v_cmp_eq_u32_e32 vcc_lo, 0, v12
	v_min_u32_e32 v10, 32, v10
	s_delay_alu instid0(VALU_DEP_1) | instskip(NEXT) | instid1(VALU_DEP_1)
	v_subrev_nc_u32_e32 v11, 28, v10
	v_dual_lshlrev_b32 v3, v11, v3 :: v_dual_sub_nc_u32 v10, 29, v10
	s_delay_alu instid0(VALU_DEP_1) | instskip(NEXT) | instid1(VALU_DEP_1)
	v_dual_lshlrev_b32 v1, 24, v1 :: v_dual_bitop2_b32 v3, 7, v3 bitop3:0x40
	v_dual_cndmask_b32 v10, v12, v10 :: v_dual_cndmask_b32 v3, v9, v3
	s_delay_alu instid0(VALU_DEP_2) | instskip(NEXT) | instid1(VALU_DEP_2)
	v_and_b32_e32 v1, 0x80000000, v1
	v_lshl_add_u32 v9, v10, 23, 0x3b800000
	s_delay_alu instid0(VALU_DEP_3) | instskip(NEXT) | instid1(VALU_DEP_1)
	v_lshlrev_b32_e32 v3, 20, v3
	v_or3_b32 v3, v1, v9, v3
.LBB47_1984:
	s_or_b32 exec_lo, exec_lo, s19
	s_delay_alu instid0(VALU_DEP_1) | instskip(SKIP_1) | instid1(VALU_DEP_2)
	v_bfe_u32 v1, v3, 16, 1
	v_cmp_o_f32_e32 vcc_lo, v3, v3
	v_add3_u32 v1, v3, v1, 0x7fff
	s_delay_alu instid0(VALU_DEP_1) | instskip(NEXT) | instid1(VALU_DEP_1)
	v_lshrrev_b32_e32 v1, 16, v1
	v_cndmask_b32_e32 v1, 0x7fc0, v1, vcc_lo
.LBB47_1985:
	s_mov_b32 s18, -1
.LBB47_1986:
	s_mov_b32 s19, 0
.LBB47_1987:
	s_delay_alu instid0(SALU_CYCLE_1)
	s_and_b32 vcc_lo, exec_lo, s19
	s_cbranch_vccz .LBB47_2020
; %bb.1988:
	s_cmp_gt_i32 s13, 22
	s_cbranch_scc0 .LBB47_1998
; %bb.1989:
	s_cmp_lt_i32 s13, 24
	s_cbranch_scc1 .LBB47_2001
; %bb.1990:
	s_cmp_gt_i32 s13, 24
	s_cbranch_scc0 .LBB47_2002
; %bb.1991:
	s_wait_loadcnt 0x0
	global_load_u8 v1, v[4:5], off
	s_mov_b32 s18, exec_lo
	s_wait_loadcnt 0x0
	v_cmpx_lt_i16_e32 0x7f, v1
	s_xor_b32 s18, exec_lo, s18
	s_cbranch_execz .LBB47_2014
; %bb.1992:
	s_mov_b32 s17, -1
	s_mov_b32 s19, exec_lo
	v_cmpx_eq_u16_e32 0x80, v1
; %bb.1993:
	s_xor_b32 s17, exec_lo, -1
; %bb.1994:
	s_or_b32 exec_lo, exec_lo, s19
	s_delay_alu instid0(SALU_CYCLE_1)
	s_and_b32 s17, s17, exec_lo
	s_or_saveexec_b32 s18, s18
	v_mov_b32_e32 v3, 0x7f800001
	s_xor_b32 exec_lo, exec_lo, s18
	s_cbranch_execnz .LBB47_2015
.LBB47_1995:
	s_or_b32 exec_lo, exec_lo, s18
	s_and_saveexec_b32 s18, s17
	s_cbranch_execz .LBB47_1997
.LBB47_1996:
	v_and_b32_e32 v3, 0xffff, v1
	s_delay_alu instid0(VALU_DEP_1) | instskip(SKIP_1) | instid1(VALU_DEP_2)
	v_and_b32_e32 v9, 3, v3
	v_bfe_u32 v12, v3, 2, 5
	v_clz_i32_u32_e32 v10, v9
	s_delay_alu instid0(VALU_DEP_2) | instskip(NEXT) | instid1(VALU_DEP_2)
	v_cmp_eq_u32_e32 vcc_lo, 0, v12
	v_min_u32_e32 v10, 32, v10
	s_delay_alu instid0(VALU_DEP_1) | instskip(NEXT) | instid1(VALU_DEP_1)
	v_subrev_nc_u32_e32 v11, 29, v10
	v_dual_lshlrev_b32 v3, v11, v3 :: v_dual_sub_nc_u32 v10, 30, v10
	s_delay_alu instid0(VALU_DEP_1) | instskip(NEXT) | instid1(VALU_DEP_1)
	v_dual_lshlrev_b32 v1, 24, v1 :: v_dual_bitop2_b32 v3, 3, v3 bitop3:0x40
	v_dual_cndmask_b32 v10, v12, v10 :: v_dual_cndmask_b32 v3, v9, v3
	s_delay_alu instid0(VALU_DEP_2) | instskip(NEXT) | instid1(VALU_DEP_2)
	v_and_b32_e32 v1, 0x80000000, v1
	v_lshl_add_u32 v9, v10, 23, 0x37800000
	s_delay_alu instid0(VALU_DEP_3) | instskip(NEXT) | instid1(VALU_DEP_1)
	v_lshlrev_b32_e32 v3, 21, v3
	v_or3_b32 v3, v1, v9, v3
.LBB47_1997:
	s_or_b32 exec_lo, exec_lo, s18
	s_delay_alu instid0(VALU_DEP_1) | instskip(SKIP_2) | instid1(VALU_DEP_2)
	v_bfe_u32 v1, v3, 16, 1
	v_cmp_o_f32_e32 vcc_lo, v3, v3
	s_mov_b32 s17, 0
	v_add3_u32 v1, v3, v1, 0x7fff
	s_delay_alu instid0(VALU_DEP_1) | instskip(NEXT) | instid1(VALU_DEP_1)
	v_lshrrev_b32_e32 v1, 16, v1
	v_cndmask_b32_e32 v1, 0x7fc0, v1, vcc_lo
	s_branch .LBB47_2003
.LBB47_1998:
	s_mov_b32 s17, -1
                                        ; implicit-def: $vgpr1
	s_branch .LBB47_2009
.LBB47_1999:
	s_or_saveexec_b32 s19, s19
	v_mov_b32_e32 v3, 0x7f800001
	s_xor_b32 exec_lo, exec_lo, s19
	s_cbranch_execz .LBB47_1982
.LBB47_2000:
	v_cmp_ne_u16_e32 vcc_lo, 0, v1
	v_mov_b32_e32 v3, 0
	s_and_not1_b32 s18, s18, exec_lo
	s_and_b32 s20, vcc_lo, exec_lo
	s_delay_alu instid0(SALU_CYCLE_1)
	s_or_b32 s18, s18, s20
	s_or_b32 exec_lo, exec_lo, s19
	s_and_saveexec_b32 s19, s18
	s_cbranch_execnz .LBB47_1983
	s_branch .LBB47_1984
.LBB47_2001:
	s_mov_b32 s17, -1
                                        ; implicit-def: $vgpr1
	s_branch .LBB47_2006
.LBB47_2002:
	s_mov_b32 s17, -1
                                        ; implicit-def: $vgpr1
.LBB47_2003:
	s_delay_alu instid0(SALU_CYCLE_1)
	s_and_b32 vcc_lo, exec_lo, s17
	s_cbranch_vccz .LBB47_2005
; %bb.2004:
	s_wait_loadcnt 0x0
	global_load_u8 v1, v[4:5], off
	s_wait_loadcnt 0x0
	v_lshlrev_b32_e32 v1, 24, v1
	s_delay_alu instid0(VALU_DEP_1) | instskip(NEXT) | instid1(VALU_DEP_1)
	v_and_b32_e32 v3, 0x7f000000, v1
	v_clz_i32_u32_e32 v9, v3
	v_add_nc_u32_e32 v11, 0x1000000, v3
	v_cmp_ne_u32_e32 vcc_lo, 0, v3
	s_delay_alu instid0(VALU_DEP_3) | instskip(NEXT) | instid1(VALU_DEP_1)
	v_min_u32_e32 v9, 32, v9
	v_sub_nc_u32_e64 v9, v9, 4 clamp
	s_delay_alu instid0(VALU_DEP_1) | instskip(NEXT) | instid1(VALU_DEP_1)
	v_dual_lshlrev_b32 v10, v9, v3 :: v_dual_lshlrev_b32 v9, 23, v9
	v_lshrrev_b32_e32 v10, 4, v10
	s_delay_alu instid0(VALU_DEP_1) | instskip(NEXT) | instid1(VALU_DEP_1)
	v_dual_sub_nc_u32 v9, v10, v9 :: v_dual_ashrrev_i32 v10, 8, v11
	v_add_nc_u32_e32 v9, 0x3c000000, v9
	s_delay_alu instid0(VALU_DEP_1) | instskip(NEXT) | instid1(VALU_DEP_1)
	v_and_or_b32 v9, 0x7f800000, v10, v9
	v_cndmask_b32_e32 v3, 0, v9, vcc_lo
	s_delay_alu instid0(VALU_DEP_1) | instskip(SKIP_1) | instid1(VALU_DEP_2)
	v_and_or_b32 v1, 0x80000000, v1, v3
	v_bfe_u32 v3, v3, 16, 1
	v_cmp_o_f32_e32 vcc_lo, v1, v1
	s_delay_alu instid0(VALU_DEP_2) | instskip(NEXT) | instid1(VALU_DEP_1)
	v_add3_u32 v3, v1, v3, 0x7fff
	v_lshrrev_b32_e32 v3, 16, v3
	s_delay_alu instid0(VALU_DEP_1)
	v_cndmask_b32_e32 v1, 0x7fc0, v3, vcc_lo
.LBB47_2005:
	s_mov_b32 s17, 0
.LBB47_2006:
	s_delay_alu instid0(SALU_CYCLE_1)
	s_and_not1_b32 vcc_lo, exec_lo, s17
	s_cbranch_vccnz .LBB47_2008
; %bb.2007:
	s_wait_loadcnt 0x0
	global_load_u8 v1, v[4:5], off
	s_wait_loadcnt 0x0
	v_lshlrev_b32_e32 v3, 25, v1
	v_lshlrev_b16 v1, 8, v1
	s_delay_alu instid0(VALU_DEP_1) | instskip(SKIP_1) | instid1(VALU_DEP_2)
	v_and_or_b32 v10, 0x7f00, v1, 0.5
	v_bfe_i32 v1, v1, 0, 16
	v_dual_add_f32 v10, -0.5, v10 :: v_dual_lshrrev_b32 v9, 4, v3
	v_cmp_gt_u32_e32 vcc_lo, 0x8000000, v3
	s_delay_alu instid0(VALU_DEP_2) | instskip(NEXT) | instid1(VALU_DEP_1)
	v_or_b32_e32 v9, 0x70000000, v9
	v_mul_f32_e32 v9, 0x7800000, v9
	s_delay_alu instid0(VALU_DEP_1) | instskip(NEXT) | instid1(VALU_DEP_1)
	v_cndmask_b32_e32 v3, v9, v10, vcc_lo
	v_and_or_b32 v1, 0x80000000, v1, v3
	v_bfe_u32 v3, v3, 16, 1
	s_delay_alu instid0(VALU_DEP_2) | instskip(NEXT) | instid1(VALU_DEP_2)
	v_cmp_o_f32_e32 vcc_lo, v1, v1
	v_add3_u32 v3, v1, v3, 0x7fff
	s_delay_alu instid0(VALU_DEP_1) | instskip(NEXT) | instid1(VALU_DEP_1)
	v_lshrrev_b32_e32 v3, 16, v3
	v_cndmask_b32_e32 v1, 0x7fc0, v3, vcc_lo
.LBB47_2008:
	s_mov_b32 s17, 0
	s_mov_b32 s18, -1
.LBB47_2009:
	s_and_not1_b32 vcc_lo, exec_lo, s17
	s_mov_b32 s17, 0
	s_cbranch_vccnz .LBB47_2020
; %bb.2010:
	s_cmp_gt_i32 s13, 14
	s_cbranch_scc0 .LBB47_2013
; %bb.2011:
	s_cmp_eq_u32 s13, 15
	s_cbranch_scc0 .LBB47_2016
; %bb.2012:
	s_wait_loadcnt 0x0
	global_load_u16 v1, v[4:5], off
	s_mov_b32 s16, 0
	s_mov_b32 s18, -1
	s_branch .LBB47_2018
.LBB47_2013:
	s_mov_b32 s17, -1
	s_branch .LBB47_2017
.LBB47_2014:
	s_or_saveexec_b32 s18, s18
	v_mov_b32_e32 v3, 0x7f800001
	s_xor_b32 exec_lo, exec_lo, s18
	s_cbranch_execz .LBB47_1995
.LBB47_2015:
	v_cmp_ne_u16_e32 vcc_lo, 0, v1
	v_mov_b32_e32 v3, 0
	s_and_not1_b32 s17, s17, exec_lo
	s_and_b32 s19, vcc_lo, exec_lo
	s_delay_alu instid0(SALU_CYCLE_1)
	s_or_b32 s17, s17, s19
	s_or_b32 exec_lo, exec_lo, s18
	s_and_saveexec_b32 s18, s17
	s_cbranch_execnz .LBB47_1996
	s_branch .LBB47_1997
.LBB47_2016:
	s_mov_b32 s16, -1
.LBB47_2017:
                                        ; implicit-def: $vgpr1
.LBB47_2018:
	s_and_b32 vcc_lo, exec_lo, s17
	s_mov_b32 s17, 0
	s_cbranch_vccz .LBB47_2020
; %bb.2019:
	s_cmp_lg_u32 s13, 11
	s_mov_b32 s17, -1
	s_cselect_b32 s16, -1, 0
.LBB47_2020:
	s_delay_alu instid0(SALU_CYCLE_1)
	s_and_b32 vcc_lo, exec_lo, s16
	s_cbranch_vccnz .LBB47_2087
; %bb.2021:
	s_and_not1_b32 vcc_lo, exec_lo, s17
	s_cbranch_vccnz .LBB47_2023
.LBB47_2022:
	s_wait_loadcnt 0x0
	global_load_u8 v1, v[4:5], off
	s_mov_b32 s18, -1
	s_wait_loadcnt 0x0
	v_cmp_ne_u16_e32 vcc_lo, 0, v1
	v_cndmask_b32_e64 v1, 0, 1.0, vcc_lo
	s_delay_alu instid0(VALU_DEP_1)
	v_lshrrev_b32_e32 v1, 16, v1
.LBB47_2023:
	s_mov_b32 s13, 0
.LBB47_2024:
	s_delay_alu instid0(SALU_CYCLE_1)
	s_and_b32 vcc_lo, exec_lo, s13
	s_cbranch_vccz .LBB47_2073
; %bb.2025:
	s_and_b32 s13, 0xffff, s1
	s_delay_alu instid0(SALU_CYCLE_1)
	s_cmp_lt_i32 s13, 5
	s_cbranch_scc1 .LBB47_2030
; %bb.2026:
	s_cmp_lt_i32 s13, 8
	s_cbranch_scc1 .LBB47_2031
; %bb.2027:
	;; [unrolled: 3-line block ×3, first 2 shown]
	s_cmp_gt_i32 s13, 9
	s_cbranch_scc0 .LBB47_2033
; %bb.2029:
	global_load_b64 v[10:11], v[4:5], off
	s_mov_b32 s16, 0
	s_wait_loadcnt 0x0
	v_cvt_f32_f64_e32 v1, v[10:11]
	s_delay_alu instid0(VALU_DEP_1) | instskip(SKIP_1) | instid1(VALU_DEP_2)
	v_bfe_u32 v3, v1, 16, 1
	v_cmp_o_f32_e32 vcc_lo, v1, v1
	v_add3_u32 v3, v1, v3, 0x7fff
	s_delay_alu instid0(VALU_DEP_1) | instskip(NEXT) | instid1(VALU_DEP_1)
	v_lshrrev_b32_e32 v3, 16, v3
	v_cndmask_b32_e32 v1, 0x7fc0, v3, vcc_lo
	s_branch .LBB47_2034
.LBB47_2030:
	s_mov_b32 s16, -1
                                        ; implicit-def: $vgpr1
	s_branch .LBB47_2052
.LBB47_2031:
	s_mov_b32 s16, -1
                                        ; implicit-def: $vgpr1
	s_branch .LBB47_2040
.LBB47_2032:
	s_mov_b32 s16, -1
                                        ; implicit-def: $vgpr1
	s_branch .LBB47_2037
.LBB47_2033:
	s_mov_b32 s16, -1
                                        ; implicit-def: $vgpr1
.LBB47_2034:
	s_delay_alu instid0(SALU_CYCLE_1)
	s_and_not1_b32 vcc_lo, exec_lo, s16
	s_cbranch_vccnz .LBB47_2036
; %bb.2035:
	s_wait_loadcnt 0x0
	global_load_b32 v1, v[4:5], off
	s_wait_loadcnt 0x0
	v_bfe_u32 v3, v1, 16, 1
	v_cmp_o_f32_e32 vcc_lo, v1, v1
	s_delay_alu instid0(VALU_DEP_2) | instskip(NEXT) | instid1(VALU_DEP_1)
	v_add3_u32 v3, v1, v3, 0x7fff
	v_lshrrev_b32_e32 v3, 16, v3
	s_delay_alu instid0(VALU_DEP_1)
	v_cndmask_b32_e32 v1, 0x7fc0, v3, vcc_lo
.LBB47_2036:
	s_mov_b32 s16, 0
.LBB47_2037:
	s_delay_alu instid0(SALU_CYCLE_1)
	s_and_not1_b32 vcc_lo, exec_lo, s16
	s_cbranch_vccnz .LBB47_2039
; %bb.2038:
	s_wait_loadcnt 0x0
	global_load_b32 v1, v[4:5], off
	s_wait_loadcnt 0x0
	v_cvt_f32_f16_e32 v3, v1
	v_cmp_o_f16_e32 vcc_lo, v1, v1
	s_delay_alu instid0(VALU_DEP_2) | instskip(NEXT) | instid1(VALU_DEP_1)
	v_bfe_u32 v9, v3, 16, 1
	v_add3_u32 v3, v3, v9, 0x7fff
	s_delay_alu instid0(VALU_DEP_1) | instskip(NEXT) | instid1(VALU_DEP_1)
	v_lshrrev_b32_e32 v3, 16, v3
	v_cndmask_b32_e32 v1, 0x7fc0, v3, vcc_lo
.LBB47_2039:
	s_mov_b32 s16, 0
.LBB47_2040:
	s_delay_alu instid0(SALU_CYCLE_1)
	s_and_not1_b32 vcc_lo, exec_lo, s16
	s_cbranch_vccnz .LBB47_2051
; %bb.2041:
	s_cmp_lt_i32 s13, 6
	s_cbranch_scc1 .LBB47_2044
; %bb.2042:
	s_cmp_gt_i32 s13, 6
	s_cbranch_scc0 .LBB47_2045
; %bb.2043:
	global_load_b64 v[10:11], v[4:5], off
	s_mov_b32 s16, 0
	s_wait_loadcnt 0x0
	v_cvt_f32_f64_e32 v1, v[10:11]
	s_delay_alu instid0(VALU_DEP_1) | instskip(SKIP_1) | instid1(VALU_DEP_2)
	v_bfe_u32 v3, v1, 16, 1
	v_cmp_o_f32_e32 vcc_lo, v1, v1
	v_add3_u32 v3, v1, v3, 0x7fff
	s_delay_alu instid0(VALU_DEP_1) | instskip(NEXT) | instid1(VALU_DEP_1)
	v_lshrrev_b32_e32 v3, 16, v3
	v_cndmask_b32_e32 v1, 0x7fc0, v3, vcc_lo
	s_branch .LBB47_2046
.LBB47_2044:
	s_mov_b32 s16, -1
                                        ; implicit-def: $vgpr1
	s_branch .LBB47_2049
.LBB47_2045:
	s_mov_b32 s16, -1
                                        ; implicit-def: $vgpr1
.LBB47_2046:
	s_delay_alu instid0(SALU_CYCLE_1)
	s_and_not1_b32 vcc_lo, exec_lo, s16
	s_cbranch_vccnz .LBB47_2048
; %bb.2047:
	s_wait_loadcnt 0x0
	global_load_b32 v1, v[4:5], off
	s_wait_loadcnt 0x0
	v_bfe_u32 v3, v1, 16, 1
	v_cmp_o_f32_e32 vcc_lo, v1, v1
	s_delay_alu instid0(VALU_DEP_2) | instskip(NEXT) | instid1(VALU_DEP_1)
	v_add3_u32 v3, v1, v3, 0x7fff
	v_lshrrev_b32_e32 v3, 16, v3
	s_delay_alu instid0(VALU_DEP_1)
	v_cndmask_b32_e32 v1, 0x7fc0, v3, vcc_lo
.LBB47_2048:
	s_mov_b32 s16, 0
.LBB47_2049:
	s_delay_alu instid0(SALU_CYCLE_1)
	s_and_not1_b32 vcc_lo, exec_lo, s16
	s_cbranch_vccnz .LBB47_2051
; %bb.2050:
	s_wait_loadcnt 0x0
	global_load_u16 v1, v[4:5], off
	s_wait_loadcnt 0x0
	v_cvt_f32_f16_e32 v3, v1
	v_cmp_o_f16_e32 vcc_lo, v1, v1
	s_delay_alu instid0(VALU_DEP_2) | instskip(NEXT) | instid1(VALU_DEP_1)
	v_bfe_u32 v9, v3, 16, 1
	v_add3_u32 v3, v3, v9, 0x7fff
	s_delay_alu instid0(VALU_DEP_1) | instskip(NEXT) | instid1(VALU_DEP_1)
	v_lshrrev_b32_e32 v3, 16, v3
	v_cndmask_b32_e32 v1, 0x7fc0, v3, vcc_lo
.LBB47_2051:
	s_mov_b32 s16, 0
.LBB47_2052:
	s_delay_alu instid0(SALU_CYCLE_1)
	s_and_not1_b32 vcc_lo, exec_lo, s16
	s_cbranch_vccnz .LBB47_2072
; %bb.2053:
	s_cmp_lt_i32 s13, 2
	s_cbranch_scc1 .LBB47_2057
; %bb.2054:
	s_cmp_lt_i32 s13, 3
	s_cbranch_scc1 .LBB47_2058
; %bb.2055:
	s_cmp_gt_i32 s13, 3
	s_cbranch_scc0 .LBB47_2059
; %bb.2056:
	global_load_b64 v[10:11], v[4:5], off
	s_mov_b32 s16, 0
	s_wait_loadcnt 0x0
	v_xor_b32_e32 v1, v10, v11
	v_cls_i32_e32 v3, v11
	s_delay_alu instid0(VALU_DEP_2) | instskip(NEXT) | instid1(VALU_DEP_1)
	v_ashrrev_i32_e32 v1, 31, v1
	v_add_nc_u32_e32 v1, 32, v1
	s_delay_alu instid0(VALU_DEP_1) | instskip(NEXT) | instid1(VALU_DEP_1)
	v_add_min_u32_e64 v1, v3, -1, v1
	v_lshlrev_b64_e32 v[10:11], v1, v[10:11]
	v_sub_nc_u32_e32 v1, 32, v1
	s_delay_alu instid0(VALU_DEP_2) | instskip(NEXT) | instid1(VALU_DEP_1)
	v_min_u32_e32 v3, 1, v10
	v_or_b32_e32 v3, v11, v3
	s_delay_alu instid0(VALU_DEP_1) | instskip(NEXT) | instid1(VALU_DEP_1)
	v_cvt_f32_i32_e32 v3, v3
	v_ldexp_f32 v1, v3, v1
	s_delay_alu instid0(VALU_DEP_1) | instskip(NEXT) | instid1(VALU_DEP_1)
	v_bfe_u32 v3, v1, 16, 1
	v_add3_u32 v1, v1, v3, 0x7fff
	s_delay_alu instid0(VALU_DEP_1)
	v_lshrrev_b32_e32 v1, 16, v1
	s_branch .LBB47_2060
.LBB47_2057:
	s_mov_b32 s16, -1
                                        ; implicit-def: $vgpr1
	s_branch .LBB47_2066
.LBB47_2058:
	s_mov_b32 s16, -1
                                        ; implicit-def: $vgpr1
	s_branch .LBB47_2063
.LBB47_2059:
	s_mov_b32 s16, -1
                                        ; implicit-def: $vgpr1
.LBB47_2060:
	s_delay_alu instid0(SALU_CYCLE_1)
	s_and_not1_b32 vcc_lo, exec_lo, s16
	s_cbranch_vccnz .LBB47_2062
; %bb.2061:
	s_wait_loadcnt 0x0
	global_load_b32 v1, v[4:5], off
	s_wait_loadcnt 0x0
	v_cvt_f32_i32_e32 v1, v1
	s_delay_alu instid0(VALU_DEP_1) | instskip(NEXT) | instid1(VALU_DEP_1)
	v_bfe_u32 v3, v1, 16, 1
	v_add3_u32 v1, v1, v3, 0x7fff
	s_delay_alu instid0(VALU_DEP_1)
	v_lshrrev_b32_e32 v1, 16, v1
.LBB47_2062:
	s_mov_b32 s16, 0
.LBB47_2063:
	s_delay_alu instid0(SALU_CYCLE_1)
	s_and_not1_b32 vcc_lo, exec_lo, s16
	s_cbranch_vccnz .LBB47_2065
; %bb.2064:
	s_wait_loadcnt 0x0
	global_load_i16 v1, v[4:5], off
	s_wait_loadcnt 0x0
	v_cvt_f32_i32_e32 v1, v1
	s_delay_alu instid0(VALU_DEP_1) | instskip(NEXT) | instid1(VALU_DEP_1)
	v_bfe_u32 v3, v1, 16, 1
	v_add3_u32 v1, v1, v3, 0x7fff
	s_delay_alu instid0(VALU_DEP_1)
	v_lshrrev_b32_e32 v1, 16, v1
.LBB47_2065:
	s_mov_b32 s16, 0
.LBB47_2066:
	s_delay_alu instid0(SALU_CYCLE_1)
	s_and_not1_b32 vcc_lo, exec_lo, s16
	s_cbranch_vccnz .LBB47_2072
; %bb.2067:
	s_cmp_gt_i32 s13, 0
	s_mov_b32 s13, 0
	s_cbranch_scc0 .LBB47_2069
; %bb.2068:
	s_wait_loadcnt 0x0
	global_load_i8 v1, v[4:5], off
	s_wait_loadcnt 0x0
	v_cvt_f32_i32_e32 v1, v1
	s_delay_alu instid0(VALU_DEP_1) | instskip(NEXT) | instid1(VALU_DEP_1)
	v_bfe_u32 v3, v1, 16, 1
	v_add3_u32 v1, v1, v3, 0x7fff
	s_delay_alu instid0(VALU_DEP_1)
	v_lshrrev_b32_e32 v1, 16, v1
	s_branch .LBB47_2070
.LBB47_2069:
	s_mov_b32 s13, -1
                                        ; implicit-def: $vgpr1
.LBB47_2070:
	s_delay_alu instid0(SALU_CYCLE_1)
	s_and_not1_b32 vcc_lo, exec_lo, s13
	s_cbranch_vccnz .LBB47_2072
; %bb.2071:
	s_wait_loadcnt 0x0
	global_load_u8 v1, v[4:5], off
	s_wait_loadcnt 0x0
	v_cvt_f32_ubyte0_e32 v1, v1
	s_delay_alu instid0(VALU_DEP_1) | instskip(NEXT) | instid1(VALU_DEP_1)
	v_bfe_u32 v3, v1, 16, 1
	v_add3_u32 v1, v1, v3, 0x7fff
	s_delay_alu instid0(VALU_DEP_1)
	v_lshrrev_b32_e32 v1, 16, v1
.LBB47_2072:
	s_mov_b32 s18, -1
.LBB47_2073:
	s_delay_alu instid0(SALU_CYCLE_1)
	s_and_not1_b32 vcc_lo, exec_lo, s18
	s_cbranch_vccnz .LBB47_2684
; %bb.2074:
	s_wait_loadcnt 0x0
	v_lshlrev_b32_e32 v3, 16, v8
	s_mov_b32 s13, exec_lo
	s_wait_xcnt 0x0
	s_delay_alu instid0(VALU_DEP_1)
	v_cmpx_nlt_f32_e32 0, v3
	s_cbranch_execz .LBB47_2076
; %bb.2075:
	v_lshlrev_b32_e32 v1, 16, v1
	s_delay_alu instid0(VALU_DEP_1) | instskip(NEXT) | instid1(VALU_DEP_1)
	v_mul_f32_e32 v1, v3, v1
	v_bfe_u32 v3, v1, 16, 1
	v_cmp_o_f32_e32 vcc_lo, v1, v1
	s_delay_alu instid0(VALU_DEP_2) | instskip(NEXT) | instid1(VALU_DEP_1)
	v_add3_u32 v3, v1, v3, 0x7fff
	v_lshrrev_b32_e32 v3, 16, v3
	s_delay_alu instid0(VALU_DEP_1)
	v_cndmask_b32_e32 v8, 0x7fc0, v3, vcc_lo
.LBB47_2076:
	s_or_b32 exec_lo, exec_lo, s13
	v_add_nc_u32_e32 v0, s9, v0
	s_cmp_lt_i32 s0, 11
	s_delay_alu instid0(VALU_DEP_1) | instskip(NEXT) | instid1(VALU_DEP_1)
	v_ashrrev_i32_e32 v1, 31, v0
	v_add_nc_u64_e32 v[4:5], s[6:7], v[0:1]
	s_cbranch_scc1 .LBB47_2083
; %bb.2077:
	s_and_b32 s13, 0xffff, s0
	s_mov_b32 s17, 0
	s_cmp_gt_i32 s13, 25
	s_cbranch_scc0 .LBB47_2084
; %bb.2078:
	s_cmp_gt_i32 s13, 28
	s_cbranch_scc0 .LBB47_2085
; %bb.2079:
	;; [unrolled: 3-line block ×4, first 2 shown]
	s_cmp_eq_u32 s13, 46
	s_mov_b32 s19, 0
	s_cbranch_scc0 .LBB47_2089
; %bb.2082:
	global_load_b32 v9, v[4:5], off
	s_mov_b32 s16, 0
	s_mov_b32 s18, -1
	s_branch .LBB47_2091
.LBB47_2083:
	s_mov_b32 s13, -1
	s_mov_b32 s18, 0
                                        ; implicit-def: $vgpr9
	s_branch .LBB47_2157
.LBB47_2084:
	s_mov_b32 s19, -1
	s_mov_b32 s18, 0
	s_mov_b32 s16, 0
                                        ; implicit-def: $vgpr9
	s_branch .LBB47_2120
.LBB47_2085:
	s_mov_b32 s19, -1
	s_mov_b32 s18, 0
	s_mov_b32 s16, 0
                                        ; implicit-def: $vgpr9
	s_branch .LBB47_2101
.LBB47_2086:
	s_mov_b32 s19, -1
	s_mov_b32 s18, 0
	s_mov_b32 s16, 0
                                        ; implicit-def: $vgpr9
	s_branch .LBB47_2096
.LBB47_2087:
	s_or_b32 s12, s12, exec_lo
	s_trap 2
	s_cbranch_execz .LBB47_2022
	s_branch .LBB47_2023
.LBB47_2088:
	s_mov_b32 s19, -1
	s_mov_b32 s18, 0
	s_mov_b32 s16, 0
	s_branch .LBB47_2090
.LBB47_2089:
	s_mov_b32 s16, -1
	s_mov_b32 s18, 0
.LBB47_2090:
                                        ; implicit-def: $vgpr9
.LBB47_2091:
	s_and_b32 vcc_lo, exec_lo, s19
	s_cbranch_vccz .LBB47_2095
; %bb.2092:
	s_cmp_eq_u32 s13, 44
	s_cbranch_scc0 .LBB47_2094
; %bb.2093:
	global_load_u8 v1, v[4:5], off
	s_mov_b32 s16, 0
	s_mov_b32 s18, -1
	s_wait_loadcnt 0x0
	v_lshlrev_b32_e32 v3, 23, v1
	v_cmp_ne_u32_e32 vcc_lo, 0xff, v1
	s_delay_alu instid0(VALU_DEP_2) | instskip(SKIP_1) | instid1(VALU_DEP_2)
	v_cndmask_b32_e32 v3, 0x7f800001, v3, vcc_lo
	v_cmp_ne_u32_e32 vcc_lo, 0, v1
	v_cndmask_b32_e32 v1, 0x400000, v3, vcc_lo
	s_delay_alu instid0(VALU_DEP_1) | instskip(SKIP_1) | instid1(VALU_DEP_2)
	v_add_nc_u32_e32 v3, 0x7fff, v1
	v_cmp_o_f32_e32 vcc_lo, v1, v1
	v_lshrrev_b32_e32 v3, 16, v3
	s_delay_alu instid0(VALU_DEP_1)
	v_cndmask_b32_e32 v9, 0x7fc0, v3, vcc_lo
	s_branch .LBB47_2095
.LBB47_2094:
	s_mov_b32 s16, -1
                                        ; implicit-def: $vgpr9
.LBB47_2095:
	s_mov_b32 s19, 0
.LBB47_2096:
	s_delay_alu instid0(SALU_CYCLE_1)
	s_and_b32 vcc_lo, exec_lo, s19
	s_cbranch_vccz .LBB47_2100
; %bb.2097:
	s_cmp_eq_u32 s13, 29
	s_cbranch_scc0 .LBB47_2099
; %bb.2098:
	global_load_b64 v[10:11], v[4:5], off
	s_mov_b32 s16, 0
	s_mov_b32 s18, -1
	s_mov_b32 s19, 0
	s_wait_loadcnt 0x0
	v_clz_i32_u32_e32 v1, v11
	s_delay_alu instid0(VALU_DEP_1) | instskip(NEXT) | instid1(VALU_DEP_1)
	v_min_u32_e32 v1, 32, v1
	v_lshlrev_b64_e32 v[10:11], v1, v[10:11]
	v_sub_nc_u32_e32 v1, 32, v1
	s_delay_alu instid0(VALU_DEP_2) | instskip(NEXT) | instid1(VALU_DEP_1)
	v_min_u32_e32 v3, 1, v10
	v_or_b32_e32 v3, v11, v3
	s_delay_alu instid0(VALU_DEP_1) | instskip(NEXT) | instid1(VALU_DEP_1)
	v_cvt_f32_u32_e32 v3, v3
	v_ldexp_f32 v1, v3, v1
	s_delay_alu instid0(VALU_DEP_1) | instskip(NEXT) | instid1(VALU_DEP_1)
	v_bfe_u32 v3, v1, 16, 1
	v_add3_u32 v1, v1, v3, 0x7fff
	s_delay_alu instid0(VALU_DEP_1)
	v_lshrrev_b32_e32 v9, 16, v1
	s_branch .LBB47_2101
.LBB47_2099:
	s_mov_b32 s16, -1
                                        ; implicit-def: $vgpr9
.LBB47_2100:
	s_mov_b32 s19, 0
.LBB47_2101:
	s_delay_alu instid0(SALU_CYCLE_1)
	s_and_b32 vcc_lo, exec_lo, s19
	s_cbranch_vccz .LBB47_2119
; %bb.2102:
	s_cmp_lt_i32 s13, 27
	s_cbranch_scc1 .LBB47_2105
; %bb.2103:
	s_cmp_gt_i32 s13, 27
	s_cbranch_scc0 .LBB47_2106
; %bb.2104:
	global_load_b32 v1, v[4:5], off
	s_mov_b32 s18, 0
	s_wait_loadcnt 0x0
	v_cvt_f32_u32_e32 v1, v1
	s_delay_alu instid0(VALU_DEP_1) | instskip(NEXT) | instid1(VALU_DEP_1)
	v_bfe_u32 v3, v1, 16, 1
	v_add3_u32 v1, v1, v3, 0x7fff
	s_delay_alu instid0(VALU_DEP_1)
	v_lshrrev_b32_e32 v9, 16, v1
	s_branch .LBB47_2107
.LBB47_2105:
	s_mov_b32 s18, -1
                                        ; implicit-def: $vgpr9
	s_branch .LBB47_2110
.LBB47_2106:
	s_mov_b32 s18, -1
                                        ; implicit-def: $vgpr9
.LBB47_2107:
	s_delay_alu instid0(SALU_CYCLE_1)
	s_and_not1_b32 vcc_lo, exec_lo, s18
	s_cbranch_vccnz .LBB47_2109
; %bb.2108:
	global_load_u16 v1, v[4:5], off
	s_wait_loadcnt 0x0
	v_cvt_f32_u32_e32 v1, v1
	s_delay_alu instid0(VALU_DEP_1) | instskip(NEXT) | instid1(VALU_DEP_1)
	v_bfe_u32 v3, v1, 16, 1
	v_add3_u32 v1, v1, v3, 0x7fff
	s_delay_alu instid0(VALU_DEP_1)
	v_lshrrev_b32_e32 v9, 16, v1
.LBB47_2109:
	s_mov_b32 s18, 0
.LBB47_2110:
	s_delay_alu instid0(SALU_CYCLE_1)
	s_and_not1_b32 vcc_lo, exec_lo, s18
	s_cbranch_vccnz .LBB47_2118
; %bb.2111:
	global_load_u8 v1, v[4:5], off
	s_mov_b32 s18, 0
	s_mov_b32 s19, exec_lo
	s_wait_loadcnt 0x0
	v_cmpx_lt_i16_e32 0x7f, v1
	s_xor_b32 s19, exec_lo, s19
	s_cbranch_execz .LBB47_2132
; %bb.2112:
	s_mov_b32 s18, -1
	s_mov_b32 s20, exec_lo
	v_cmpx_eq_u16_e32 0x80, v1
; %bb.2113:
	s_xor_b32 s18, exec_lo, -1
; %bb.2114:
	s_or_b32 exec_lo, exec_lo, s20
	s_delay_alu instid0(SALU_CYCLE_1)
	s_and_b32 s18, s18, exec_lo
	s_or_saveexec_b32 s19, s19
	v_mov_b32_e32 v3, 0x7f800001
	s_xor_b32 exec_lo, exec_lo, s19
	s_cbranch_execnz .LBB47_2133
.LBB47_2115:
	s_or_b32 exec_lo, exec_lo, s19
	s_and_saveexec_b32 s19, s18
	s_cbranch_execz .LBB47_2117
.LBB47_2116:
	v_and_b32_e32 v3, 0xffff, v1
	s_delay_alu instid0(VALU_DEP_1) | instskip(SKIP_1) | instid1(VALU_DEP_2)
	v_and_b32_e32 v9, 7, v3
	v_bfe_u32 v12, v3, 3, 4
	v_clz_i32_u32_e32 v10, v9
	s_delay_alu instid0(VALU_DEP_2) | instskip(NEXT) | instid1(VALU_DEP_2)
	v_cmp_eq_u32_e32 vcc_lo, 0, v12
	v_min_u32_e32 v10, 32, v10
	s_delay_alu instid0(VALU_DEP_1) | instskip(NEXT) | instid1(VALU_DEP_1)
	v_subrev_nc_u32_e32 v11, 28, v10
	v_dual_lshlrev_b32 v3, v11, v3 :: v_dual_sub_nc_u32 v10, 29, v10
	s_delay_alu instid0(VALU_DEP_1) | instskip(NEXT) | instid1(VALU_DEP_1)
	v_dual_lshlrev_b32 v1, 24, v1 :: v_dual_bitop2_b32 v3, 7, v3 bitop3:0x40
	v_dual_cndmask_b32 v10, v12, v10 :: v_dual_cndmask_b32 v3, v9, v3
	s_delay_alu instid0(VALU_DEP_2) | instskip(NEXT) | instid1(VALU_DEP_2)
	v_and_b32_e32 v1, 0x80000000, v1
	v_lshl_add_u32 v9, v10, 23, 0x3b800000
	s_delay_alu instid0(VALU_DEP_3) | instskip(NEXT) | instid1(VALU_DEP_1)
	v_lshlrev_b32_e32 v3, 20, v3
	v_or3_b32 v3, v1, v9, v3
.LBB47_2117:
	s_or_b32 exec_lo, exec_lo, s19
	s_delay_alu instid0(VALU_DEP_1) | instskip(SKIP_1) | instid1(VALU_DEP_2)
	v_bfe_u32 v1, v3, 16, 1
	v_cmp_o_f32_e32 vcc_lo, v3, v3
	v_add3_u32 v1, v3, v1, 0x7fff
	s_delay_alu instid0(VALU_DEP_1) | instskip(NEXT) | instid1(VALU_DEP_1)
	v_lshrrev_b32_e32 v1, 16, v1
	v_cndmask_b32_e32 v9, 0x7fc0, v1, vcc_lo
.LBB47_2118:
	s_mov_b32 s18, -1
.LBB47_2119:
	s_mov_b32 s19, 0
.LBB47_2120:
	s_delay_alu instid0(SALU_CYCLE_1)
	s_and_b32 vcc_lo, exec_lo, s19
	s_cbranch_vccz .LBB47_2153
; %bb.2121:
	s_cmp_gt_i32 s13, 22
	s_cbranch_scc0 .LBB47_2131
; %bb.2122:
	s_cmp_lt_i32 s13, 24
	s_cbranch_scc1 .LBB47_2134
; %bb.2123:
	s_cmp_gt_i32 s13, 24
	s_cbranch_scc0 .LBB47_2135
; %bb.2124:
	global_load_u8 v1, v[4:5], off
	s_mov_b32 s18, exec_lo
	s_wait_loadcnt 0x0
	v_cmpx_lt_i16_e32 0x7f, v1
	s_xor_b32 s18, exec_lo, s18
	s_cbranch_execz .LBB47_2147
; %bb.2125:
	s_mov_b32 s17, -1
	s_mov_b32 s19, exec_lo
	v_cmpx_eq_u16_e32 0x80, v1
; %bb.2126:
	s_xor_b32 s17, exec_lo, -1
; %bb.2127:
	s_or_b32 exec_lo, exec_lo, s19
	s_delay_alu instid0(SALU_CYCLE_1)
	s_and_b32 s17, s17, exec_lo
	s_or_saveexec_b32 s18, s18
	v_mov_b32_e32 v3, 0x7f800001
	s_xor_b32 exec_lo, exec_lo, s18
	s_cbranch_execnz .LBB47_2148
.LBB47_2128:
	s_or_b32 exec_lo, exec_lo, s18
	s_and_saveexec_b32 s18, s17
	s_cbranch_execz .LBB47_2130
.LBB47_2129:
	v_and_b32_e32 v3, 0xffff, v1
	s_delay_alu instid0(VALU_DEP_1) | instskip(SKIP_1) | instid1(VALU_DEP_2)
	v_and_b32_e32 v9, 3, v3
	v_bfe_u32 v12, v3, 2, 5
	v_clz_i32_u32_e32 v10, v9
	s_delay_alu instid0(VALU_DEP_2) | instskip(NEXT) | instid1(VALU_DEP_2)
	v_cmp_eq_u32_e32 vcc_lo, 0, v12
	v_min_u32_e32 v10, 32, v10
	s_delay_alu instid0(VALU_DEP_1) | instskip(NEXT) | instid1(VALU_DEP_1)
	v_subrev_nc_u32_e32 v11, 29, v10
	v_dual_lshlrev_b32 v3, v11, v3 :: v_dual_sub_nc_u32 v10, 30, v10
	s_delay_alu instid0(VALU_DEP_1) | instskip(NEXT) | instid1(VALU_DEP_1)
	v_dual_lshlrev_b32 v1, 24, v1 :: v_dual_bitop2_b32 v3, 3, v3 bitop3:0x40
	v_dual_cndmask_b32 v10, v12, v10 :: v_dual_cndmask_b32 v3, v9, v3
	s_delay_alu instid0(VALU_DEP_2) | instskip(NEXT) | instid1(VALU_DEP_2)
	v_and_b32_e32 v1, 0x80000000, v1
	v_lshl_add_u32 v9, v10, 23, 0x37800000
	s_delay_alu instid0(VALU_DEP_3) | instskip(NEXT) | instid1(VALU_DEP_1)
	v_lshlrev_b32_e32 v3, 21, v3
	v_or3_b32 v3, v1, v9, v3
.LBB47_2130:
	s_or_b32 exec_lo, exec_lo, s18
	s_delay_alu instid0(VALU_DEP_1) | instskip(SKIP_2) | instid1(VALU_DEP_2)
	v_bfe_u32 v1, v3, 16, 1
	v_cmp_o_f32_e32 vcc_lo, v3, v3
	s_mov_b32 s17, 0
	v_add3_u32 v1, v3, v1, 0x7fff
	s_delay_alu instid0(VALU_DEP_1) | instskip(NEXT) | instid1(VALU_DEP_1)
	v_lshrrev_b32_e32 v1, 16, v1
	v_cndmask_b32_e32 v9, 0x7fc0, v1, vcc_lo
	s_branch .LBB47_2136
.LBB47_2131:
	s_mov_b32 s17, -1
                                        ; implicit-def: $vgpr9
	s_branch .LBB47_2142
.LBB47_2132:
	s_or_saveexec_b32 s19, s19
	v_mov_b32_e32 v3, 0x7f800001
	s_xor_b32 exec_lo, exec_lo, s19
	s_cbranch_execz .LBB47_2115
.LBB47_2133:
	v_cmp_ne_u16_e32 vcc_lo, 0, v1
	v_mov_b32_e32 v3, 0
	s_and_not1_b32 s18, s18, exec_lo
	s_and_b32 s20, vcc_lo, exec_lo
	s_delay_alu instid0(SALU_CYCLE_1)
	s_or_b32 s18, s18, s20
	s_or_b32 exec_lo, exec_lo, s19
	s_and_saveexec_b32 s19, s18
	s_cbranch_execnz .LBB47_2116
	s_branch .LBB47_2117
.LBB47_2134:
	s_mov_b32 s17, -1
                                        ; implicit-def: $vgpr9
	s_branch .LBB47_2139
.LBB47_2135:
	s_mov_b32 s17, -1
                                        ; implicit-def: $vgpr9
.LBB47_2136:
	s_delay_alu instid0(SALU_CYCLE_1)
	s_and_b32 vcc_lo, exec_lo, s17
	s_cbranch_vccz .LBB47_2138
; %bb.2137:
	global_load_u8 v1, v[4:5], off
	s_wait_loadcnt 0x0
	v_lshlrev_b32_e32 v1, 24, v1
	s_delay_alu instid0(VALU_DEP_1) | instskip(NEXT) | instid1(VALU_DEP_1)
	v_and_b32_e32 v3, 0x7f000000, v1
	v_clz_i32_u32_e32 v9, v3
	v_add_nc_u32_e32 v11, 0x1000000, v3
	v_cmp_ne_u32_e32 vcc_lo, 0, v3
	s_delay_alu instid0(VALU_DEP_3) | instskip(NEXT) | instid1(VALU_DEP_1)
	v_min_u32_e32 v9, 32, v9
	v_sub_nc_u32_e64 v9, v9, 4 clamp
	s_delay_alu instid0(VALU_DEP_1) | instskip(NEXT) | instid1(VALU_DEP_1)
	v_dual_lshlrev_b32 v10, v9, v3 :: v_dual_lshlrev_b32 v9, 23, v9
	v_lshrrev_b32_e32 v10, 4, v10
	s_delay_alu instid0(VALU_DEP_1) | instskip(NEXT) | instid1(VALU_DEP_1)
	v_dual_sub_nc_u32 v9, v10, v9 :: v_dual_ashrrev_i32 v10, 8, v11
	v_add_nc_u32_e32 v9, 0x3c000000, v9
	s_delay_alu instid0(VALU_DEP_1) | instskip(NEXT) | instid1(VALU_DEP_1)
	v_and_or_b32 v9, 0x7f800000, v10, v9
	v_cndmask_b32_e32 v3, 0, v9, vcc_lo
	s_delay_alu instid0(VALU_DEP_1) | instskip(SKIP_1) | instid1(VALU_DEP_2)
	v_and_or_b32 v1, 0x80000000, v1, v3
	v_bfe_u32 v3, v3, 16, 1
	v_cmp_o_f32_e32 vcc_lo, v1, v1
	s_delay_alu instid0(VALU_DEP_2) | instskip(NEXT) | instid1(VALU_DEP_1)
	v_add3_u32 v3, v1, v3, 0x7fff
	v_lshrrev_b32_e32 v3, 16, v3
	s_delay_alu instid0(VALU_DEP_1)
	v_cndmask_b32_e32 v9, 0x7fc0, v3, vcc_lo
.LBB47_2138:
	s_mov_b32 s17, 0
.LBB47_2139:
	s_delay_alu instid0(SALU_CYCLE_1)
	s_and_not1_b32 vcc_lo, exec_lo, s17
	s_cbranch_vccnz .LBB47_2141
; %bb.2140:
	global_load_u8 v1, v[4:5], off
	s_wait_loadcnt 0x0
	v_lshlrev_b32_e32 v3, 25, v1
	v_lshlrev_b16 v1, 8, v1
	s_delay_alu instid0(VALU_DEP_1) | instskip(SKIP_1) | instid1(VALU_DEP_2)
	v_and_or_b32 v10, 0x7f00, v1, 0.5
	v_bfe_i32 v1, v1, 0, 16
	v_dual_add_f32 v10, -0.5, v10 :: v_dual_lshrrev_b32 v9, 4, v3
	v_cmp_gt_u32_e32 vcc_lo, 0x8000000, v3
	s_delay_alu instid0(VALU_DEP_2) | instskip(NEXT) | instid1(VALU_DEP_1)
	v_or_b32_e32 v9, 0x70000000, v9
	v_mul_f32_e32 v9, 0x7800000, v9
	s_delay_alu instid0(VALU_DEP_1) | instskip(NEXT) | instid1(VALU_DEP_1)
	v_cndmask_b32_e32 v3, v9, v10, vcc_lo
	v_and_or_b32 v1, 0x80000000, v1, v3
	v_bfe_u32 v3, v3, 16, 1
	s_delay_alu instid0(VALU_DEP_2) | instskip(NEXT) | instid1(VALU_DEP_2)
	v_cmp_o_f32_e32 vcc_lo, v1, v1
	v_add3_u32 v3, v1, v3, 0x7fff
	s_delay_alu instid0(VALU_DEP_1) | instskip(NEXT) | instid1(VALU_DEP_1)
	v_lshrrev_b32_e32 v3, 16, v3
	v_cndmask_b32_e32 v9, 0x7fc0, v3, vcc_lo
.LBB47_2141:
	s_mov_b32 s17, 0
	s_mov_b32 s18, -1
.LBB47_2142:
	s_and_not1_b32 vcc_lo, exec_lo, s17
	s_mov_b32 s17, 0
	s_cbranch_vccnz .LBB47_2153
; %bb.2143:
	s_cmp_gt_i32 s13, 14
	s_cbranch_scc0 .LBB47_2146
; %bb.2144:
	s_cmp_eq_u32 s13, 15
	s_cbranch_scc0 .LBB47_2149
; %bb.2145:
	s_wait_loadcnt 0x0
	global_load_u16 v9, v[4:5], off
	s_mov_b32 s16, 0
	s_mov_b32 s18, -1
	s_branch .LBB47_2151
.LBB47_2146:
	s_mov_b32 s17, -1
	s_branch .LBB47_2150
.LBB47_2147:
	s_or_saveexec_b32 s18, s18
	v_mov_b32_e32 v3, 0x7f800001
	s_xor_b32 exec_lo, exec_lo, s18
	s_cbranch_execz .LBB47_2128
.LBB47_2148:
	v_cmp_ne_u16_e32 vcc_lo, 0, v1
	v_mov_b32_e32 v3, 0
	s_and_not1_b32 s17, s17, exec_lo
	s_and_b32 s19, vcc_lo, exec_lo
	s_delay_alu instid0(SALU_CYCLE_1)
	s_or_b32 s17, s17, s19
	s_or_b32 exec_lo, exec_lo, s18
	s_and_saveexec_b32 s18, s17
	s_cbranch_execnz .LBB47_2129
	s_branch .LBB47_2130
.LBB47_2149:
	s_mov_b32 s16, -1
.LBB47_2150:
                                        ; implicit-def: $vgpr9
.LBB47_2151:
	s_and_b32 vcc_lo, exec_lo, s17
	s_mov_b32 s17, 0
	s_cbranch_vccz .LBB47_2153
; %bb.2152:
	s_cmp_lg_u32 s13, 11
	s_mov_b32 s17, -1
	s_cselect_b32 s16, -1, 0
.LBB47_2153:
	s_delay_alu instid0(SALU_CYCLE_1)
	s_and_b32 vcc_lo, exec_lo, s16
	s_cbranch_vccnz .LBB47_2218
; %bb.2154:
	s_and_not1_b32 vcc_lo, exec_lo, s17
	s_cbranch_vccnz .LBB47_2156
.LBB47_2155:
	global_load_u8 v1, v[4:5], off
	s_mov_b32 s18, -1
	s_wait_loadcnt 0x0
	v_cmp_ne_u16_e32 vcc_lo, 0, v1
	v_cndmask_b32_e64 v1, 0, 1.0, vcc_lo
	s_delay_alu instid0(VALU_DEP_1)
	v_lshrrev_b32_e32 v9, 16, v1
.LBB47_2156:
	s_mov_b32 s13, 0
.LBB47_2157:
	s_delay_alu instid0(SALU_CYCLE_1)
	s_and_b32 vcc_lo, exec_lo, s13
	s_cbranch_vccz .LBB47_2206
; %bb.2158:
	s_and_b32 s13, 0xffff, s0
	s_delay_alu instid0(SALU_CYCLE_1)
	s_cmp_lt_i32 s13, 5
	s_cbranch_scc1 .LBB47_2163
; %bb.2159:
	s_cmp_lt_i32 s13, 8
	s_cbranch_scc1 .LBB47_2164
; %bb.2160:
	;; [unrolled: 3-line block ×3, first 2 shown]
	s_cmp_gt_i32 s13, 9
	s_cbranch_scc0 .LBB47_2166
; %bb.2162:
	global_load_b64 v[10:11], v[4:5], off
	s_mov_b32 s16, 0
	s_wait_loadcnt 0x0
	v_cvt_f32_f64_e32 v1, v[10:11]
	s_delay_alu instid0(VALU_DEP_1) | instskip(SKIP_1) | instid1(VALU_DEP_2)
	v_bfe_u32 v3, v1, 16, 1
	v_cmp_o_f32_e32 vcc_lo, v1, v1
	v_add3_u32 v3, v1, v3, 0x7fff
	s_delay_alu instid0(VALU_DEP_1) | instskip(NEXT) | instid1(VALU_DEP_1)
	v_lshrrev_b32_e32 v3, 16, v3
	v_cndmask_b32_e32 v9, 0x7fc0, v3, vcc_lo
	s_branch .LBB47_2167
.LBB47_2163:
	s_mov_b32 s16, -1
                                        ; implicit-def: $vgpr9
	s_branch .LBB47_2185
.LBB47_2164:
	s_mov_b32 s16, -1
                                        ; implicit-def: $vgpr9
	s_branch .LBB47_2173
.LBB47_2165:
	s_mov_b32 s16, -1
                                        ; implicit-def: $vgpr9
	s_branch .LBB47_2170
.LBB47_2166:
	s_mov_b32 s16, -1
                                        ; implicit-def: $vgpr9
.LBB47_2167:
	s_delay_alu instid0(SALU_CYCLE_1)
	s_and_not1_b32 vcc_lo, exec_lo, s16
	s_cbranch_vccnz .LBB47_2169
; %bb.2168:
	global_load_b32 v1, v[4:5], off
	s_wait_loadcnt 0x0
	v_bfe_u32 v3, v1, 16, 1
	v_cmp_o_f32_e32 vcc_lo, v1, v1
	s_delay_alu instid0(VALU_DEP_2) | instskip(NEXT) | instid1(VALU_DEP_1)
	v_add3_u32 v3, v1, v3, 0x7fff
	v_lshrrev_b32_e32 v3, 16, v3
	s_delay_alu instid0(VALU_DEP_1)
	v_cndmask_b32_e32 v9, 0x7fc0, v3, vcc_lo
.LBB47_2169:
	s_mov_b32 s16, 0
.LBB47_2170:
	s_delay_alu instid0(SALU_CYCLE_1)
	s_and_not1_b32 vcc_lo, exec_lo, s16
	s_cbranch_vccnz .LBB47_2172
; %bb.2171:
	global_load_b32 v1, v[4:5], off
	s_wait_loadcnt 0x0
	v_cvt_f32_f16_e32 v3, v1
	v_cmp_o_f16_e32 vcc_lo, v1, v1
	s_delay_alu instid0(VALU_DEP_2) | instskip(NEXT) | instid1(VALU_DEP_1)
	v_bfe_u32 v9, v3, 16, 1
	v_add3_u32 v3, v3, v9, 0x7fff
	s_delay_alu instid0(VALU_DEP_1) | instskip(NEXT) | instid1(VALU_DEP_1)
	v_lshrrev_b32_e32 v3, 16, v3
	v_cndmask_b32_e32 v9, 0x7fc0, v3, vcc_lo
.LBB47_2172:
	s_mov_b32 s16, 0
.LBB47_2173:
	s_delay_alu instid0(SALU_CYCLE_1)
	s_and_not1_b32 vcc_lo, exec_lo, s16
	s_cbranch_vccnz .LBB47_2184
; %bb.2174:
	s_cmp_lt_i32 s13, 6
	s_cbranch_scc1 .LBB47_2177
; %bb.2175:
	s_cmp_gt_i32 s13, 6
	s_cbranch_scc0 .LBB47_2178
; %bb.2176:
	global_load_b64 v[10:11], v[4:5], off
	s_mov_b32 s16, 0
	s_wait_loadcnt 0x0
	v_cvt_f32_f64_e32 v1, v[10:11]
	s_delay_alu instid0(VALU_DEP_1) | instskip(SKIP_1) | instid1(VALU_DEP_2)
	v_bfe_u32 v3, v1, 16, 1
	v_cmp_o_f32_e32 vcc_lo, v1, v1
	v_add3_u32 v3, v1, v3, 0x7fff
	s_delay_alu instid0(VALU_DEP_1) | instskip(NEXT) | instid1(VALU_DEP_1)
	v_lshrrev_b32_e32 v3, 16, v3
	v_cndmask_b32_e32 v9, 0x7fc0, v3, vcc_lo
	s_branch .LBB47_2179
.LBB47_2177:
	s_mov_b32 s16, -1
                                        ; implicit-def: $vgpr9
	s_branch .LBB47_2182
.LBB47_2178:
	s_mov_b32 s16, -1
                                        ; implicit-def: $vgpr9
.LBB47_2179:
	s_delay_alu instid0(SALU_CYCLE_1)
	s_and_not1_b32 vcc_lo, exec_lo, s16
	s_cbranch_vccnz .LBB47_2181
; %bb.2180:
	global_load_b32 v1, v[4:5], off
	s_wait_loadcnt 0x0
	v_bfe_u32 v3, v1, 16, 1
	v_cmp_o_f32_e32 vcc_lo, v1, v1
	s_delay_alu instid0(VALU_DEP_2) | instskip(NEXT) | instid1(VALU_DEP_1)
	v_add3_u32 v3, v1, v3, 0x7fff
	v_lshrrev_b32_e32 v3, 16, v3
	s_delay_alu instid0(VALU_DEP_1)
	v_cndmask_b32_e32 v9, 0x7fc0, v3, vcc_lo
.LBB47_2181:
	s_mov_b32 s16, 0
.LBB47_2182:
	s_delay_alu instid0(SALU_CYCLE_1)
	s_and_not1_b32 vcc_lo, exec_lo, s16
	s_cbranch_vccnz .LBB47_2184
; %bb.2183:
	global_load_u16 v1, v[4:5], off
	s_wait_loadcnt 0x0
	v_cvt_f32_f16_e32 v3, v1
	v_cmp_o_f16_e32 vcc_lo, v1, v1
	s_delay_alu instid0(VALU_DEP_2) | instskip(NEXT) | instid1(VALU_DEP_1)
	v_bfe_u32 v9, v3, 16, 1
	v_add3_u32 v3, v3, v9, 0x7fff
	s_delay_alu instid0(VALU_DEP_1) | instskip(NEXT) | instid1(VALU_DEP_1)
	v_lshrrev_b32_e32 v3, 16, v3
	v_cndmask_b32_e32 v9, 0x7fc0, v3, vcc_lo
.LBB47_2184:
	s_mov_b32 s16, 0
.LBB47_2185:
	s_delay_alu instid0(SALU_CYCLE_1)
	s_and_not1_b32 vcc_lo, exec_lo, s16
	s_cbranch_vccnz .LBB47_2205
; %bb.2186:
	s_cmp_lt_i32 s13, 2
	s_cbranch_scc1 .LBB47_2190
; %bb.2187:
	s_cmp_lt_i32 s13, 3
	s_cbranch_scc1 .LBB47_2191
; %bb.2188:
	s_cmp_gt_i32 s13, 3
	s_cbranch_scc0 .LBB47_2192
; %bb.2189:
	global_load_b64 v[10:11], v[4:5], off
	s_mov_b32 s16, 0
	s_wait_loadcnt 0x0
	v_xor_b32_e32 v1, v10, v11
	v_cls_i32_e32 v3, v11
	s_delay_alu instid0(VALU_DEP_2) | instskip(NEXT) | instid1(VALU_DEP_1)
	v_ashrrev_i32_e32 v1, 31, v1
	v_add_nc_u32_e32 v1, 32, v1
	s_delay_alu instid0(VALU_DEP_1) | instskip(NEXT) | instid1(VALU_DEP_1)
	v_add_min_u32_e64 v1, v3, -1, v1
	v_lshlrev_b64_e32 v[10:11], v1, v[10:11]
	v_sub_nc_u32_e32 v1, 32, v1
	s_delay_alu instid0(VALU_DEP_2) | instskip(NEXT) | instid1(VALU_DEP_1)
	v_min_u32_e32 v3, 1, v10
	v_or_b32_e32 v3, v11, v3
	s_delay_alu instid0(VALU_DEP_1) | instskip(NEXT) | instid1(VALU_DEP_1)
	v_cvt_f32_i32_e32 v3, v3
	v_ldexp_f32 v1, v3, v1
	s_delay_alu instid0(VALU_DEP_1) | instskip(NEXT) | instid1(VALU_DEP_1)
	v_bfe_u32 v3, v1, 16, 1
	v_add3_u32 v1, v1, v3, 0x7fff
	s_delay_alu instid0(VALU_DEP_1)
	v_lshrrev_b32_e32 v9, 16, v1
	s_branch .LBB47_2193
.LBB47_2190:
	s_mov_b32 s16, -1
                                        ; implicit-def: $vgpr9
	s_branch .LBB47_2199
.LBB47_2191:
	s_mov_b32 s16, -1
                                        ; implicit-def: $vgpr9
	s_branch .LBB47_2196
.LBB47_2192:
	s_mov_b32 s16, -1
                                        ; implicit-def: $vgpr9
.LBB47_2193:
	s_delay_alu instid0(SALU_CYCLE_1)
	s_and_not1_b32 vcc_lo, exec_lo, s16
	s_cbranch_vccnz .LBB47_2195
; %bb.2194:
	global_load_b32 v1, v[4:5], off
	s_wait_loadcnt 0x0
	v_cvt_f32_i32_e32 v1, v1
	s_delay_alu instid0(VALU_DEP_1) | instskip(NEXT) | instid1(VALU_DEP_1)
	v_bfe_u32 v3, v1, 16, 1
	v_add3_u32 v1, v1, v3, 0x7fff
	s_delay_alu instid0(VALU_DEP_1)
	v_lshrrev_b32_e32 v9, 16, v1
.LBB47_2195:
	s_mov_b32 s16, 0
.LBB47_2196:
	s_delay_alu instid0(SALU_CYCLE_1)
	s_and_not1_b32 vcc_lo, exec_lo, s16
	s_cbranch_vccnz .LBB47_2198
; %bb.2197:
	global_load_i16 v1, v[4:5], off
	s_wait_loadcnt 0x0
	v_cvt_f32_i32_e32 v1, v1
	s_delay_alu instid0(VALU_DEP_1) | instskip(NEXT) | instid1(VALU_DEP_1)
	v_bfe_u32 v3, v1, 16, 1
	v_add3_u32 v1, v1, v3, 0x7fff
	s_delay_alu instid0(VALU_DEP_1)
	v_lshrrev_b32_e32 v9, 16, v1
.LBB47_2198:
	s_mov_b32 s16, 0
.LBB47_2199:
	s_delay_alu instid0(SALU_CYCLE_1)
	s_and_not1_b32 vcc_lo, exec_lo, s16
	s_cbranch_vccnz .LBB47_2205
; %bb.2200:
	s_cmp_gt_i32 s13, 0
	s_mov_b32 s13, 0
	s_cbranch_scc0 .LBB47_2202
; %bb.2201:
	global_load_i8 v1, v[4:5], off
	s_wait_loadcnt 0x0
	v_cvt_f32_i32_e32 v1, v1
	s_delay_alu instid0(VALU_DEP_1) | instskip(NEXT) | instid1(VALU_DEP_1)
	v_bfe_u32 v3, v1, 16, 1
	v_add3_u32 v1, v1, v3, 0x7fff
	s_delay_alu instid0(VALU_DEP_1)
	v_lshrrev_b32_e32 v9, 16, v1
	s_branch .LBB47_2203
.LBB47_2202:
	s_mov_b32 s13, -1
                                        ; implicit-def: $vgpr9
.LBB47_2203:
	s_delay_alu instid0(SALU_CYCLE_1)
	s_and_not1_b32 vcc_lo, exec_lo, s13
	s_cbranch_vccnz .LBB47_2205
; %bb.2204:
	global_load_u8 v1, v[4:5], off
	s_wait_loadcnt 0x0
	v_cvt_f32_ubyte0_e32 v1, v1
	s_delay_alu instid0(VALU_DEP_1) | instskip(NEXT) | instid1(VALU_DEP_1)
	v_bfe_u32 v3, v1, 16, 1
	v_add3_u32 v1, v1, v3, 0x7fff
	s_delay_alu instid0(VALU_DEP_1)
	v_lshrrev_b32_e32 v9, 16, v1
.LBB47_2205:
	s_mov_b32 s18, -1
.LBB47_2206:
	s_delay_alu instid0(SALU_CYCLE_1)
	s_and_not1_b32 vcc_lo, exec_lo, s18
	s_cbranch_vccnz .LBB47_2684
; %bb.2207:
	v_add_nc_u32_e32 v2, s10, v2
	s_cmp_lt_i32 s1, 11
	s_delay_alu instid0(VALU_DEP_1) | instskip(SKIP_1) | instid1(VALU_DEP_1)
	v_ashrrev_i32_e32 v3, 31, v2
	s_wait_xcnt 0x0
	v_add_nc_u64_e32 v[4:5], s[2:3], v[2:3]
	s_cbranch_scc1 .LBB47_2214
; %bb.2208:
	s_and_b32 s13, 0xffff, s1
	s_mov_b32 s17, 0
	s_cmp_gt_i32 s13, 25
	s_cbranch_scc0 .LBB47_2215
; %bb.2209:
	s_cmp_gt_i32 s13, 28
	s_cbranch_scc0 .LBB47_2216
; %bb.2210:
	;; [unrolled: 3-line block ×4, first 2 shown]
	s_cmp_eq_u32 s13, 46
	s_mov_b32 s19, 0
	s_cbranch_scc0 .LBB47_2222
; %bb.2213:
	global_load_b32 v1, v[4:5], off
	s_mov_b32 s16, 0
	s_mov_b32 s18, -1
	s_branch .LBB47_2224
.LBB47_2214:
	s_mov_b32 s13, -1
	s_mov_b32 s18, 0
                                        ; implicit-def: $vgpr1
	s_branch .LBB47_2290
.LBB47_2215:
	s_mov_b32 s19, -1
	s_mov_b32 s18, 0
	s_mov_b32 s16, 0
                                        ; implicit-def: $vgpr1
	s_branch .LBB47_2253
.LBB47_2216:
	s_mov_b32 s19, -1
	s_mov_b32 s18, 0
	s_mov_b32 s16, 0
                                        ; implicit-def: $vgpr1
	s_branch .LBB47_2234
.LBB47_2217:
	s_mov_b32 s19, -1
	s_mov_b32 s18, 0
	s_mov_b32 s16, 0
                                        ; implicit-def: $vgpr1
	s_branch .LBB47_2229
.LBB47_2218:
	s_or_b32 s12, s12, exec_lo
	s_trap 2
	s_cbranch_execz .LBB47_2155
	s_branch .LBB47_2156
.LBB47_2219:
	s_mov_b32 s19, -1
	s_mov_b32 s18, 0
	s_mov_b32 s16, 0
	s_branch .LBB47_2223
.LBB47_2220:
	s_and_not1_saveexec_b32 s31, s31
	s_cbranch_execz .LBB47_1093
.LBB47_2221:
	v_add_f32_e64 v4, 0x42800000, |v5|
	s_and_not1_b32 s30, s30, exec_lo
	s_delay_alu instid0(VALU_DEP_1) | instskip(NEXT) | instid1(VALU_DEP_1)
	v_and_b32_e32 v4, 0xff, v4
	v_cmp_ne_u32_e32 vcc_lo, 0, v4
	s_and_b32 s33, vcc_lo, exec_lo
	s_delay_alu instid0(SALU_CYCLE_1)
	s_or_b32 s30, s30, s33
	s_or_b32 exec_lo, exec_lo, s31
	v_mov_b32_e32 v7, 0
	s_and_saveexec_b32 s31, s30
	s_cbranch_execnz .LBB47_1094
	s_branch .LBB47_1095
.LBB47_2222:
	s_mov_b32 s16, -1
	s_mov_b32 s18, 0
.LBB47_2223:
                                        ; implicit-def: $vgpr1
.LBB47_2224:
	s_and_b32 vcc_lo, exec_lo, s19
	s_cbranch_vccz .LBB47_2228
; %bb.2225:
	s_cmp_eq_u32 s13, 44
	s_cbranch_scc0 .LBB47_2227
; %bb.2226:
	s_wait_loadcnt 0x0
	global_load_u8 v1, v[4:5], off
	s_mov_b32 s16, 0
	s_mov_b32 s18, -1
	s_wait_loadcnt 0x0
	v_lshlrev_b32_e32 v3, 23, v1
	v_cmp_ne_u32_e32 vcc_lo, 0xff, v1
	s_delay_alu instid0(VALU_DEP_2) | instskip(SKIP_1) | instid1(VALU_DEP_2)
	v_cndmask_b32_e32 v3, 0x7f800001, v3, vcc_lo
	v_cmp_ne_u32_e32 vcc_lo, 0, v1
	v_cndmask_b32_e32 v1, 0x400000, v3, vcc_lo
	s_delay_alu instid0(VALU_DEP_1) | instskip(SKIP_1) | instid1(VALU_DEP_2)
	v_add_nc_u32_e32 v3, 0x7fff, v1
	v_cmp_o_f32_e32 vcc_lo, v1, v1
	v_lshrrev_b32_e32 v3, 16, v3
	s_delay_alu instid0(VALU_DEP_1)
	v_cndmask_b32_e32 v1, 0x7fc0, v3, vcc_lo
	s_branch .LBB47_2228
.LBB47_2227:
	s_mov_b32 s16, -1
                                        ; implicit-def: $vgpr1
.LBB47_2228:
	s_mov_b32 s19, 0
.LBB47_2229:
	s_delay_alu instid0(SALU_CYCLE_1)
	s_and_b32 vcc_lo, exec_lo, s19
	s_cbranch_vccz .LBB47_2233
; %bb.2230:
	s_cmp_eq_u32 s13, 29
	s_cbranch_scc0 .LBB47_2232
; %bb.2231:
	global_load_b64 v[10:11], v[4:5], off
	s_mov_b32 s16, 0
	s_mov_b32 s18, -1
	s_mov_b32 s19, 0
	s_wait_loadcnt 0x0
	v_clz_i32_u32_e32 v1, v11
	s_delay_alu instid0(VALU_DEP_1) | instskip(NEXT) | instid1(VALU_DEP_1)
	v_min_u32_e32 v1, 32, v1
	v_lshlrev_b64_e32 v[10:11], v1, v[10:11]
	v_sub_nc_u32_e32 v1, 32, v1
	s_delay_alu instid0(VALU_DEP_2) | instskip(NEXT) | instid1(VALU_DEP_1)
	v_min_u32_e32 v3, 1, v10
	v_or_b32_e32 v3, v11, v3
	s_delay_alu instid0(VALU_DEP_1) | instskip(NEXT) | instid1(VALU_DEP_1)
	v_cvt_f32_u32_e32 v3, v3
	v_ldexp_f32 v1, v3, v1
	s_delay_alu instid0(VALU_DEP_1) | instskip(NEXT) | instid1(VALU_DEP_1)
	v_bfe_u32 v3, v1, 16, 1
	v_add3_u32 v1, v1, v3, 0x7fff
	s_delay_alu instid0(VALU_DEP_1)
	v_lshrrev_b32_e32 v1, 16, v1
	s_branch .LBB47_2234
.LBB47_2232:
	s_mov_b32 s16, -1
                                        ; implicit-def: $vgpr1
.LBB47_2233:
	s_mov_b32 s19, 0
.LBB47_2234:
	s_delay_alu instid0(SALU_CYCLE_1)
	s_and_b32 vcc_lo, exec_lo, s19
	s_cbranch_vccz .LBB47_2252
; %bb.2235:
	s_cmp_lt_i32 s13, 27
	s_cbranch_scc1 .LBB47_2238
; %bb.2236:
	s_cmp_gt_i32 s13, 27
	s_cbranch_scc0 .LBB47_2239
; %bb.2237:
	s_wait_loadcnt 0x0
	global_load_b32 v1, v[4:5], off
	s_mov_b32 s18, 0
	s_wait_loadcnt 0x0
	v_cvt_f32_u32_e32 v1, v1
	s_delay_alu instid0(VALU_DEP_1) | instskip(NEXT) | instid1(VALU_DEP_1)
	v_bfe_u32 v3, v1, 16, 1
	v_add3_u32 v1, v1, v3, 0x7fff
	s_delay_alu instid0(VALU_DEP_1)
	v_lshrrev_b32_e32 v1, 16, v1
	s_branch .LBB47_2240
.LBB47_2238:
	s_mov_b32 s18, -1
                                        ; implicit-def: $vgpr1
	s_branch .LBB47_2243
.LBB47_2239:
	s_mov_b32 s18, -1
                                        ; implicit-def: $vgpr1
.LBB47_2240:
	s_delay_alu instid0(SALU_CYCLE_1)
	s_and_not1_b32 vcc_lo, exec_lo, s18
	s_cbranch_vccnz .LBB47_2242
; %bb.2241:
	s_wait_loadcnt 0x0
	global_load_u16 v1, v[4:5], off
	s_wait_loadcnt 0x0
	v_cvt_f32_u32_e32 v1, v1
	s_delay_alu instid0(VALU_DEP_1) | instskip(NEXT) | instid1(VALU_DEP_1)
	v_bfe_u32 v3, v1, 16, 1
	v_add3_u32 v1, v1, v3, 0x7fff
	s_delay_alu instid0(VALU_DEP_1)
	v_lshrrev_b32_e32 v1, 16, v1
.LBB47_2242:
	s_mov_b32 s18, 0
.LBB47_2243:
	s_delay_alu instid0(SALU_CYCLE_1)
	s_and_not1_b32 vcc_lo, exec_lo, s18
	s_cbranch_vccnz .LBB47_2251
; %bb.2244:
	s_wait_loadcnt 0x0
	global_load_u8 v1, v[4:5], off
	s_mov_b32 s18, 0
	s_mov_b32 s19, exec_lo
	s_wait_loadcnt 0x0
	v_cmpx_lt_i16_e32 0x7f, v1
	s_xor_b32 s19, exec_lo, s19
	s_cbranch_execz .LBB47_2265
; %bb.2245:
	s_mov_b32 s18, -1
	s_mov_b32 s20, exec_lo
	v_cmpx_eq_u16_e32 0x80, v1
; %bb.2246:
	s_xor_b32 s18, exec_lo, -1
; %bb.2247:
	s_or_b32 exec_lo, exec_lo, s20
	s_delay_alu instid0(SALU_CYCLE_1)
	s_and_b32 s18, s18, exec_lo
	s_or_saveexec_b32 s19, s19
	v_mov_b32_e32 v3, 0x7f800001
	s_xor_b32 exec_lo, exec_lo, s19
	s_cbranch_execnz .LBB47_2266
.LBB47_2248:
	s_or_b32 exec_lo, exec_lo, s19
	s_and_saveexec_b32 s19, s18
	s_cbranch_execz .LBB47_2250
.LBB47_2249:
	v_and_b32_e32 v3, 0xffff, v1
	s_delay_alu instid0(VALU_DEP_1) | instskip(SKIP_1) | instid1(VALU_DEP_2)
	v_dual_lshlrev_b32 v1, 24, v1 :: v_dual_bitop2_b32 v10, 7, v3 bitop3:0x40
	v_bfe_u32 v13, v3, 3, 4
	v_and_b32_e32 v1, 0x80000000, v1
	s_delay_alu instid0(VALU_DEP_3) | instskip(NEXT) | instid1(VALU_DEP_3)
	v_clz_i32_u32_e32 v11, v10
	v_cmp_eq_u32_e32 vcc_lo, 0, v13
	s_delay_alu instid0(VALU_DEP_2) | instskip(NEXT) | instid1(VALU_DEP_1)
	v_min_u32_e32 v11, 32, v11
	v_subrev_nc_u32_e32 v12, 28, v11
	v_sub_nc_u32_e32 v11, 29, v11
	s_delay_alu instid0(VALU_DEP_2) | instskip(NEXT) | instid1(VALU_DEP_2)
	v_lshlrev_b32_e32 v3, v12, v3
	v_cndmask_b32_e32 v11, v13, v11, vcc_lo
	s_delay_alu instid0(VALU_DEP_2) | instskip(NEXT) | instid1(VALU_DEP_1)
	v_and_b32_e32 v3, 7, v3
	v_cndmask_b32_e32 v3, v10, v3, vcc_lo
	s_delay_alu instid0(VALU_DEP_3) | instskip(NEXT) | instid1(VALU_DEP_2)
	v_lshl_add_u32 v10, v11, 23, 0x3b800000
	v_lshlrev_b32_e32 v3, 20, v3
	s_delay_alu instid0(VALU_DEP_1)
	v_or3_b32 v3, v1, v10, v3
.LBB47_2250:
	s_or_b32 exec_lo, exec_lo, s19
	s_delay_alu instid0(VALU_DEP_1) | instskip(SKIP_1) | instid1(VALU_DEP_2)
	v_bfe_u32 v1, v3, 16, 1
	v_cmp_o_f32_e32 vcc_lo, v3, v3
	v_add3_u32 v1, v3, v1, 0x7fff
	s_delay_alu instid0(VALU_DEP_1) | instskip(NEXT) | instid1(VALU_DEP_1)
	v_lshrrev_b32_e32 v1, 16, v1
	v_cndmask_b32_e32 v1, 0x7fc0, v1, vcc_lo
.LBB47_2251:
	s_mov_b32 s18, -1
.LBB47_2252:
	s_mov_b32 s19, 0
.LBB47_2253:
	s_delay_alu instid0(SALU_CYCLE_1)
	s_and_b32 vcc_lo, exec_lo, s19
	s_cbranch_vccz .LBB47_2286
; %bb.2254:
	s_cmp_gt_i32 s13, 22
	s_cbranch_scc0 .LBB47_2264
; %bb.2255:
	s_cmp_lt_i32 s13, 24
	s_cbranch_scc1 .LBB47_2267
; %bb.2256:
	s_cmp_gt_i32 s13, 24
	s_cbranch_scc0 .LBB47_2268
; %bb.2257:
	s_wait_loadcnt 0x0
	global_load_u8 v1, v[4:5], off
	s_mov_b32 s18, exec_lo
	s_wait_loadcnt 0x0
	v_cmpx_lt_i16_e32 0x7f, v1
	s_xor_b32 s18, exec_lo, s18
	s_cbranch_execz .LBB47_2280
; %bb.2258:
	s_mov_b32 s17, -1
	s_mov_b32 s19, exec_lo
	v_cmpx_eq_u16_e32 0x80, v1
; %bb.2259:
	s_xor_b32 s17, exec_lo, -1
; %bb.2260:
	s_or_b32 exec_lo, exec_lo, s19
	s_delay_alu instid0(SALU_CYCLE_1)
	s_and_b32 s17, s17, exec_lo
	s_or_saveexec_b32 s18, s18
	v_mov_b32_e32 v3, 0x7f800001
	s_xor_b32 exec_lo, exec_lo, s18
	s_cbranch_execnz .LBB47_2281
.LBB47_2261:
	s_or_b32 exec_lo, exec_lo, s18
	s_and_saveexec_b32 s18, s17
	s_cbranch_execz .LBB47_2263
.LBB47_2262:
	v_and_b32_e32 v3, 0xffff, v1
	s_delay_alu instid0(VALU_DEP_1) | instskip(SKIP_1) | instid1(VALU_DEP_2)
	v_dual_lshlrev_b32 v1, 24, v1 :: v_dual_bitop2_b32 v10, 3, v3 bitop3:0x40
	v_bfe_u32 v13, v3, 2, 5
	v_and_b32_e32 v1, 0x80000000, v1
	s_delay_alu instid0(VALU_DEP_3) | instskip(NEXT) | instid1(VALU_DEP_3)
	v_clz_i32_u32_e32 v11, v10
	v_cmp_eq_u32_e32 vcc_lo, 0, v13
	s_delay_alu instid0(VALU_DEP_2) | instskip(NEXT) | instid1(VALU_DEP_1)
	v_min_u32_e32 v11, 32, v11
	v_subrev_nc_u32_e32 v12, 29, v11
	v_sub_nc_u32_e32 v11, 30, v11
	s_delay_alu instid0(VALU_DEP_2) | instskip(NEXT) | instid1(VALU_DEP_2)
	v_lshlrev_b32_e32 v3, v12, v3
	v_cndmask_b32_e32 v11, v13, v11, vcc_lo
	s_delay_alu instid0(VALU_DEP_2) | instskip(NEXT) | instid1(VALU_DEP_1)
	v_and_b32_e32 v3, 3, v3
	v_cndmask_b32_e32 v3, v10, v3, vcc_lo
	s_delay_alu instid0(VALU_DEP_3) | instskip(NEXT) | instid1(VALU_DEP_2)
	v_lshl_add_u32 v10, v11, 23, 0x37800000
	v_lshlrev_b32_e32 v3, 21, v3
	s_delay_alu instid0(VALU_DEP_1)
	v_or3_b32 v3, v1, v10, v3
.LBB47_2263:
	s_or_b32 exec_lo, exec_lo, s18
	s_delay_alu instid0(VALU_DEP_1) | instskip(SKIP_2) | instid1(VALU_DEP_2)
	v_bfe_u32 v1, v3, 16, 1
	v_cmp_o_f32_e32 vcc_lo, v3, v3
	s_mov_b32 s17, 0
	v_add3_u32 v1, v3, v1, 0x7fff
	s_delay_alu instid0(VALU_DEP_1) | instskip(NEXT) | instid1(VALU_DEP_1)
	v_lshrrev_b32_e32 v1, 16, v1
	v_cndmask_b32_e32 v1, 0x7fc0, v1, vcc_lo
	s_branch .LBB47_2269
.LBB47_2264:
	s_mov_b32 s17, -1
                                        ; implicit-def: $vgpr1
	s_branch .LBB47_2275
.LBB47_2265:
	s_or_saveexec_b32 s19, s19
	v_mov_b32_e32 v3, 0x7f800001
	s_xor_b32 exec_lo, exec_lo, s19
	s_cbranch_execz .LBB47_2248
.LBB47_2266:
	v_cmp_ne_u16_e32 vcc_lo, 0, v1
	v_mov_b32_e32 v3, 0
	s_and_not1_b32 s18, s18, exec_lo
	s_and_b32 s20, vcc_lo, exec_lo
	s_delay_alu instid0(SALU_CYCLE_1)
	s_or_b32 s18, s18, s20
	s_or_b32 exec_lo, exec_lo, s19
	s_and_saveexec_b32 s19, s18
	s_cbranch_execnz .LBB47_2249
	s_branch .LBB47_2250
.LBB47_2267:
	s_mov_b32 s17, -1
                                        ; implicit-def: $vgpr1
	s_branch .LBB47_2272
.LBB47_2268:
	s_mov_b32 s17, -1
                                        ; implicit-def: $vgpr1
.LBB47_2269:
	s_delay_alu instid0(SALU_CYCLE_1)
	s_and_b32 vcc_lo, exec_lo, s17
	s_cbranch_vccz .LBB47_2271
; %bb.2270:
	s_wait_loadcnt 0x0
	global_load_u8 v1, v[4:5], off
	s_wait_loadcnt 0x0
	v_lshlrev_b32_e32 v1, 24, v1
	s_delay_alu instid0(VALU_DEP_1) | instskip(NEXT) | instid1(VALU_DEP_1)
	v_and_b32_e32 v3, 0x7f000000, v1
	v_clz_i32_u32_e32 v10, v3
	v_cmp_ne_u32_e32 vcc_lo, 0, v3
	v_add_nc_u32_e32 v12, 0x1000000, v3
	s_delay_alu instid0(VALU_DEP_3) | instskip(NEXT) | instid1(VALU_DEP_1)
	v_min_u32_e32 v10, 32, v10
	v_sub_nc_u32_e64 v10, v10, 4 clamp
	s_delay_alu instid0(VALU_DEP_1) | instskip(NEXT) | instid1(VALU_DEP_1)
	v_dual_lshlrev_b32 v11, v10, v3 :: v_dual_lshlrev_b32 v10, 23, v10
	v_lshrrev_b32_e32 v11, 4, v11
	s_delay_alu instid0(VALU_DEP_1) | instskip(NEXT) | instid1(VALU_DEP_1)
	v_dual_sub_nc_u32 v10, v11, v10 :: v_dual_ashrrev_i32 v11, 8, v12
	v_add_nc_u32_e32 v10, 0x3c000000, v10
	s_delay_alu instid0(VALU_DEP_1) | instskip(NEXT) | instid1(VALU_DEP_1)
	v_and_or_b32 v10, 0x7f800000, v11, v10
	v_cndmask_b32_e32 v3, 0, v10, vcc_lo
	s_delay_alu instid0(VALU_DEP_1) | instskip(SKIP_1) | instid1(VALU_DEP_2)
	v_and_or_b32 v1, 0x80000000, v1, v3
	v_bfe_u32 v3, v3, 16, 1
	v_cmp_o_f32_e32 vcc_lo, v1, v1
	s_delay_alu instid0(VALU_DEP_2) | instskip(NEXT) | instid1(VALU_DEP_1)
	v_add3_u32 v3, v1, v3, 0x7fff
	v_lshrrev_b32_e32 v3, 16, v3
	s_delay_alu instid0(VALU_DEP_1)
	v_cndmask_b32_e32 v1, 0x7fc0, v3, vcc_lo
.LBB47_2271:
	s_mov_b32 s17, 0
.LBB47_2272:
	s_delay_alu instid0(SALU_CYCLE_1)
	s_and_not1_b32 vcc_lo, exec_lo, s17
	s_cbranch_vccnz .LBB47_2274
; %bb.2273:
	s_wait_loadcnt 0x0
	global_load_u8 v1, v[4:5], off
	s_wait_loadcnt 0x0
	v_lshlrev_b32_e32 v3, 25, v1
	v_lshlrev_b16 v1, 8, v1
	s_delay_alu instid0(VALU_DEP_1) | instskip(SKIP_1) | instid1(VALU_DEP_2)
	v_and_or_b32 v11, 0x7f00, v1, 0.5
	v_bfe_i32 v1, v1, 0, 16
	v_add_f32_e32 v11, -0.5, v11
	v_lshrrev_b32_e32 v10, 4, v3
	v_cmp_gt_u32_e32 vcc_lo, 0x8000000, v3
	s_delay_alu instid0(VALU_DEP_2) | instskip(NEXT) | instid1(VALU_DEP_1)
	v_or_b32_e32 v10, 0x70000000, v10
	v_mul_f32_e32 v10, 0x7800000, v10
	s_delay_alu instid0(VALU_DEP_1) | instskip(NEXT) | instid1(VALU_DEP_1)
	v_cndmask_b32_e32 v3, v10, v11, vcc_lo
	v_and_or_b32 v1, 0x80000000, v1, v3
	v_bfe_u32 v3, v3, 16, 1
	s_delay_alu instid0(VALU_DEP_2) | instskip(NEXT) | instid1(VALU_DEP_2)
	v_cmp_o_f32_e32 vcc_lo, v1, v1
	v_add3_u32 v3, v1, v3, 0x7fff
	s_delay_alu instid0(VALU_DEP_1) | instskip(NEXT) | instid1(VALU_DEP_1)
	v_lshrrev_b32_e32 v3, 16, v3
	v_cndmask_b32_e32 v1, 0x7fc0, v3, vcc_lo
.LBB47_2274:
	s_mov_b32 s17, 0
	s_mov_b32 s18, -1
.LBB47_2275:
	s_and_not1_b32 vcc_lo, exec_lo, s17
	s_mov_b32 s17, 0
	s_cbranch_vccnz .LBB47_2286
; %bb.2276:
	s_cmp_gt_i32 s13, 14
	s_cbranch_scc0 .LBB47_2279
; %bb.2277:
	s_cmp_eq_u32 s13, 15
	s_cbranch_scc0 .LBB47_2282
; %bb.2278:
	s_wait_loadcnt 0x0
	global_load_u16 v1, v[4:5], off
	s_mov_b32 s16, 0
	s_mov_b32 s18, -1
	s_branch .LBB47_2284
.LBB47_2279:
	s_mov_b32 s17, -1
	s_branch .LBB47_2283
.LBB47_2280:
	s_or_saveexec_b32 s18, s18
	v_mov_b32_e32 v3, 0x7f800001
	s_xor_b32 exec_lo, exec_lo, s18
	s_cbranch_execz .LBB47_2261
.LBB47_2281:
	v_cmp_ne_u16_e32 vcc_lo, 0, v1
	v_mov_b32_e32 v3, 0
	s_and_not1_b32 s17, s17, exec_lo
	s_and_b32 s19, vcc_lo, exec_lo
	s_delay_alu instid0(SALU_CYCLE_1)
	s_or_b32 s17, s17, s19
	s_or_b32 exec_lo, exec_lo, s18
	s_and_saveexec_b32 s18, s17
	s_cbranch_execnz .LBB47_2262
	s_branch .LBB47_2263
.LBB47_2282:
	s_mov_b32 s16, -1
.LBB47_2283:
                                        ; implicit-def: $vgpr1
.LBB47_2284:
	s_and_b32 vcc_lo, exec_lo, s17
	s_mov_b32 s17, 0
	s_cbranch_vccz .LBB47_2286
; %bb.2285:
	s_cmp_lg_u32 s13, 11
	s_mov_b32 s17, -1
	s_cselect_b32 s16, -1, 0
.LBB47_2286:
	s_delay_alu instid0(SALU_CYCLE_1)
	s_and_b32 vcc_lo, exec_lo, s16
	s_cbranch_vccnz .LBB47_2353
; %bb.2287:
	s_and_not1_b32 vcc_lo, exec_lo, s17
	s_cbranch_vccnz .LBB47_2289
.LBB47_2288:
	s_wait_loadcnt 0x0
	global_load_u8 v1, v[4:5], off
	s_mov_b32 s18, -1
	s_wait_loadcnt 0x0
	v_cmp_ne_u16_e32 vcc_lo, 0, v1
	v_cndmask_b32_e64 v1, 0, 1.0, vcc_lo
	s_delay_alu instid0(VALU_DEP_1)
	v_lshrrev_b32_e32 v1, 16, v1
.LBB47_2289:
	s_mov_b32 s13, 0
.LBB47_2290:
	s_delay_alu instid0(SALU_CYCLE_1)
	s_and_b32 vcc_lo, exec_lo, s13
	s_cbranch_vccz .LBB47_2339
; %bb.2291:
	s_and_b32 s13, 0xffff, s1
	s_delay_alu instid0(SALU_CYCLE_1)
	s_cmp_lt_i32 s13, 5
	s_cbranch_scc1 .LBB47_2296
; %bb.2292:
	s_cmp_lt_i32 s13, 8
	s_cbranch_scc1 .LBB47_2297
; %bb.2293:
	;; [unrolled: 3-line block ×3, first 2 shown]
	s_cmp_gt_i32 s13, 9
	s_cbranch_scc0 .LBB47_2299
; %bb.2295:
	global_load_b64 v[10:11], v[4:5], off
	s_mov_b32 s16, 0
	s_wait_loadcnt 0x0
	v_cvt_f32_f64_e32 v1, v[10:11]
	s_delay_alu instid0(VALU_DEP_1) | instskip(SKIP_1) | instid1(VALU_DEP_2)
	v_bfe_u32 v3, v1, 16, 1
	v_cmp_o_f32_e32 vcc_lo, v1, v1
	v_add3_u32 v3, v1, v3, 0x7fff
	s_delay_alu instid0(VALU_DEP_1) | instskip(NEXT) | instid1(VALU_DEP_1)
	v_lshrrev_b32_e32 v3, 16, v3
	v_cndmask_b32_e32 v1, 0x7fc0, v3, vcc_lo
	s_branch .LBB47_2300
.LBB47_2296:
	s_mov_b32 s16, -1
                                        ; implicit-def: $vgpr1
	s_branch .LBB47_2318
.LBB47_2297:
	s_mov_b32 s16, -1
                                        ; implicit-def: $vgpr1
	s_branch .LBB47_2306
.LBB47_2298:
	s_mov_b32 s16, -1
                                        ; implicit-def: $vgpr1
	s_branch .LBB47_2303
.LBB47_2299:
	s_mov_b32 s16, -1
                                        ; implicit-def: $vgpr1
.LBB47_2300:
	s_delay_alu instid0(SALU_CYCLE_1)
	s_and_not1_b32 vcc_lo, exec_lo, s16
	s_cbranch_vccnz .LBB47_2302
; %bb.2301:
	s_wait_loadcnt 0x0
	global_load_b32 v1, v[4:5], off
	s_wait_loadcnt 0x0
	v_bfe_u32 v3, v1, 16, 1
	v_cmp_o_f32_e32 vcc_lo, v1, v1
	s_delay_alu instid0(VALU_DEP_2) | instskip(NEXT) | instid1(VALU_DEP_1)
	v_add3_u32 v3, v1, v3, 0x7fff
	v_lshrrev_b32_e32 v3, 16, v3
	s_delay_alu instid0(VALU_DEP_1)
	v_cndmask_b32_e32 v1, 0x7fc0, v3, vcc_lo
.LBB47_2302:
	s_mov_b32 s16, 0
.LBB47_2303:
	s_delay_alu instid0(SALU_CYCLE_1)
	s_and_not1_b32 vcc_lo, exec_lo, s16
	s_cbranch_vccnz .LBB47_2305
; %bb.2304:
	s_wait_loadcnt 0x0
	global_load_b32 v1, v[4:5], off
	s_wait_loadcnt 0x0
	v_cvt_f32_f16_e32 v3, v1
	v_cmp_o_f16_e32 vcc_lo, v1, v1
	s_delay_alu instid0(VALU_DEP_2) | instskip(NEXT) | instid1(VALU_DEP_1)
	v_bfe_u32 v10, v3, 16, 1
	v_add3_u32 v3, v3, v10, 0x7fff
	s_delay_alu instid0(VALU_DEP_1) | instskip(NEXT) | instid1(VALU_DEP_1)
	v_lshrrev_b32_e32 v3, 16, v3
	v_cndmask_b32_e32 v1, 0x7fc0, v3, vcc_lo
.LBB47_2305:
	s_mov_b32 s16, 0
.LBB47_2306:
	s_delay_alu instid0(SALU_CYCLE_1)
	s_and_not1_b32 vcc_lo, exec_lo, s16
	s_cbranch_vccnz .LBB47_2317
; %bb.2307:
	s_cmp_lt_i32 s13, 6
	s_cbranch_scc1 .LBB47_2310
; %bb.2308:
	s_cmp_gt_i32 s13, 6
	s_cbranch_scc0 .LBB47_2311
; %bb.2309:
	global_load_b64 v[10:11], v[4:5], off
	s_mov_b32 s16, 0
	s_wait_loadcnt 0x0
	v_cvt_f32_f64_e32 v1, v[10:11]
	s_delay_alu instid0(VALU_DEP_1) | instskip(SKIP_1) | instid1(VALU_DEP_2)
	v_bfe_u32 v3, v1, 16, 1
	v_cmp_o_f32_e32 vcc_lo, v1, v1
	v_add3_u32 v3, v1, v3, 0x7fff
	s_delay_alu instid0(VALU_DEP_1) | instskip(NEXT) | instid1(VALU_DEP_1)
	v_lshrrev_b32_e32 v3, 16, v3
	v_cndmask_b32_e32 v1, 0x7fc0, v3, vcc_lo
	s_branch .LBB47_2312
.LBB47_2310:
	s_mov_b32 s16, -1
                                        ; implicit-def: $vgpr1
	s_branch .LBB47_2315
.LBB47_2311:
	s_mov_b32 s16, -1
                                        ; implicit-def: $vgpr1
.LBB47_2312:
	s_delay_alu instid0(SALU_CYCLE_1)
	s_and_not1_b32 vcc_lo, exec_lo, s16
	s_cbranch_vccnz .LBB47_2314
; %bb.2313:
	s_wait_loadcnt 0x0
	global_load_b32 v1, v[4:5], off
	s_wait_loadcnt 0x0
	v_bfe_u32 v3, v1, 16, 1
	v_cmp_o_f32_e32 vcc_lo, v1, v1
	s_delay_alu instid0(VALU_DEP_2) | instskip(NEXT) | instid1(VALU_DEP_1)
	v_add3_u32 v3, v1, v3, 0x7fff
	v_lshrrev_b32_e32 v3, 16, v3
	s_delay_alu instid0(VALU_DEP_1)
	v_cndmask_b32_e32 v1, 0x7fc0, v3, vcc_lo
.LBB47_2314:
	s_mov_b32 s16, 0
.LBB47_2315:
	s_delay_alu instid0(SALU_CYCLE_1)
	s_and_not1_b32 vcc_lo, exec_lo, s16
	s_cbranch_vccnz .LBB47_2317
; %bb.2316:
	s_wait_loadcnt 0x0
	global_load_u16 v1, v[4:5], off
	s_wait_loadcnt 0x0
	v_cvt_f32_f16_e32 v3, v1
	v_cmp_o_f16_e32 vcc_lo, v1, v1
	s_delay_alu instid0(VALU_DEP_2) | instskip(NEXT) | instid1(VALU_DEP_1)
	v_bfe_u32 v10, v3, 16, 1
	v_add3_u32 v3, v3, v10, 0x7fff
	s_delay_alu instid0(VALU_DEP_1) | instskip(NEXT) | instid1(VALU_DEP_1)
	v_lshrrev_b32_e32 v3, 16, v3
	v_cndmask_b32_e32 v1, 0x7fc0, v3, vcc_lo
.LBB47_2317:
	s_mov_b32 s16, 0
.LBB47_2318:
	s_delay_alu instid0(SALU_CYCLE_1)
	s_and_not1_b32 vcc_lo, exec_lo, s16
	s_cbranch_vccnz .LBB47_2338
; %bb.2319:
	s_cmp_lt_i32 s13, 2
	s_cbranch_scc1 .LBB47_2323
; %bb.2320:
	s_cmp_lt_i32 s13, 3
	s_cbranch_scc1 .LBB47_2324
; %bb.2321:
	s_cmp_gt_i32 s13, 3
	s_cbranch_scc0 .LBB47_2325
; %bb.2322:
	global_load_b64 v[10:11], v[4:5], off
	s_mov_b32 s16, 0
	s_wait_loadcnt 0x0
	v_xor_b32_e32 v1, v10, v11
	v_cls_i32_e32 v3, v11
	s_delay_alu instid0(VALU_DEP_2) | instskip(NEXT) | instid1(VALU_DEP_1)
	v_ashrrev_i32_e32 v1, 31, v1
	v_add_nc_u32_e32 v1, 32, v1
	s_delay_alu instid0(VALU_DEP_1) | instskip(NEXT) | instid1(VALU_DEP_1)
	v_add_min_u32_e64 v1, v3, -1, v1
	v_lshlrev_b64_e32 v[10:11], v1, v[10:11]
	v_sub_nc_u32_e32 v1, 32, v1
	s_delay_alu instid0(VALU_DEP_2) | instskip(NEXT) | instid1(VALU_DEP_1)
	v_min_u32_e32 v3, 1, v10
	v_or_b32_e32 v3, v11, v3
	s_delay_alu instid0(VALU_DEP_1) | instskip(NEXT) | instid1(VALU_DEP_1)
	v_cvt_f32_i32_e32 v3, v3
	v_ldexp_f32 v1, v3, v1
	s_delay_alu instid0(VALU_DEP_1) | instskip(NEXT) | instid1(VALU_DEP_1)
	v_bfe_u32 v3, v1, 16, 1
	v_add3_u32 v1, v1, v3, 0x7fff
	s_delay_alu instid0(VALU_DEP_1)
	v_lshrrev_b32_e32 v1, 16, v1
	s_branch .LBB47_2326
.LBB47_2323:
	s_mov_b32 s16, -1
                                        ; implicit-def: $vgpr1
	s_branch .LBB47_2332
.LBB47_2324:
	s_mov_b32 s16, -1
                                        ; implicit-def: $vgpr1
	s_branch .LBB47_2329
.LBB47_2325:
	s_mov_b32 s16, -1
                                        ; implicit-def: $vgpr1
.LBB47_2326:
	s_delay_alu instid0(SALU_CYCLE_1)
	s_and_not1_b32 vcc_lo, exec_lo, s16
	s_cbranch_vccnz .LBB47_2328
; %bb.2327:
	s_wait_loadcnt 0x0
	global_load_b32 v1, v[4:5], off
	s_wait_loadcnt 0x0
	v_cvt_f32_i32_e32 v1, v1
	s_delay_alu instid0(VALU_DEP_1) | instskip(NEXT) | instid1(VALU_DEP_1)
	v_bfe_u32 v3, v1, 16, 1
	v_add3_u32 v1, v1, v3, 0x7fff
	s_delay_alu instid0(VALU_DEP_1)
	v_lshrrev_b32_e32 v1, 16, v1
.LBB47_2328:
	s_mov_b32 s16, 0
.LBB47_2329:
	s_delay_alu instid0(SALU_CYCLE_1)
	s_and_not1_b32 vcc_lo, exec_lo, s16
	s_cbranch_vccnz .LBB47_2331
; %bb.2330:
	s_wait_loadcnt 0x0
	global_load_i16 v1, v[4:5], off
	s_wait_loadcnt 0x0
	v_cvt_f32_i32_e32 v1, v1
	s_delay_alu instid0(VALU_DEP_1) | instskip(NEXT) | instid1(VALU_DEP_1)
	v_bfe_u32 v3, v1, 16, 1
	v_add3_u32 v1, v1, v3, 0x7fff
	s_delay_alu instid0(VALU_DEP_1)
	v_lshrrev_b32_e32 v1, 16, v1
.LBB47_2331:
	s_mov_b32 s16, 0
.LBB47_2332:
	s_delay_alu instid0(SALU_CYCLE_1)
	s_and_not1_b32 vcc_lo, exec_lo, s16
	s_cbranch_vccnz .LBB47_2338
; %bb.2333:
	s_cmp_gt_i32 s13, 0
	s_mov_b32 s13, 0
	s_cbranch_scc0 .LBB47_2335
; %bb.2334:
	s_wait_loadcnt 0x0
	global_load_i8 v1, v[4:5], off
	s_wait_loadcnt 0x0
	v_cvt_f32_i32_e32 v1, v1
	s_delay_alu instid0(VALU_DEP_1) | instskip(NEXT) | instid1(VALU_DEP_1)
	v_bfe_u32 v3, v1, 16, 1
	v_add3_u32 v1, v1, v3, 0x7fff
	s_delay_alu instid0(VALU_DEP_1)
	v_lshrrev_b32_e32 v1, 16, v1
	s_branch .LBB47_2336
.LBB47_2335:
	s_mov_b32 s13, -1
                                        ; implicit-def: $vgpr1
.LBB47_2336:
	s_delay_alu instid0(SALU_CYCLE_1)
	s_and_not1_b32 vcc_lo, exec_lo, s13
	s_cbranch_vccnz .LBB47_2338
; %bb.2337:
	s_wait_loadcnt 0x0
	global_load_u8 v1, v[4:5], off
	s_wait_loadcnt 0x0
	v_cvt_f32_ubyte0_e32 v1, v1
	s_delay_alu instid0(VALU_DEP_1) | instskip(NEXT) | instid1(VALU_DEP_1)
	v_bfe_u32 v3, v1, 16, 1
	v_add3_u32 v1, v1, v3, 0x7fff
	s_delay_alu instid0(VALU_DEP_1)
	v_lshrrev_b32_e32 v1, 16, v1
.LBB47_2338:
	s_mov_b32 s18, -1
.LBB47_2339:
	s_delay_alu instid0(SALU_CYCLE_1)
	s_and_not1_b32 vcc_lo, exec_lo, s18
	s_cbranch_vccnz .LBB47_2684
; %bb.2340:
	s_wait_loadcnt 0x0
	v_lshlrev_b32_e32 v3, 16, v9
	s_mov_b32 s13, exec_lo
	s_wait_xcnt 0x0
	s_delay_alu instid0(VALU_DEP_1)
	v_cmpx_nlt_f32_e32 0, v3
	s_cbranch_execz .LBB47_2342
; %bb.2341:
	v_lshlrev_b32_e32 v1, 16, v1
	s_delay_alu instid0(VALU_DEP_1) | instskip(NEXT) | instid1(VALU_DEP_1)
	v_mul_f32_e32 v1, v3, v1
	v_bfe_u32 v3, v1, 16, 1
	v_cmp_o_f32_e32 vcc_lo, v1, v1
	s_delay_alu instid0(VALU_DEP_2) | instskip(NEXT) | instid1(VALU_DEP_1)
	v_add3_u32 v3, v1, v3, 0x7fff
	v_lshrrev_b32_e32 v3, 16, v3
	s_delay_alu instid0(VALU_DEP_1)
	v_cndmask_b32_e32 v9, 0x7fc0, v3, vcc_lo
.LBB47_2342:
	s_or_b32 exec_lo, exec_lo, s13
	v_add_nc_u32_e32 v0, s9, v0
	s_cmp_lt_i32 s0, 11
	s_delay_alu instid0(VALU_DEP_1) | instskip(NEXT) | instid1(VALU_DEP_1)
	v_ashrrev_i32_e32 v1, 31, v0
	v_add_nc_u64_e32 v[0:1], s[6:7], v[0:1]
	s_cbranch_scc1 .LBB47_2349
; %bb.2343:
	s_and_b32 s6, 0xffff, s0
	s_mov_b32 s9, 0
	s_cmp_gt_i32 s6, 25
	s_cbranch_scc0 .LBB47_2350
; %bb.2344:
	s_cmp_gt_i32 s6, 28
	s_cbranch_scc0 .LBB47_2351
; %bb.2345:
	;; [unrolled: 3-line block ×4, first 2 shown]
	s_cmp_eq_u32 s6, 46
	s_mov_b32 s16, 0
	s_cbranch_scc0 .LBB47_2355
; %bb.2348:
	global_load_b32 v4, v[0:1], off
	s_mov_b32 s7, 0
	s_mov_b32 s13, -1
	s_branch .LBB47_2357
.LBB47_2349:
	s_mov_b32 s6, -1
	s_mov_b32 s13, 0
                                        ; implicit-def: $vgpr4
	s_branch .LBB47_2423
.LBB47_2350:
	s_mov_b32 s16, -1
	s_mov_b32 s13, 0
	s_mov_b32 s7, 0
                                        ; implicit-def: $vgpr4
	s_branch .LBB47_2386
.LBB47_2351:
	s_mov_b32 s16, -1
	s_mov_b32 s13, 0
	s_mov_b32 s7, 0
                                        ; implicit-def: $vgpr4
	s_branch .LBB47_2367
.LBB47_2352:
	s_mov_b32 s16, -1
	s_mov_b32 s13, 0
	s_mov_b32 s7, 0
                                        ; implicit-def: $vgpr4
	s_branch .LBB47_2362
.LBB47_2353:
	s_or_b32 s12, s12, exec_lo
	s_trap 2
	s_cbranch_execz .LBB47_2288
	s_branch .LBB47_2289
.LBB47_2354:
	s_mov_b32 s16, -1
	s_mov_b32 s13, 0
	s_mov_b32 s7, 0
	s_branch .LBB47_2356
.LBB47_2355:
	s_mov_b32 s7, -1
	s_mov_b32 s13, 0
.LBB47_2356:
                                        ; implicit-def: $vgpr4
.LBB47_2357:
	s_and_b32 vcc_lo, exec_lo, s16
	s_cbranch_vccz .LBB47_2361
; %bb.2358:
	s_cmp_eq_u32 s6, 44
	s_cbranch_scc0 .LBB47_2360
; %bb.2359:
	global_load_u8 v3, v[0:1], off
	s_mov_b32 s7, 0
	s_mov_b32 s13, -1
	s_wait_loadcnt 0x0
	v_lshlrev_b32_e32 v4, 23, v3
	v_cmp_ne_u32_e32 vcc_lo, 0xff, v3
	s_delay_alu instid0(VALU_DEP_2) | instskip(SKIP_1) | instid1(VALU_DEP_2)
	v_cndmask_b32_e32 v4, 0x7f800001, v4, vcc_lo
	v_cmp_ne_u32_e32 vcc_lo, 0, v3
	v_cndmask_b32_e32 v3, 0x400000, v4, vcc_lo
	s_delay_alu instid0(VALU_DEP_1) | instskip(NEXT) | instid1(VALU_DEP_1)
	v_add_nc_u32_e32 v4, 0x7fff, v3
	v_lshrrev_b32_e32 v4, 16, v4
	v_cmp_o_f32_e32 vcc_lo, v3, v3
	s_delay_alu instid0(VALU_DEP_2)
	v_cndmask_b32_e32 v4, 0x7fc0, v4, vcc_lo
	s_branch .LBB47_2361
.LBB47_2360:
	s_mov_b32 s7, -1
                                        ; implicit-def: $vgpr4
.LBB47_2361:
	s_mov_b32 s16, 0
.LBB47_2362:
	s_delay_alu instid0(SALU_CYCLE_1)
	s_and_b32 vcc_lo, exec_lo, s16
	s_cbranch_vccz .LBB47_2366
; %bb.2363:
	s_cmp_eq_u32 s6, 29
	s_cbranch_scc0 .LBB47_2365
; %bb.2364:
	s_wait_loadcnt 0x0
	global_load_b64 v[4:5], v[0:1], off
	s_mov_b32 s7, 0
	s_mov_b32 s13, -1
	s_mov_b32 s16, 0
	s_wait_loadcnt 0x0
	v_clz_i32_u32_e32 v3, v5
	s_delay_alu instid0(VALU_DEP_1) | instskip(NEXT) | instid1(VALU_DEP_1)
	v_min_u32_e32 v3, 32, v3
	v_lshlrev_b64_e32 v[4:5], v3, v[4:5]
	v_sub_nc_u32_e32 v3, 32, v3
	s_delay_alu instid0(VALU_DEP_2) | instskip(NEXT) | instid1(VALU_DEP_1)
	v_min_u32_e32 v4, 1, v4
	v_or_b32_e32 v4, v5, v4
	s_delay_alu instid0(VALU_DEP_1) | instskip(NEXT) | instid1(VALU_DEP_1)
	v_cvt_f32_u32_e32 v4, v4
	v_ldexp_f32 v3, v4, v3
	s_delay_alu instid0(VALU_DEP_1) | instskip(NEXT) | instid1(VALU_DEP_1)
	v_bfe_u32 v4, v3, 16, 1
	v_add3_u32 v3, v3, v4, 0x7fff
	s_delay_alu instid0(VALU_DEP_1)
	v_lshrrev_b32_e32 v4, 16, v3
	s_branch .LBB47_2367
.LBB47_2365:
	s_mov_b32 s7, -1
                                        ; implicit-def: $vgpr4
.LBB47_2366:
	s_mov_b32 s16, 0
.LBB47_2367:
	s_delay_alu instid0(SALU_CYCLE_1)
	s_and_b32 vcc_lo, exec_lo, s16
	s_cbranch_vccz .LBB47_2385
; %bb.2368:
	s_cmp_lt_i32 s6, 27
	s_cbranch_scc1 .LBB47_2371
; %bb.2369:
	s_cmp_gt_i32 s6, 27
	s_cbranch_scc0 .LBB47_2372
; %bb.2370:
	global_load_b32 v3, v[0:1], off
	s_mov_b32 s13, 0
	s_wait_loadcnt 0x0
	v_cvt_f32_u32_e32 v3, v3
	s_delay_alu instid0(VALU_DEP_1) | instskip(NEXT) | instid1(VALU_DEP_1)
	v_bfe_u32 v4, v3, 16, 1
	v_add3_u32 v3, v3, v4, 0x7fff
	s_delay_alu instid0(VALU_DEP_1)
	v_lshrrev_b32_e32 v4, 16, v3
	s_branch .LBB47_2373
.LBB47_2371:
	s_mov_b32 s13, -1
                                        ; implicit-def: $vgpr4
	s_branch .LBB47_2376
.LBB47_2372:
	s_mov_b32 s13, -1
                                        ; implicit-def: $vgpr4
.LBB47_2373:
	s_delay_alu instid0(SALU_CYCLE_1)
	s_and_not1_b32 vcc_lo, exec_lo, s13
	s_cbranch_vccnz .LBB47_2375
; %bb.2374:
	global_load_u16 v3, v[0:1], off
	s_wait_loadcnt 0x0
	v_cvt_f32_u32_e32 v3, v3
	s_delay_alu instid0(VALU_DEP_1) | instskip(NEXT) | instid1(VALU_DEP_1)
	v_bfe_u32 v4, v3, 16, 1
	v_add3_u32 v3, v3, v4, 0x7fff
	s_delay_alu instid0(VALU_DEP_1)
	v_lshrrev_b32_e32 v4, 16, v3
.LBB47_2375:
	s_mov_b32 s13, 0
.LBB47_2376:
	s_delay_alu instid0(SALU_CYCLE_1)
	s_and_not1_b32 vcc_lo, exec_lo, s13
	s_cbranch_vccnz .LBB47_2384
; %bb.2377:
	global_load_u8 v3, v[0:1], off
	s_mov_b32 s13, 0
	s_mov_b32 s16, exec_lo
	s_wait_loadcnt 0x0
	v_cmpx_lt_i16_e32 0x7f, v3
	s_xor_b32 s16, exec_lo, s16
	s_cbranch_execz .LBB47_2398
; %bb.2378:
	s_mov_b32 s13, -1
	s_mov_b32 s17, exec_lo
	v_cmpx_eq_u16_e32 0x80, v3
; %bb.2379:
	s_xor_b32 s13, exec_lo, -1
; %bb.2380:
	s_or_b32 exec_lo, exec_lo, s17
	s_delay_alu instid0(SALU_CYCLE_1)
	s_and_b32 s13, s13, exec_lo
	s_or_saveexec_b32 s16, s16
	v_mov_b32_e32 v4, 0x7f800001
	s_xor_b32 exec_lo, exec_lo, s16
	s_cbranch_execnz .LBB47_2399
.LBB47_2381:
	s_or_b32 exec_lo, exec_lo, s16
	s_and_saveexec_b32 s16, s13
	s_cbranch_execz .LBB47_2383
.LBB47_2382:
	v_and_b32_e32 v4, 0xffff, v3
	s_delay_alu instid0(VALU_DEP_1) | instskip(SKIP_1) | instid1(VALU_DEP_2)
	v_and_b32_e32 v5, 7, v4
	v_bfe_u32 v12, v4, 3, 4
	v_clz_i32_u32_e32 v10, v5
	s_delay_alu instid0(VALU_DEP_2) | instskip(NEXT) | instid1(VALU_DEP_2)
	v_cmp_eq_u32_e32 vcc_lo, 0, v12
	v_min_u32_e32 v10, 32, v10
	s_delay_alu instid0(VALU_DEP_1) | instskip(NEXT) | instid1(VALU_DEP_1)
	v_subrev_nc_u32_e32 v11, 28, v10
	v_dual_lshlrev_b32 v4, v11, v4 :: v_dual_sub_nc_u32 v10, 29, v10
	s_delay_alu instid0(VALU_DEP_1) | instskip(NEXT) | instid1(VALU_DEP_1)
	v_dual_lshlrev_b32 v3, 24, v3 :: v_dual_bitop2_b32 v4, 7, v4 bitop3:0x40
	v_dual_cndmask_b32 v10, v12, v10, vcc_lo :: v_dual_cndmask_b32 v4, v5, v4, vcc_lo
	s_delay_alu instid0(VALU_DEP_2) | instskip(NEXT) | instid1(VALU_DEP_2)
	v_and_b32_e32 v3, 0x80000000, v3
	v_lshl_add_u32 v5, v10, 23, 0x3b800000
	s_delay_alu instid0(VALU_DEP_3) | instskip(NEXT) | instid1(VALU_DEP_1)
	v_lshlrev_b32_e32 v4, 20, v4
	v_or3_b32 v4, v3, v5, v4
.LBB47_2383:
	s_or_b32 exec_lo, exec_lo, s16
	s_delay_alu instid0(VALU_DEP_1) | instskip(SKIP_1) | instid1(VALU_DEP_2)
	v_bfe_u32 v3, v4, 16, 1
	v_cmp_o_f32_e32 vcc_lo, v4, v4
	v_add3_u32 v3, v4, v3, 0x7fff
	s_delay_alu instid0(VALU_DEP_1) | instskip(NEXT) | instid1(VALU_DEP_1)
	v_lshrrev_b32_e32 v3, 16, v3
	v_cndmask_b32_e32 v4, 0x7fc0, v3, vcc_lo
.LBB47_2384:
	s_mov_b32 s13, -1
.LBB47_2385:
	s_mov_b32 s16, 0
.LBB47_2386:
	s_delay_alu instid0(SALU_CYCLE_1)
	s_and_b32 vcc_lo, exec_lo, s16
	s_cbranch_vccz .LBB47_2419
; %bb.2387:
	s_cmp_gt_i32 s6, 22
	s_cbranch_scc0 .LBB47_2397
; %bb.2388:
	s_cmp_lt_i32 s6, 24
	s_cbranch_scc1 .LBB47_2400
; %bb.2389:
	s_cmp_gt_i32 s6, 24
	s_cbranch_scc0 .LBB47_2401
; %bb.2390:
	global_load_u8 v3, v[0:1], off
	s_mov_b32 s13, exec_lo
	s_wait_loadcnt 0x0
	v_cmpx_lt_i16_e32 0x7f, v3
	s_xor_b32 s13, exec_lo, s13
	s_cbranch_execz .LBB47_2413
; %bb.2391:
	s_mov_b32 s9, -1
	s_mov_b32 s16, exec_lo
	v_cmpx_eq_u16_e32 0x80, v3
; %bb.2392:
	s_xor_b32 s9, exec_lo, -1
; %bb.2393:
	s_or_b32 exec_lo, exec_lo, s16
	s_delay_alu instid0(SALU_CYCLE_1)
	s_and_b32 s9, s9, exec_lo
	s_or_saveexec_b32 s13, s13
	v_mov_b32_e32 v4, 0x7f800001
	s_xor_b32 exec_lo, exec_lo, s13
	s_cbranch_execnz .LBB47_2414
.LBB47_2394:
	s_or_b32 exec_lo, exec_lo, s13
	s_and_saveexec_b32 s13, s9
	s_cbranch_execz .LBB47_2396
.LBB47_2395:
	v_and_b32_e32 v4, 0xffff, v3
	s_delay_alu instid0(VALU_DEP_1) | instskip(SKIP_1) | instid1(VALU_DEP_2)
	v_and_b32_e32 v5, 3, v4
	v_bfe_u32 v12, v4, 2, 5
	v_clz_i32_u32_e32 v10, v5
	s_delay_alu instid0(VALU_DEP_2) | instskip(NEXT) | instid1(VALU_DEP_2)
	v_cmp_eq_u32_e32 vcc_lo, 0, v12
	v_min_u32_e32 v10, 32, v10
	s_delay_alu instid0(VALU_DEP_1) | instskip(NEXT) | instid1(VALU_DEP_1)
	v_subrev_nc_u32_e32 v11, 29, v10
	v_dual_lshlrev_b32 v4, v11, v4 :: v_dual_sub_nc_u32 v10, 30, v10
	s_delay_alu instid0(VALU_DEP_1) | instskip(NEXT) | instid1(VALU_DEP_1)
	v_dual_lshlrev_b32 v3, 24, v3 :: v_dual_bitop2_b32 v4, 3, v4 bitop3:0x40
	v_dual_cndmask_b32 v10, v12, v10, vcc_lo :: v_dual_cndmask_b32 v4, v5, v4, vcc_lo
	s_delay_alu instid0(VALU_DEP_2) | instskip(NEXT) | instid1(VALU_DEP_2)
	v_and_b32_e32 v3, 0x80000000, v3
	v_lshl_add_u32 v5, v10, 23, 0x37800000
	s_delay_alu instid0(VALU_DEP_3) | instskip(NEXT) | instid1(VALU_DEP_1)
	v_lshlrev_b32_e32 v4, 21, v4
	v_or3_b32 v4, v3, v5, v4
.LBB47_2396:
	s_or_b32 exec_lo, exec_lo, s13
	s_delay_alu instid0(VALU_DEP_1) | instskip(SKIP_2) | instid1(VALU_DEP_2)
	v_bfe_u32 v3, v4, 16, 1
	v_cmp_o_f32_e32 vcc_lo, v4, v4
	s_mov_b32 s9, 0
	v_add3_u32 v3, v4, v3, 0x7fff
	s_delay_alu instid0(VALU_DEP_1) | instskip(NEXT) | instid1(VALU_DEP_1)
	v_lshrrev_b32_e32 v3, 16, v3
	v_cndmask_b32_e32 v4, 0x7fc0, v3, vcc_lo
	s_branch .LBB47_2402
.LBB47_2397:
	s_mov_b32 s9, -1
                                        ; implicit-def: $vgpr4
	s_branch .LBB47_2408
.LBB47_2398:
	s_or_saveexec_b32 s16, s16
	v_mov_b32_e32 v4, 0x7f800001
	s_xor_b32 exec_lo, exec_lo, s16
	s_cbranch_execz .LBB47_2381
.LBB47_2399:
	v_cmp_ne_u16_e32 vcc_lo, 0, v3
	v_mov_b32_e32 v4, 0
	s_and_not1_b32 s13, s13, exec_lo
	s_and_b32 s17, vcc_lo, exec_lo
	s_delay_alu instid0(SALU_CYCLE_1)
	s_or_b32 s13, s13, s17
	s_or_b32 exec_lo, exec_lo, s16
	s_and_saveexec_b32 s16, s13
	s_cbranch_execnz .LBB47_2382
	s_branch .LBB47_2383
.LBB47_2400:
	s_mov_b32 s9, -1
                                        ; implicit-def: $vgpr4
	s_branch .LBB47_2405
.LBB47_2401:
	s_mov_b32 s9, -1
                                        ; implicit-def: $vgpr4
.LBB47_2402:
	s_delay_alu instid0(SALU_CYCLE_1)
	s_and_b32 vcc_lo, exec_lo, s9
	s_cbranch_vccz .LBB47_2404
; %bb.2403:
	global_load_u8 v3, v[0:1], off
	s_wait_loadcnt 0x0
	v_lshlrev_b32_e32 v3, 24, v3
	s_delay_alu instid0(VALU_DEP_1) | instskip(NEXT) | instid1(VALU_DEP_1)
	v_and_b32_e32 v4, 0x7f000000, v3
	v_clz_i32_u32_e32 v5, v4
	v_cmp_ne_u32_e32 vcc_lo, 0, v4
	v_add_nc_u32_e32 v11, 0x1000000, v4
	s_delay_alu instid0(VALU_DEP_3) | instskip(NEXT) | instid1(VALU_DEP_1)
	v_min_u32_e32 v5, 32, v5
	v_sub_nc_u32_e64 v5, v5, 4 clamp
	s_delay_alu instid0(VALU_DEP_1) | instskip(NEXT) | instid1(VALU_DEP_1)
	v_dual_lshlrev_b32 v10, v5, v4 :: v_dual_lshlrev_b32 v5, 23, v5
	v_lshrrev_b32_e32 v10, 4, v10
	s_delay_alu instid0(VALU_DEP_1) | instskip(NEXT) | instid1(VALU_DEP_1)
	v_dual_sub_nc_u32 v5, v10, v5 :: v_dual_ashrrev_i32 v10, 8, v11
	v_add_nc_u32_e32 v5, 0x3c000000, v5
	s_delay_alu instid0(VALU_DEP_1) | instskip(NEXT) | instid1(VALU_DEP_1)
	v_and_or_b32 v5, 0x7f800000, v10, v5
	v_cndmask_b32_e32 v4, 0, v5, vcc_lo
	s_delay_alu instid0(VALU_DEP_1) | instskip(SKIP_1) | instid1(VALU_DEP_2)
	v_and_or_b32 v3, 0x80000000, v3, v4
	v_bfe_u32 v4, v4, 16, 1
	v_cmp_o_f32_e32 vcc_lo, v3, v3
	s_delay_alu instid0(VALU_DEP_2) | instskip(NEXT) | instid1(VALU_DEP_1)
	v_add3_u32 v4, v3, v4, 0x7fff
	v_lshrrev_b32_e32 v4, 16, v4
	s_delay_alu instid0(VALU_DEP_1)
	v_cndmask_b32_e32 v4, 0x7fc0, v4, vcc_lo
.LBB47_2404:
	s_mov_b32 s9, 0
.LBB47_2405:
	s_delay_alu instid0(SALU_CYCLE_1)
	s_and_not1_b32 vcc_lo, exec_lo, s9
	s_cbranch_vccnz .LBB47_2407
; %bb.2406:
	global_load_u8 v3, v[0:1], off
	s_wait_loadcnt 0x0
	v_lshlrev_b32_e32 v4, 25, v3
	v_lshlrev_b16 v3, 8, v3
	s_delay_alu instid0(VALU_DEP_1) | instskip(SKIP_1) | instid1(VALU_DEP_2)
	v_and_or_b32 v10, 0x7f00, v3, 0.5
	v_bfe_i32 v3, v3, 0, 16
	v_dual_add_f32 v10, -0.5, v10 :: v_dual_lshrrev_b32 v5, 4, v4
	v_cmp_gt_u32_e32 vcc_lo, 0x8000000, v4
	s_delay_alu instid0(VALU_DEP_2) | instskip(NEXT) | instid1(VALU_DEP_1)
	v_or_b32_e32 v5, 0x70000000, v5
	v_mul_f32_e32 v5, 0x7800000, v5
	s_delay_alu instid0(VALU_DEP_1) | instskip(NEXT) | instid1(VALU_DEP_1)
	v_cndmask_b32_e32 v4, v5, v10, vcc_lo
	v_and_or_b32 v3, 0x80000000, v3, v4
	v_bfe_u32 v4, v4, 16, 1
	s_delay_alu instid0(VALU_DEP_2) | instskip(NEXT) | instid1(VALU_DEP_2)
	v_cmp_o_f32_e32 vcc_lo, v3, v3
	v_add3_u32 v4, v3, v4, 0x7fff
	s_delay_alu instid0(VALU_DEP_1) | instskip(NEXT) | instid1(VALU_DEP_1)
	v_lshrrev_b32_e32 v4, 16, v4
	v_cndmask_b32_e32 v4, 0x7fc0, v4, vcc_lo
.LBB47_2407:
	s_mov_b32 s9, 0
	s_mov_b32 s13, -1
.LBB47_2408:
	s_and_not1_b32 vcc_lo, exec_lo, s9
	s_mov_b32 s9, 0
	s_cbranch_vccnz .LBB47_2419
; %bb.2409:
	s_cmp_gt_i32 s6, 14
	s_cbranch_scc0 .LBB47_2412
; %bb.2410:
	s_cmp_eq_u32 s6, 15
	s_cbranch_scc0 .LBB47_2415
; %bb.2411:
	s_wait_loadcnt 0x0
	global_load_u16 v4, v[0:1], off
	s_mov_b32 s7, 0
	s_mov_b32 s13, -1
	s_branch .LBB47_2417
.LBB47_2412:
	s_mov_b32 s9, -1
	s_branch .LBB47_2416
.LBB47_2413:
	s_or_saveexec_b32 s13, s13
	v_mov_b32_e32 v4, 0x7f800001
	s_xor_b32 exec_lo, exec_lo, s13
	s_cbranch_execz .LBB47_2394
.LBB47_2414:
	v_cmp_ne_u16_e32 vcc_lo, 0, v3
	v_mov_b32_e32 v4, 0
	s_and_not1_b32 s9, s9, exec_lo
	s_and_b32 s16, vcc_lo, exec_lo
	s_delay_alu instid0(SALU_CYCLE_1)
	s_or_b32 s9, s9, s16
	s_or_b32 exec_lo, exec_lo, s13
	s_and_saveexec_b32 s13, s9
	s_cbranch_execnz .LBB47_2395
	s_branch .LBB47_2396
.LBB47_2415:
	s_mov_b32 s7, -1
.LBB47_2416:
                                        ; implicit-def: $vgpr4
.LBB47_2417:
	s_and_b32 vcc_lo, exec_lo, s9
	s_mov_b32 s9, 0
	s_cbranch_vccz .LBB47_2419
; %bb.2418:
	s_cmp_lg_u32 s6, 11
	s_mov_b32 s9, -1
	s_cselect_b32 s7, -1, 0
.LBB47_2419:
	s_delay_alu instid0(SALU_CYCLE_1)
	s_and_b32 vcc_lo, exec_lo, s7
	s_cbranch_vccnz .LBB47_2484
; %bb.2420:
	s_and_not1_b32 vcc_lo, exec_lo, s9
	s_cbranch_vccnz .LBB47_2422
.LBB47_2421:
	global_load_u8 v3, v[0:1], off
	s_mov_b32 s13, -1
	s_wait_loadcnt 0x0
	v_cmp_ne_u16_e32 vcc_lo, 0, v3
	v_cndmask_b32_e64 v3, 0, 1.0, vcc_lo
	s_delay_alu instid0(VALU_DEP_1)
	v_lshrrev_b32_e32 v4, 16, v3
.LBB47_2422:
	s_mov_b32 s6, 0
.LBB47_2423:
	s_delay_alu instid0(SALU_CYCLE_1)
	s_and_b32 vcc_lo, exec_lo, s6
	s_cbranch_vccz .LBB47_2472
; %bb.2424:
	s_and_b32 s0, 0xffff, s0
	s_delay_alu instid0(SALU_CYCLE_1)
	s_cmp_lt_i32 s0, 5
	s_cbranch_scc1 .LBB47_2429
; %bb.2425:
	s_cmp_lt_i32 s0, 8
	s_cbranch_scc1 .LBB47_2430
; %bb.2426:
	;; [unrolled: 3-line block ×3, first 2 shown]
	s_cmp_gt_i32 s0, 9
	s_cbranch_scc0 .LBB47_2432
; %bb.2428:
	s_wait_loadcnt 0x0
	global_load_b64 v[4:5], v[0:1], off
	s_mov_b32 s6, 0
	s_wait_loadcnt 0x0
	v_cvt_f32_f64_e32 v3, v[4:5]
	s_delay_alu instid0(VALU_DEP_1) | instskip(SKIP_1) | instid1(VALU_DEP_2)
	v_bfe_u32 v4, v3, 16, 1
	v_cmp_o_f32_e32 vcc_lo, v3, v3
	v_add3_u32 v4, v3, v4, 0x7fff
	s_delay_alu instid0(VALU_DEP_1) | instskip(NEXT) | instid1(VALU_DEP_1)
	v_lshrrev_b32_e32 v4, 16, v4
	v_cndmask_b32_e32 v4, 0x7fc0, v4, vcc_lo
	s_branch .LBB47_2433
.LBB47_2429:
	s_mov_b32 s6, -1
                                        ; implicit-def: $vgpr4
	s_branch .LBB47_2451
.LBB47_2430:
	s_mov_b32 s6, -1
                                        ; implicit-def: $vgpr4
	s_branch .LBB47_2439
.LBB47_2431:
	s_mov_b32 s6, -1
                                        ; implicit-def: $vgpr4
	s_branch .LBB47_2436
.LBB47_2432:
	s_mov_b32 s6, -1
                                        ; implicit-def: $vgpr4
.LBB47_2433:
	s_delay_alu instid0(SALU_CYCLE_1)
	s_and_not1_b32 vcc_lo, exec_lo, s6
	s_cbranch_vccnz .LBB47_2435
; %bb.2434:
	global_load_b32 v3, v[0:1], off
	s_wait_loadcnt 0x0
	v_bfe_u32 v4, v3, 16, 1
	v_cmp_o_f32_e32 vcc_lo, v3, v3
	s_delay_alu instid0(VALU_DEP_2) | instskip(NEXT) | instid1(VALU_DEP_1)
	v_add3_u32 v4, v3, v4, 0x7fff
	v_lshrrev_b32_e32 v4, 16, v4
	s_delay_alu instid0(VALU_DEP_1)
	v_cndmask_b32_e32 v4, 0x7fc0, v4, vcc_lo
.LBB47_2435:
	s_mov_b32 s6, 0
.LBB47_2436:
	s_delay_alu instid0(SALU_CYCLE_1)
	s_and_not1_b32 vcc_lo, exec_lo, s6
	s_cbranch_vccnz .LBB47_2438
; %bb.2437:
	global_load_b32 v3, v[0:1], off
	s_wait_loadcnt 0x0
	v_cvt_f32_f16_e32 v4, v3
	v_cmp_o_f16_e32 vcc_lo, v3, v3
	s_delay_alu instid0(VALU_DEP_2) | instskip(NEXT) | instid1(VALU_DEP_1)
	v_bfe_u32 v5, v4, 16, 1
	v_add3_u32 v4, v4, v5, 0x7fff
	s_delay_alu instid0(VALU_DEP_1) | instskip(NEXT) | instid1(VALU_DEP_1)
	v_lshrrev_b32_e32 v4, 16, v4
	v_cndmask_b32_e32 v4, 0x7fc0, v4, vcc_lo
.LBB47_2438:
	s_mov_b32 s6, 0
.LBB47_2439:
	s_delay_alu instid0(SALU_CYCLE_1)
	s_and_not1_b32 vcc_lo, exec_lo, s6
	s_cbranch_vccnz .LBB47_2450
; %bb.2440:
	s_cmp_lt_i32 s0, 6
	s_cbranch_scc1 .LBB47_2443
; %bb.2441:
	s_cmp_gt_i32 s0, 6
	s_cbranch_scc0 .LBB47_2444
; %bb.2442:
	s_wait_loadcnt 0x0
	global_load_b64 v[4:5], v[0:1], off
	s_mov_b32 s6, 0
	s_wait_loadcnt 0x0
	v_cvt_f32_f64_e32 v3, v[4:5]
	s_delay_alu instid0(VALU_DEP_1) | instskip(SKIP_1) | instid1(VALU_DEP_2)
	v_bfe_u32 v4, v3, 16, 1
	v_cmp_o_f32_e32 vcc_lo, v3, v3
	v_add3_u32 v4, v3, v4, 0x7fff
	s_delay_alu instid0(VALU_DEP_1) | instskip(NEXT) | instid1(VALU_DEP_1)
	v_lshrrev_b32_e32 v4, 16, v4
	v_cndmask_b32_e32 v4, 0x7fc0, v4, vcc_lo
	s_branch .LBB47_2445
.LBB47_2443:
	s_mov_b32 s6, -1
                                        ; implicit-def: $vgpr4
	s_branch .LBB47_2448
.LBB47_2444:
	s_mov_b32 s6, -1
                                        ; implicit-def: $vgpr4
.LBB47_2445:
	s_delay_alu instid0(SALU_CYCLE_1)
	s_and_not1_b32 vcc_lo, exec_lo, s6
	s_cbranch_vccnz .LBB47_2447
; %bb.2446:
	global_load_b32 v3, v[0:1], off
	s_wait_loadcnt 0x0
	v_bfe_u32 v4, v3, 16, 1
	v_cmp_o_f32_e32 vcc_lo, v3, v3
	s_delay_alu instid0(VALU_DEP_2) | instskip(NEXT) | instid1(VALU_DEP_1)
	v_add3_u32 v4, v3, v4, 0x7fff
	v_lshrrev_b32_e32 v4, 16, v4
	s_delay_alu instid0(VALU_DEP_1)
	v_cndmask_b32_e32 v4, 0x7fc0, v4, vcc_lo
.LBB47_2447:
	s_mov_b32 s6, 0
.LBB47_2448:
	s_delay_alu instid0(SALU_CYCLE_1)
	s_and_not1_b32 vcc_lo, exec_lo, s6
	s_cbranch_vccnz .LBB47_2450
; %bb.2449:
	global_load_u16 v3, v[0:1], off
	s_wait_loadcnt 0x0
	v_cvt_f32_f16_e32 v4, v3
	v_cmp_o_f16_e32 vcc_lo, v3, v3
	s_delay_alu instid0(VALU_DEP_2) | instskip(NEXT) | instid1(VALU_DEP_1)
	v_bfe_u32 v5, v4, 16, 1
	v_add3_u32 v4, v4, v5, 0x7fff
	s_delay_alu instid0(VALU_DEP_1) | instskip(NEXT) | instid1(VALU_DEP_1)
	v_lshrrev_b32_e32 v4, 16, v4
	v_cndmask_b32_e32 v4, 0x7fc0, v4, vcc_lo
.LBB47_2450:
	s_mov_b32 s6, 0
.LBB47_2451:
	s_delay_alu instid0(SALU_CYCLE_1)
	s_and_not1_b32 vcc_lo, exec_lo, s6
	s_cbranch_vccnz .LBB47_2471
; %bb.2452:
	s_cmp_lt_i32 s0, 2
	s_cbranch_scc1 .LBB47_2456
; %bb.2453:
	s_cmp_lt_i32 s0, 3
	s_cbranch_scc1 .LBB47_2457
; %bb.2454:
	s_cmp_gt_i32 s0, 3
	s_cbranch_scc0 .LBB47_2458
; %bb.2455:
	s_wait_loadcnt 0x0
	global_load_b64 v[4:5], v[0:1], off
	s_mov_b32 s6, 0
	s_wait_loadcnt 0x0
	v_xor_b32_e32 v3, v4, v5
	v_cls_i32_e32 v10, v5
	s_delay_alu instid0(VALU_DEP_2) | instskip(NEXT) | instid1(VALU_DEP_1)
	v_ashrrev_i32_e32 v3, 31, v3
	v_add_nc_u32_e32 v3, 32, v3
	s_delay_alu instid0(VALU_DEP_1) | instskip(NEXT) | instid1(VALU_DEP_1)
	v_add_min_u32_e64 v3, v10, -1, v3
	v_lshlrev_b64_e32 v[4:5], v3, v[4:5]
	v_sub_nc_u32_e32 v3, 32, v3
	s_delay_alu instid0(VALU_DEP_2) | instskip(NEXT) | instid1(VALU_DEP_1)
	v_min_u32_e32 v4, 1, v4
	v_or_b32_e32 v4, v5, v4
	s_delay_alu instid0(VALU_DEP_1) | instskip(NEXT) | instid1(VALU_DEP_1)
	v_cvt_f32_i32_e32 v4, v4
	v_ldexp_f32 v3, v4, v3
	s_delay_alu instid0(VALU_DEP_1) | instskip(NEXT) | instid1(VALU_DEP_1)
	v_bfe_u32 v4, v3, 16, 1
	v_add3_u32 v3, v3, v4, 0x7fff
	s_delay_alu instid0(VALU_DEP_1)
	v_lshrrev_b32_e32 v4, 16, v3
	s_branch .LBB47_2459
.LBB47_2456:
	s_mov_b32 s6, -1
                                        ; implicit-def: $vgpr4
	s_branch .LBB47_2465
.LBB47_2457:
	s_mov_b32 s6, -1
                                        ; implicit-def: $vgpr4
	s_branch .LBB47_2462
.LBB47_2458:
	s_mov_b32 s6, -1
                                        ; implicit-def: $vgpr4
.LBB47_2459:
	s_delay_alu instid0(SALU_CYCLE_1)
	s_and_not1_b32 vcc_lo, exec_lo, s6
	s_cbranch_vccnz .LBB47_2461
; %bb.2460:
	global_load_b32 v3, v[0:1], off
	s_wait_loadcnt 0x0
	v_cvt_f32_i32_e32 v3, v3
	s_delay_alu instid0(VALU_DEP_1) | instskip(NEXT) | instid1(VALU_DEP_1)
	v_bfe_u32 v4, v3, 16, 1
	v_add3_u32 v3, v3, v4, 0x7fff
	s_delay_alu instid0(VALU_DEP_1)
	v_lshrrev_b32_e32 v4, 16, v3
.LBB47_2461:
	s_mov_b32 s6, 0
.LBB47_2462:
	s_delay_alu instid0(SALU_CYCLE_1)
	s_and_not1_b32 vcc_lo, exec_lo, s6
	s_cbranch_vccnz .LBB47_2464
; %bb.2463:
	global_load_i16 v3, v[0:1], off
	s_wait_loadcnt 0x0
	v_cvt_f32_i32_e32 v3, v3
	s_delay_alu instid0(VALU_DEP_1) | instskip(NEXT) | instid1(VALU_DEP_1)
	v_bfe_u32 v4, v3, 16, 1
	v_add3_u32 v3, v3, v4, 0x7fff
	s_delay_alu instid0(VALU_DEP_1)
	v_lshrrev_b32_e32 v4, 16, v3
.LBB47_2464:
	s_mov_b32 s6, 0
.LBB47_2465:
	s_delay_alu instid0(SALU_CYCLE_1)
	s_and_not1_b32 vcc_lo, exec_lo, s6
	s_cbranch_vccnz .LBB47_2471
; %bb.2466:
	s_cmp_gt_i32 s0, 0
	s_mov_b32 s0, 0
	s_cbranch_scc0 .LBB47_2468
; %bb.2467:
	global_load_i8 v3, v[0:1], off
	s_wait_loadcnt 0x0
	v_cvt_f32_i32_e32 v3, v3
	s_delay_alu instid0(VALU_DEP_1) | instskip(NEXT) | instid1(VALU_DEP_1)
	v_bfe_u32 v4, v3, 16, 1
	v_add3_u32 v3, v3, v4, 0x7fff
	s_delay_alu instid0(VALU_DEP_1)
	v_lshrrev_b32_e32 v4, 16, v3
	s_branch .LBB47_2469
.LBB47_2468:
	s_mov_b32 s0, -1
                                        ; implicit-def: $vgpr4
.LBB47_2469:
	s_delay_alu instid0(SALU_CYCLE_1)
	s_and_not1_b32 vcc_lo, exec_lo, s0
	s_cbranch_vccnz .LBB47_2471
; %bb.2470:
	global_load_u8 v0, v[0:1], off
	s_wait_loadcnt 0x0
	v_cvt_f32_ubyte0_e32 v0, v0
	s_delay_alu instid0(VALU_DEP_1) | instskip(NEXT) | instid1(VALU_DEP_1)
	v_bfe_u32 v1, v0, 16, 1
	v_add3_u32 v0, v0, v1, 0x7fff
	s_delay_alu instid0(VALU_DEP_1)
	v_lshrrev_b32_e32 v4, 16, v0
.LBB47_2471:
	s_mov_b32 s13, -1
.LBB47_2472:
	s_delay_alu instid0(SALU_CYCLE_1)
	s_and_not1_b32 vcc_lo, exec_lo, s13
	s_cbranch_vccnz .LBB47_2684
; %bb.2473:
	s_wait_xcnt 0x0
	v_add_nc_u32_e32 v0, s10, v2
	s_cmp_lt_i32 s1, 11
	s_delay_alu instid0(VALU_DEP_1) | instskip(NEXT) | instid1(VALU_DEP_1)
	v_ashrrev_i32_e32 v1, 31, v0
	v_add_nc_u64_e32 v[0:1], s[2:3], v[0:1]
	s_cbranch_scc1 .LBB47_2480
; %bb.2474:
	s_and_b32 s0, 0xffff, s1
	s_mov_b32 s3, 0
	s_cmp_gt_i32 s0, 25
	s_cbranch_scc0 .LBB47_2481
; %bb.2475:
	s_cmp_gt_i32 s0, 28
	s_cbranch_scc0 .LBB47_2482
; %bb.2476:
	;; [unrolled: 3-line block ×4, first 2 shown]
	s_cmp_eq_u32 s0, 46
	s_mov_b32 s7, 0
	s_cbranch_scc0 .LBB47_2486
; %bb.2479:
	global_load_b32 v2, v[0:1], off
	s_mov_b32 s2, 0
	s_mov_b32 s6, -1
	s_branch .LBB47_2488
.LBB47_2480:
	s_mov_b32 s0, -1
	s_mov_b32 s6, 0
                                        ; implicit-def: $vgpr2
	s_branch .LBB47_2554
.LBB47_2481:
	s_mov_b32 s7, -1
	s_mov_b32 s6, 0
	s_mov_b32 s2, 0
                                        ; implicit-def: $vgpr2
	s_branch .LBB47_2517
.LBB47_2482:
	s_mov_b32 s7, -1
	s_mov_b32 s6, 0
	s_mov_b32 s2, 0
                                        ; implicit-def: $vgpr2
	s_branch .LBB47_2498
.LBB47_2483:
	s_mov_b32 s7, -1
	s_mov_b32 s6, 0
	s_mov_b32 s2, 0
                                        ; implicit-def: $vgpr2
	s_branch .LBB47_2493
.LBB47_2484:
	s_or_b32 s12, s12, exec_lo
	s_trap 2
	s_cbranch_execz .LBB47_2421
	s_branch .LBB47_2422
.LBB47_2485:
	s_mov_b32 s7, -1
	s_mov_b32 s6, 0
	s_mov_b32 s2, 0
	s_branch .LBB47_2487
.LBB47_2486:
	s_mov_b32 s2, -1
	s_mov_b32 s6, 0
.LBB47_2487:
                                        ; implicit-def: $vgpr2
.LBB47_2488:
	s_and_b32 vcc_lo, exec_lo, s7
	s_cbranch_vccz .LBB47_2492
; %bb.2489:
	s_cmp_eq_u32 s0, 44
	s_cbranch_scc0 .LBB47_2491
; %bb.2490:
	s_wait_loadcnt 0x0
	global_load_u8 v2, v[0:1], off
	s_mov_b32 s2, 0
	s_mov_b32 s6, -1
	s_wait_loadcnt 0x0
	v_lshlrev_b32_e32 v3, 23, v2
	v_cmp_ne_u32_e32 vcc_lo, 0xff, v2
	s_delay_alu instid0(VALU_DEP_2) | instskip(SKIP_1) | instid1(VALU_DEP_2)
	v_cndmask_b32_e32 v3, 0x7f800001, v3, vcc_lo
	v_cmp_ne_u32_e32 vcc_lo, 0, v2
	v_cndmask_b32_e32 v2, 0x400000, v3, vcc_lo
	s_delay_alu instid0(VALU_DEP_1) | instskip(NEXT) | instid1(VALU_DEP_1)
	v_add_nc_u32_e32 v3, 0x7fff, v2
	v_lshrrev_b32_e32 v3, 16, v3
	v_cmp_o_f32_e32 vcc_lo, v2, v2
	s_delay_alu instid0(VALU_DEP_2)
	v_cndmask_b32_e32 v2, 0x7fc0, v3, vcc_lo
	s_branch .LBB47_2492
.LBB47_2491:
	s_mov_b32 s2, -1
                                        ; implicit-def: $vgpr2
.LBB47_2492:
	s_mov_b32 s7, 0
.LBB47_2493:
	s_delay_alu instid0(SALU_CYCLE_1)
	s_and_b32 vcc_lo, exec_lo, s7
	s_cbranch_vccz .LBB47_2497
; %bb.2494:
	s_cmp_eq_u32 s0, 29
	s_cbranch_scc0 .LBB47_2496
; %bb.2495:
	s_wait_loadcnt 0x0
	global_load_b64 v[2:3], v[0:1], off
	s_mov_b32 s2, 0
	s_mov_b32 s6, -1
	s_mov_b32 s7, 0
	s_wait_loadcnt 0x0
	v_clz_i32_u32_e32 v5, v3
	s_delay_alu instid0(VALU_DEP_1) | instskip(NEXT) | instid1(VALU_DEP_1)
	v_min_u32_e32 v5, 32, v5
	v_lshlrev_b64_e32 v[2:3], v5, v[2:3]
	s_delay_alu instid0(VALU_DEP_1) | instskip(NEXT) | instid1(VALU_DEP_1)
	v_min_u32_e32 v2, 1, v2
	v_dual_sub_nc_u32 v3, 32, v5 :: v_dual_bitop2_b32 v2, v3, v2 bitop3:0x54
	s_delay_alu instid0(VALU_DEP_1) | instskip(NEXT) | instid1(VALU_DEP_1)
	v_cvt_f32_u32_e32 v2, v2
	v_ldexp_f32 v2, v2, v3
	s_delay_alu instid0(VALU_DEP_1) | instskip(NEXT) | instid1(VALU_DEP_1)
	v_bfe_u32 v3, v2, 16, 1
	v_add3_u32 v2, v2, v3, 0x7fff
	s_delay_alu instid0(VALU_DEP_1)
	v_lshrrev_b32_e32 v2, 16, v2
	s_branch .LBB47_2498
.LBB47_2496:
	s_mov_b32 s2, -1
                                        ; implicit-def: $vgpr2
.LBB47_2497:
	s_mov_b32 s7, 0
.LBB47_2498:
	s_delay_alu instid0(SALU_CYCLE_1)
	s_and_b32 vcc_lo, exec_lo, s7
	s_cbranch_vccz .LBB47_2516
; %bb.2499:
	s_cmp_lt_i32 s0, 27
	s_cbranch_scc1 .LBB47_2502
; %bb.2500:
	s_cmp_gt_i32 s0, 27
	s_cbranch_scc0 .LBB47_2503
; %bb.2501:
	s_wait_loadcnt 0x0
	global_load_b32 v2, v[0:1], off
	s_mov_b32 s6, 0
	s_wait_loadcnt 0x0
	v_cvt_f32_u32_e32 v2, v2
	s_delay_alu instid0(VALU_DEP_1) | instskip(NEXT) | instid1(VALU_DEP_1)
	v_bfe_u32 v3, v2, 16, 1
	v_add3_u32 v2, v2, v3, 0x7fff
	s_delay_alu instid0(VALU_DEP_1)
	v_lshrrev_b32_e32 v2, 16, v2
	s_branch .LBB47_2504
.LBB47_2502:
	s_mov_b32 s6, -1
                                        ; implicit-def: $vgpr2
	s_branch .LBB47_2507
.LBB47_2503:
	s_mov_b32 s6, -1
                                        ; implicit-def: $vgpr2
.LBB47_2504:
	s_delay_alu instid0(SALU_CYCLE_1)
	s_and_not1_b32 vcc_lo, exec_lo, s6
	s_cbranch_vccnz .LBB47_2506
; %bb.2505:
	s_wait_loadcnt 0x0
	global_load_u16 v2, v[0:1], off
	s_wait_loadcnt 0x0
	v_cvt_f32_u32_e32 v2, v2
	s_delay_alu instid0(VALU_DEP_1) | instskip(NEXT) | instid1(VALU_DEP_1)
	v_bfe_u32 v3, v2, 16, 1
	v_add3_u32 v2, v2, v3, 0x7fff
	s_delay_alu instid0(VALU_DEP_1)
	v_lshrrev_b32_e32 v2, 16, v2
.LBB47_2506:
	s_mov_b32 s6, 0
.LBB47_2507:
	s_delay_alu instid0(SALU_CYCLE_1)
	s_and_not1_b32 vcc_lo, exec_lo, s6
	s_cbranch_vccnz .LBB47_2515
; %bb.2508:
	s_wait_loadcnt 0x0
	global_load_u8 v2, v[0:1], off
	s_mov_b32 s6, 0
	s_mov_b32 s7, exec_lo
	s_wait_loadcnt 0x0
	v_cmpx_lt_i16_e32 0x7f, v2
	s_xor_b32 s7, exec_lo, s7
	s_cbranch_execz .LBB47_2529
; %bb.2509:
	s_mov_b32 s6, -1
	s_mov_b32 s9, exec_lo
	v_cmpx_eq_u16_e32 0x80, v2
; %bb.2510:
	s_xor_b32 s6, exec_lo, -1
; %bb.2511:
	s_or_b32 exec_lo, exec_lo, s9
	s_delay_alu instid0(SALU_CYCLE_1)
	s_and_b32 s6, s6, exec_lo
	s_or_saveexec_b32 s7, s7
	v_mov_b32_e32 v3, 0x7f800001
	s_xor_b32 exec_lo, exec_lo, s7
	s_cbranch_execnz .LBB47_2530
.LBB47_2512:
	s_or_b32 exec_lo, exec_lo, s7
	s_and_saveexec_b32 s7, s6
	s_cbranch_execz .LBB47_2514
.LBB47_2513:
	v_and_b32_e32 v3, 0xffff, v2
	s_delay_alu instid0(VALU_DEP_1) | instskip(SKIP_1) | instid1(VALU_DEP_2)
	v_and_b32_e32 v5, 7, v3
	v_bfe_u32 v12, v3, 3, 4
	v_clz_i32_u32_e32 v10, v5
	s_delay_alu instid0(VALU_DEP_2) | instskip(NEXT) | instid1(VALU_DEP_2)
	v_cmp_eq_u32_e32 vcc_lo, 0, v12
	v_min_u32_e32 v10, 32, v10
	s_delay_alu instid0(VALU_DEP_1) | instskip(NEXT) | instid1(VALU_DEP_1)
	v_subrev_nc_u32_e32 v11, 28, v10
	v_dual_lshlrev_b32 v3, v11, v3 :: v_dual_sub_nc_u32 v10, 29, v10
	s_delay_alu instid0(VALU_DEP_1) | instskip(NEXT) | instid1(VALU_DEP_1)
	v_dual_lshlrev_b32 v2, 24, v2 :: v_dual_bitop2_b32 v3, 7, v3 bitop3:0x40
	v_dual_cndmask_b32 v3, v5, v3 :: v_dual_cndmask_b32 v10, v12, v10
	s_delay_alu instid0(VALU_DEP_2) | instskip(NEXT) | instid1(VALU_DEP_2)
	v_and_b32_e32 v2, 0x80000000, v2
	v_lshlrev_b32_e32 v3, 20, v3
	s_delay_alu instid0(VALU_DEP_3) | instskip(NEXT) | instid1(VALU_DEP_1)
	v_lshl_add_u32 v5, v10, 23, 0x3b800000
	v_or3_b32 v3, v2, v5, v3
.LBB47_2514:
	s_or_b32 exec_lo, exec_lo, s7
	s_delay_alu instid0(VALU_DEP_1) | instskip(SKIP_1) | instid1(VALU_DEP_2)
	v_bfe_u32 v2, v3, 16, 1
	v_cmp_o_f32_e32 vcc_lo, v3, v3
	v_add3_u32 v2, v3, v2, 0x7fff
	s_delay_alu instid0(VALU_DEP_1) | instskip(NEXT) | instid1(VALU_DEP_1)
	v_lshrrev_b32_e32 v2, 16, v2
	v_cndmask_b32_e32 v2, 0x7fc0, v2, vcc_lo
.LBB47_2515:
	s_mov_b32 s6, -1
.LBB47_2516:
	s_mov_b32 s7, 0
.LBB47_2517:
	s_delay_alu instid0(SALU_CYCLE_1)
	s_and_b32 vcc_lo, exec_lo, s7
	s_cbranch_vccz .LBB47_2550
; %bb.2518:
	s_cmp_gt_i32 s0, 22
	s_cbranch_scc0 .LBB47_2528
; %bb.2519:
	s_cmp_lt_i32 s0, 24
	s_cbranch_scc1 .LBB47_2531
; %bb.2520:
	s_cmp_gt_i32 s0, 24
	s_cbranch_scc0 .LBB47_2532
; %bb.2521:
	s_wait_loadcnt 0x0
	global_load_u8 v2, v[0:1], off
	s_mov_b32 s6, exec_lo
	s_wait_loadcnt 0x0
	v_cmpx_lt_i16_e32 0x7f, v2
	s_xor_b32 s6, exec_lo, s6
	s_cbranch_execz .LBB47_2544
; %bb.2522:
	s_mov_b32 s3, -1
	s_mov_b32 s7, exec_lo
	v_cmpx_eq_u16_e32 0x80, v2
; %bb.2523:
	s_xor_b32 s3, exec_lo, -1
; %bb.2524:
	s_or_b32 exec_lo, exec_lo, s7
	s_delay_alu instid0(SALU_CYCLE_1)
	s_and_b32 s3, s3, exec_lo
	s_or_saveexec_b32 s6, s6
	v_mov_b32_e32 v3, 0x7f800001
	s_xor_b32 exec_lo, exec_lo, s6
	s_cbranch_execnz .LBB47_2545
.LBB47_2525:
	s_or_b32 exec_lo, exec_lo, s6
	s_and_saveexec_b32 s6, s3
	s_cbranch_execz .LBB47_2527
.LBB47_2526:
	v_and_b32_e32 v3, 0xffff, v2
	s_delay_alu instid0(VALU_DEP_1) | instskip(SKIP_1) | instid1(VALU_DEP_2)
	v_and_b32_e32 v5, 3, v3
	v_bfe_u32 v12, v3, 2, 5
	v_clz_i32_u32_e32 v10, v5
	s_delay_alu instid0(VALU_DEP_2) | instskip(NEXT) | instid1(VALU_DEP_2)
	v_cmp_eq_u32_e32 vcc_lo, 0, v12
	v_min_u32_e32 v10, 32, v10
	s_delay_alu instid0(VALU_DEP_1) | instskip(NEXT) | instid1(VALU_DEP_1)
	v_subrev_nc_u32_e32 v11, 29, v10
	v_dual_lshlrev_b32 v3, v11, v3 :: v_dual_sub_nc_u32 v10, 30, v10
	s_delay_alu instid0(VALU_DEP_1) | instskip(NEXT) | instid1(VALU_DEP_1)
	v_dual_lshlrev_b32 v2, 24, v2 :: v_dual_bitop2_b32 v3, 3, v3 bitop3:0x40
	v_dual_cndmask_b32 v3, v5, v3 :: v_dual_cndmask_b32 v10, v12, v10
	s_delay_alu instid0(VALU_DEP_2) | instskip(NEXT) | instid1(VALU_DEP_2)
	v_and_b32_e32 v2, 0x80000000, v2
	v_lshlrev_b32_e32 v3, 21, v3
	s_delay_alu instid0(VALU_DEP_3) | instskip(NEXT) | instid1(VALU_DEP_1)
	v_lshl_add_u32 v5, v10, 23, 0x37800000
	v_or3_b32 v3, v2, v5, v3
.LBB47_2527:
	s_or_b32 exec_lo, exec_lo, s6
	s_delay_alu instid0(VALU_DEP_1) | instskip(SKIP_2) | instid1(VALU_DEP_2)
	v_bfe_u32 v2, v3, 16, 1
	v_cmp_o_f32_e32 vcc_lo, v3, v3
	s_mov_b32 s3, 0
	v_add3_u32 v2, v3, v2, 0x7fff
	s_delay_alu instid0(VALU_DEP_1) | instskip(NEXT) | instid1(VALU_DEP_1)
	v_lshrrev_b32_e32 v2, 16, v2
	v_cndmask_b32_e32 v2, 0x7fc0, v2, vcc_lo
	s_branch .LBB47_2533
.LBB47_2528:
	s_mov_b32 s3, -1
                                        ; implicit-def: $vgpr2
	s_branch .LBB47_2539
.LBB47_2529:
	s_or_saveexec_b32 s7, s7
	v_mov_b32_e32 v3, 0x7f800001
	s_xor_b32 exec_lo, exec_lo, s7
	s_cbranch_execz .LBB47_2512
.LBB47_2530:
	v_cmp_ne_u16_e32 vcc_lo, 0, v2
	v_mov_b32_e32 v3, 0
	s_and_not1_b32 s6, s6, exec_lo
	s_and_b32 s9, vcc_lo, exec_lo
	s_delay_alu instid0(SALU_CYCLE_1)
	s_or_b32 s6, s6, s9
	s_or_b32 exec_lo, exec_lo, s7
	s_and_saveexec_b32 s7, s6
	s_cbranch_execnz .LBB47_2513
	s_branch .LBB47_2514
.LBB47_2531:
	s_mov_b32 s3, -1
                                        ; implicit-def: $vgpr2
	s_branch .LBB47_2536
.LBB47_2532:
	s_mov_b32 s3, -1
                                        ; implicit-def: $vgpr2
.LBB47_2533:
	s_delay_alu instid0(SALU_CYCLE_1)
	s_and_b32 vcc_lo, exec_lo, s3
	s_cbranch_vccz .LBB47_2535
; %bb.2534:
	s_wait_loadcnt 0x0
	global_load_u8 v2, v[0:1], off
	s_wait_loadcnt 0x0
	v_lshlrev_b32_e32 v2, 24, v2
	s_delay_alu instid0(VALU_DEP_1) | instskip(NEXT) | instid1(VALU_DEP_1)
	v_and_b32_e32 v3, 0x7f000000, v2
	v_clz_i32_u32_e32 v5, v3
	v_add_nc_u32_e32 v11, 0x1000000, v3
	v_cmp_ne_u32_e32 vcc_lo, 0, v3
	s_delay_alu instid0(VALU_DEP_3) | instskip(NEXT) | instid1(VALU_DEP_1)
	v_min_u32_e32 v5, 32, v5
	v_sub_nc_u32_e64 v5, v5, 4 clamp
	s_delay_alu instid0(VALU_DEP_1) | instskip(NEXT) | instid1(VALU_DEP_1)
	v_dual_lshlrev_b32 v10, v5, v3 :: v_dual_lshlrev_b32 v5, 23, v5
	v_lshrrev_b32_e32 v10, 4, v10
	s_delay_alu instid0(VALU_DEP_1) | instskip(NEXT) | instid1(VALU_DEP_1)
	v_dual_sub_nc_u32 v5, v10, v5 :: v_dual_ashrrev_i32 v10, 8, v11
	v_add_nc_u32_e32 v5, 0x3c000000, v5
	s_delay_alu instid0(VALU_DEP_1) | instskip(NEXT) | instid1(VALU_DEP_1)
	v_and_or_b32 v5, 0x7f800000, v10, v5
	v_cndmask_b32_e32 v3, 0, v5, vcc_lo
	s_delay_alu instid0(VALU_DEP_1) | instskip(SKIP_1) | instid1(VALU_DEP_2)
	v_and_or_b32 v2, 0x80000000, v2, v3
	v_bfe_u32 v3, v3, 16, 1
	v_cmp_o_f32_e32 vcc_lo, v2, v2
	s_delay_alu instid0(VALU_DEP_2) | instskip(NEXT) | instid1(VALU_DEP_1)
	v_add3_u32 v3, v2, v3, 0x7fff
	v_lshrrev_b32_e32 v3, 16, v3
	s_delay_alu instid0(VALU_DEP_1)
	v_cndmask_b32_e32 v2, 0x7fc0, v3, vcc_lo
.LBB47_2535:
	s_mov_b32 s3, 0
.LBB47_2536:
	s_delay_alu instid0(SALU_CYCLE_1)
	s_and_not1_b32 vcc_lo, exec_lo, s3
	s_cbranch_vccnz .LBB47_2538
; %bb.2537:
	s_wait_loadcnt 0x0
	global_load_u8 v2, v[0:1], off
	s_wait_loadcnt 0x0
	v_lshlrev_b32_e32 v3, 25, v2
	v_lshlrev_b16 v2, 8, v2
	s_delay_alu instid0(VALU_DEP_2) | instskip(NEXT) | instid1(VALU_DEP_2)
	v_cmp_gt_u32_e32 vcc_lo, 0x8000000, v3
	v_and_or_b32 v10, 0x7f00, v2, 0.5
	v_lshrrev_b32_e32 v5, 4, v3
	v_bfe_i32 v2, v2, 0, 16
	s_delay_alu instid0(VALU_DEP_3) | instskip(NEXT) | instid1(VALU_DEP_3)
	v_add_f32_e32 v10, -0.5, v10
	v_or_b32_e32 v5, 0x70000000, v5
	s_delay_alu instid0(VALU_DEP_1) | instskip(NEXT) | instid1(VALU_DEP_1)
	v_mul_f32_e32 v5, 0x7800000, v5
	v_cndmask_b32_e32 v3, v5, v10, vcc_lo
	s_delay_alu instid0(VALU_DEP_1) | instskip(SKIP_1) | instid1(VALU_DEP_2)
	v_and_or_b32 v2, 0x80000000, v2, v3
	v_bfe_u32 v3, v3, 16, 1
	v_cmp_o_f32_e32 vcc_lo, v2, v2
	s_delay_alu instid0(VALU_DEP_2) | instskip(NEXT) | instid1(VALU_DEP_1)
	v_add3_u32 v3, v2, v3, 0x7fff
	v_lshrrev_b32_e32 v3, 16, v3
	s_delay_alu instid0(VALU_DEP_1)
	v_cndmask_b32_e32 v2, 0x7fc0, v3, vcc_lo
.LBB47_2538:
	s_mov_b32 s3, 0
	s_mov_b32 s6, -1
.LBB47_2539:
	s_and_not1_b32 vcc_lo, exec_lo, s3
	s_mov_b32 s3, 0
	s_cbranch_vccnz .LBB47_2550
; %bb.2540:
	s_cmp_gt_i32 s0, 14
	s_cbranch_scc0 .LBB47_2543
; %bb.2541:
	s_cmp_eq_u32 s0, 15
	s_cbranch_scc0 .LBB47_2546
; %bb.2542:
	s_wait_loadcnt 0x0
	global_load_u16 v2, v[0:1], off
	s_mov_b32 s2, 0
	s_mov_b32 s6, -1
	s_branch .LBB47_2548
.LBB47_2543:
	s_mov_b32 s3, -1
	s_branch .LBB47_2547
.LBB47_2544:
	s_or_saveexec_b32 s6, s6
	v_mov_b32_e32 v3, 0x7f800001
	s_xor_b32 exec_lo, exec_lo, s6
	s_cbranch_execz .LBB47_2525
.LBB47_2545:
	v_cmp_ne_u16_e32 vcc_lo, 0, v2
	v_mov_b32_e32 v3, 0
	s_and_not1_b32 s3, s3, exec_lo
	s_and_b32 s7, vcc_lo, exec_lo
	s_delay_alu instid0(SALU_CYCLE_1)
	s_or_b32 s3, s3, s7
	s_or_b32 exec_lo, exec_lo, s6
	s_and_saveexec_b32 s6, s3
	s_cbranch_execnz .LBB47_2526
	s_branch .LBB47_2527
.LBB47_2546:
	s_mov_b32 s2, -1
.LBB47_2547:
                                        ; implicit-def: $vgpr2
.LBB47_2548:
	s_and_b32 vcc_lo, exec_lo, s3
	s_mov_b32 s3, 0
	s_cbranch_vccz .LBB47_2550
; %bb.2549:
	s_cmp_lg_u32 s0, 11
	s_mov_b32 s3, -1
	s_cselect_b32 s2, -1, 0
.LBB47_2550:
	s_delay_alu instid0(SALU_CYCLE_1)
	s_and_b32 vcc_lo, exec_lo, s2
	s_cbranch_vccnz .LBB47_3086
; %bb.2551:
	s_and_not1_b32 vcc_lo, exec_lo, s3
	s_cbranch_vccnz .LBB47_2553
.LBB47_2552:
	s_wait_loadcnt 0x0
	global_load_u8 v2, v[0:1], off
	s_mov_b32 s6, -1
	s_wait_loadcnt 0x0
	v_cmp_ne_u16_e32 vcc_lo, 0, v2
	v_cndmask_b32_e64 v2, 0, 1.0, vcc_lo
	s_delay_alu instid0(VALU_DEP_1)
	v_lshrrev_b32_e32 v2, 16, v2
.LBB47_2553:
	s_mov_b32 s0, 0
.LBB47_2554:
	s_delay_alu instid0(SALU_CYCLE_1)
	s_and_b32 vcc_lo, exec_lo, s0
	s_cbranch_vccz .LBB47_2603
; %bb.2555:
	s_and_b32 s0, 0xffff, s1
	s_delay_alu instid0(SALU_CYCLE_1)
	s_cmp_lt_i32 s0, 5
	s_cbranch_scc1 .LBB47_2560
; %bb.2556:
	s_cmp_lt_i32 s0, 8
	s_cbranch_scc1 .LBB47_2561
; %bb.2557:
	;; [unrolled: 3-line block ×3, first 2 shown]
	s_cmp_gt_i32 s0, 9
	s_cbranch_scc0 .LBB47_2563
; %bb.2559:
	s_wait_loadcnt 0x0
	global_load_b64 v[2:3], v[0:1], off
	s_mov_b32 s1, 0
	s_wait_loadcnt 0x0
	v_cvt_f32_f64_e32 v2, v[2:3]
	s_delay_alu instid0(VALU_DEP_1) | instskip(SKIP_1) | instid1(VALU_DEP_2)
	v_bfe_u32 v3, v2, 16, 1
	v_cmp_o_f32_e32 vcc_lo, v2, v2
	v_add3_u32 v3, v2, v3, 0x7fff
	s_delay_alu instid0(VALU_DEP_1) | instskip(NEXT) | instid1(VALU_DEP_1)
	v_lshrrev_b32_e32 v3, 16, v3
	v_cndmask_b32_e32 v2, 0x7fc0, v3, vcc_lo
	s_branch .LBB47_2564
.LBB47_2560:
	s_mov_b32 s1, -1
                                        ; implicit-def: $vgpr2
	s_branch .LBB47_2582
.LBB47_2561:
	s_mov_b32 s1, -1
                                        ; implicit-def: $vgpr2
	s_branch .LBB47_2570
.LBB47_2562:
	s_mov_b32 s1, -1
                                        ; implicit-def: $vgpr2
	s_branch .LBB47_2567
.LBB47_2563:
	s_mov_b32 s1, -1
                                        ; implicit-def: $vgpr2
.LBB47_2564:
	s_delay_alu instid0(SALU_CYCLE_1)
	s_and_not1_b32 vcc_lo, exec_lo, s1
	s_cbranch_vccnz .LBB47_2566
; %bb.2565:
	s_wait_loadcnt 0x0
	global_load_b32 v2, v[0:1], off
	s_wait_loadcnt 0x0
	v_bfe_u32 v3, v2, 16, 1
	v_cmp_o_f32_e32 vcc_lo, v2, v2
	s_delay_alu instid0(VALU_DEP_2) | instskip(NEXT) | instid1(VALU_DEP_1)
	v_add3_u32 v3, v2, v3, 0x7fff
	v_lshrrev_b32_e32 v3, 16, v3
	s_delay_alu instid0(VALU_DEP_1)
	v_cndmask_b32_e32 v2, 0x7fc0, v3, vcc_lo
.LBB47_2566:
	s_mov_b32 s1, 0
.LBB47_2567:
	s_delay_alu instid0(SALU_CYCLE_1)
	s_and_not1_b32 vcc_lo, exec_lo, s1
	s_cbranch_vccnz .LBB47_2569
; %bb.2568:
	s_wait_loadcnt 0x0
	global_load_b32 v2, v[0:1], off
	s_wait_loadcnt 0x0
	v_cvt_f32_f16_e32 v3, v2
	v_cmp_o_f16_e32 vcc_lo, v2, v2
	s_delay_alu instid0(VALU_DEP_2) | instskip(NEXT) | instid1(VALU_DEP_1)
	v_bfe_u32 v5, v3, 16, 1
	v_add3_u32 v3, v3, v5, 0x7fff
	s_delay_alu instid0(VALU_DEP_1) | instskip(NEXT) | instid1(VALU_DEP_1)
	v_lshrrev_b32_e32 v3, 16, v3
	v_cndmask_b32_e32 v2, 0x7fc0, v3, vcc_lo
.LBB47_2569:
	s_mov_b32 s1, 0
.LBB47_2570:
	s_delay_alu instid0(SALU_CYCLE_1)
	s_and_not1_b32 vcc_lo, exec_lo, s1
	s_cbranch_vccnz .LBB47_2581
; %bb.2571:
	s_cmp_lt_i32 s0, 6
	s_cbranch_scc1 .LBB47_2574
; %bb.2572:
	s_cmp_gt_i32 s0, 6
	s_cbranch_scc0 .LBB47_2575
; %bb.2573:
	s_wait_loadcnt 0x0
	global_load_b64 v[2:3], v[0:1], off
	s_mov_b32 s1, 0
	s_wait_loadcnt 0x0
	v_cvt_f32_f64_e32 v2, v[2:3]
	s_delay_alu instid0(VALU_DEP_1) | instskip(SKIP_1) | instid1(VALU_DEP_2)
	v_bfe_u32 v3, v2, 16, 1
	v_cmp_o_f32_e32 vcc_lo, v2, v2
	v_add3_u32 v3, v2, v3, 0x7fff
	s_delay_alu instid0(VALU_DEP_1) | instskip(NEXT) | instid1(VALU_DEP_1)
	v_lshrrev_b32_e32 v3, 16, v3
	v_cndmask_b32_e32 v2, 0x7fc0, v3, vcc_lo
	s_branch .LBB47_2576
.LBB47_2574:
	s_mov_b32 s1, -1
                                        ; implicit-def: $vgpr2
	s_branch .LBB47_2579
.LBB47_2575:
	s_mov_b32 s1, -1
                                        ; implicit-def: $vgpr2
.LBB47_2576:
	s_delay_alu instid0(SALU_CYCLE_1)
	s_and_not1_b32 vcc_lo, exec_lo, s1
	s_cbranch_vccnz .LBB47_2578
; %bb.2577:
	s_wait_loadcnt 0x0
	global_load_b32 v2, v[0:1], off
	s_wait_loadcnt 0x0
	v_bfe_u32 v3, v2, 16, 1
	v_cmp_o_f32_e32 vcc_lo, v2, v2
	s_delay_alu instid0(VALU_DEP_2) | instskip(NEXT) | instid1(VALU_DEP_1)
	v_add3_u32 v3, v2, v3, 0x7fff
	v_lshrrev_b32_e32 v3, 16, v3
	s_delay_alu instid0(VALU_DEP_1)
	v_cndmask_b32_e32 v2, 0x7fc0, v3, vcc_lo
.LBB47_2578:
	s_mov_b32 s1, 0
.LBB47_2579:
	s_delay_alu instid0(SALU_CYCLE_1)
	s_and_not1_b32 vcc_lo, exec_lo, s1
	s_cbranch_vccnz .LBB47_2581
; %bb.2580:
	s_wait_loadcnt 0x0
	global_load_u16 v2, v[0:1], off
	s_wait_loadcnt 0x0
	v_cvt_f32_f16_e32 v3, v2
	v_cmp_o_f16_e32 vcc_lo, v2, v2
	s_delay_alu instid0(VALU_DEP_2) | instskip(NEXT) | instid1(VALU_DEP_1)
	v_bfe_u32 v5, v3, 16, 1
	v_add3_u32 v3, v3, v5, 0x7fff
	s_delay_alu instid0(VALU_DEP_1) | instskip(NEXT) | instid1(VALU_DEP_1)
	v_lshrrev_b32_e32 v3, 16, v3
	v_cndmask_b32_e32 v2, 0x7fc0, v3, vcc_lo
.LBB47_2581:
	s_mov_b32 s1, 0
.LBB47_2582:
	s_delay_alu instid0(SALU_CYCLE_1)
	s_and_not1_b32 vcc_lo, exec_lo, s1
	s_cbranch_vccnz .LBB47_2602
; %bb.2583:
	s_cmp_lt_i32 s0, 2
	s_cbranch_scc1 .LBB47_2587
; %bb.2584:
	s_cmp_lt_i32 s0, 3
	s_cbranch_scc1 .LBB47_2588
; %bb.2585:
	s_cmp_gt_i32 s0, 3
	s_cbranch_scc0 .LBB47_2589
; %bb.2586:
	s_wait_loadcnt 0x0
	global_load_b64 v[2:3], v[0:1], off
	s_mov_b32 s1, 0
	s_wait_loadcnt 0x0
	v_xor_b32_e32 v5, v2, v3
	v_cls_i32_e32 v10, v3
	s_delay_alu instid0(VALU_DEP_2) | instskip(NEXT) | instid1(VALU_DEP_1)
	v_ashrrev_i32_e32 v5, 31, v5
	v_add_nc_u32_e32 v5, 32, v5
	s_delay_alu instid0(VALU_DEP_1) | instskip(NEXT) | instid1(VALU_DEP_1)
	v_add_min_u32_e64 v5, v10, -1, v5
	v_lshlrev_b64_e32 v[2:3], v5, v[2:3]
	s_delay_alu instid0(VALU_DEP_1) | instskip(NEXT) | instid1(VALU_DEP_1)
	v_min_u32_e32 v2, 1, v2
	v_dual_sub_nc_u32 v3, 32, v5 :: v_dual_bitop2_b32 v2, v3, v2 bitop3:0x54
	s_delay_alu instid0(VALU_DEP_1) | instskip(NEXT) | instid1(VALU_DEP_1)
	v_cvt_f32_i32_e32 v2, v2
	v_ldexp_f32 v2, v2, v3
	s_delay_alu instid0(VALU_DEP_1) | instskip(NEXT) | instid1(VALU_DEP_1)
	v_bfe_u32 v3, v2, 16, 1
	v_add3_u32 v2, v2, v3, 0x7fff
	s_delay_alu instid0(VALU_DEP_1)
	v_lshrrev_b32_e32 v2, 16, v2
	s_branch .LBB47_2590
.LBB47_2587:
	s_mov_b32 s1, -1
                                        ; implicit-def: $vgpr2
	s_branch .LBB47_2596
.LBB47_2588:
	s_mov_b32 s1, -1
                                        ; implicit-def: $vgpr2
	s_branch .LBB47_2593
.LBB47_2589:
	s_mov_b32 s1, -1
                                        ; implicit-def: $vgpr2
.LBB47_2590:
	s_delay_alu instid0(SALU_CYCLE_1)
	s_and_not1_b32 vcc_lo, exec_lo, s1
	s_cbranch_vccnz .LBB47_2592
; %bb.2591:
	s_wait_loadcnt 0x0
	global_load_b32 v2, v[0:1], off
	s_wait_loadcnt 0x0
	v_cvt_f32_i32_e32 v2, v2
	s_delay_alu instid0(VALU_DEP_1) | instskip(NEXT) | instid1(VALU_DEP_1)
	v_bfe_u32 v3, v2, 16, 1
	v_add3_u32 v2, v2, v3, 0x7fff
	s_delay_alu instid0(VALU_DEP_1)
	v_lshrrev_b32_e32 v2, 16, v2
.LBB47_2592:
	s_mov_b32 s1, 0
.LBB47_2593:
	s_delay_alu instid0(SALU_CYCLE_1)
	s_and_not1_b32 vcc_lo, exec_lo, s1
	s_cbranch_vccnz .LBB47_2595
; %bb.2594:
	s_wait_loadcnt 0x0
	global_load_i16 v2, v[0:1], off
	s_wait_loadcnt 0x0
	v_cvt_f32_i32_e32 v2, v2
	s_delay_alu instid0(VALU_DEP_1) | instskip(NEXT) | instid1(VALU_DEP_1)
	v_bfe_u32 v3, v2, 16, 1
	v_add3_u32 v2, v2, v3, 0x7fff
	s_delay_alu instid0(VALU_DEP_1)
	v_lshrrev_b32_e32 v2, 16, v2
.LBB47_2595:
	s_mov_b32 s1, 0
.LBB47_2596:
	s_delay_alu instid0(SALU_CYCLE_1)
	s_and_not1_b32 vcc_lo, exec_lo, s1
	s_cbranch_vccnz .LBB47_2602
; %bb.2597:
	s_cmp_gt_i32 s0, 0
	s_mov_b32 s0, 0
	s_cbranch_scc0 .LBB47_2599
; %bb.2598:
	s_wait_loadcnt 0x0
	global_load_i8 v2, v[0:1], off
	s_wait_loadcnt 0x0
	v_cvt_f32_i32_e32 v2, v2
	s_delay_alu instid0(VALU_DEP_1) | instskip(NEXT) | instid1(VALU_DEP_1)
	v_bfe_u32 v3, v2, 16, 1
	v_add3_u32 v2, v2, v3, 0x7fff
	s_delay_alu instid0(VALU_DEP_1)
	v_lshrrev_b32_e32 v2, 16, v2
	s_branch .LBB47_2600
.LBB47_2599:
	s_mov_b32 s0, -1
                                        ; implicit-def: $vgpr2
.LBB47_2600:
	s_delay_alu instid0(SALU_CYCLE_1)
	s_and_not1_b32 vcc_lo, exec_lo, s0
	s_cbranch_vccnz .LBB47_2602
; %bb.2601:
	global_load_u8 v0, v[0:1], off
	s_wait_loadcnt 0x0
	v_cvt_f32_ubyte0_e32 v0, v0
	s_delay_alu instid0(VALU_DEP_1) | instskip(NEXT) | instid1(VALU_DEP_1)
	v_bfe_u32 v1, v0, 16, 1
	v_add3_u32 v0, v0, v1, 0x7fff
	s_delay_alu instid0(VALU_DEP_1)
	v_lshrrev_b32_e32 v2, 16, v0
.LBB47_2602:
	s_mov_b32 s6, -1
.LBB47_2603:
	s_delay_alu instid0(SALU_CYCLE_1)
	s_and_not1_b32 vcc_lo, exec_lo, s6
	s_cbranch_vccnz .LBB47_2684
; %bb.2604:
	s_wait_loadcnt 0x0
	v_lshlrev_b32_e32 v0, 16, v4
	s_mov_b32 s0, exec_lo
	s_delay_alu instid0(VALU_DEP_1)
	v_cmpx_nlt_f32_e32 0, v0
	s_cbranch_execz .LBB47_2606
; %bb.2605:
	v_lshlrev_b32_e32 v1, 16, v2
	s_delay_alu instid0(VALU_DEP_1) | instskip(NEXT) | instid1(VALU_DEP_1)
	v_mul_f32_e32 v0, v0, v1
	v_bfe_u32 v1, v0, 16, 1
	s_delay_alu instid0(VALU_DEP_1) | instskip(NEXT) | instid1(VALU_DEP_1)
	v_add3_u32 v1, v0, v1, 0x7fff
	v_lshrrev_b32_e32 v1, 16, v1
	v_cmp_o_f32_e32 vcc_lo, v0, v0
	s_delay_alu instid0(VALU_DEP_2)
	v_cndmask_b32_e32 v4, 0x7fc0, v1, vcc_lo
.LBB47_2606:
	s_or_b32 exec_lo, exec_lo, s0
	v_mul_lo_u32 v0, s8, v6
	s_and_b32 s16, s11, 0xff
	s_delay_alu instid0(SALU_CYCLE_1) | instskip(NEXT) | instid1(VALU_DEP_1)
	s_cmp_lt_i32 s16, 11
	v_ashrrev_i32_e32 v1, 31, v0
	s_delay_alu instid0(VALU_DEP_1)
	v_add_nc_u64_e32 v[2:3], s[4:5], v[0:1]
	s_cbranch_scc1 .LBB47_2729
; %bb.2607:
	s_and_b32 s1, 0xffff, s16
	s_mov_b32 s6, -1
	s_mov_b32 s2, 0
	s_cmp_gt_i32 s1, 25
	s_mov_b32 s3, 0
	s_mov_b32 s0, 0
	s_cbranch_scc0 .LBB47_2640
; %bb.2608:
	s_cmp_gt_i32 s1, 28
	s_cbranch_scc0 .LBB47_2623
; %bb.2609:
	s_cmp_gt_i32 s1, 43
	;; [unrolled: 3-line block ×3, first 2 shown]
	s_cbranch_scc0 .LBB47_2613
; %bb.2611:
	s_mov_b32 s0, -1
	s_mov_b32 s6, 0
	s_cmp_eq_u32 s1, 46
	s_cbranch_scc0 .LBB47_2613
; %bb.2612:
	v_and_b32_e32 v1, 0xffff, v7
	s_mov_b32 s0, 0
	s_mov_b32 s3, -1
	global_store_b32 v[2:3], v1, off
.LBB47_2613:
	s_and_b32 vcc_lo, exec_lo, s6
	s_cbranch_vccz .LBB47_2618
; %bb.2614:
	s_cmp_eq_u32 s1, 44
	s_mov_b32 s0, -1
	s_cbranch_scc0 .LBB47_2618
; %bb.2615:
	s_wait_xcnt 0x0
	v_and_b32_e32 v1, 0xffff, v7
	v_mov_b32_e32 v5, 0xff
	s_mov_b32 s3, exec_lo
	s_delay_alu instid0(VALU_DEP_2) | instskip(NEXT) | instid1(VALU_DEP_1)
	v_bfe_u32 v6, v1, 7, 8
	v_cmpx_ne_u32_e32 0xff, v6
	s_cbranch_execz .LBB47_2617
; %bb.2616:
	v_dual_lshlrev_b32 v5, 16, v1 :: v_dual_bitop2_b32 v10, 64, v1 bitop3:0x40
	v_lshrrev_b32_e32 v1, 7, v1
	s_delay_alu instid0(VALU_DEP_2) | instskip(NEXT) | instid1(VALU_DEP_3)
	v_and_or_b32 v5, 0x3f0000, v5, v6
	v_cmp_ne_u32_e32 vcc_lo, 0, v10
	s_delay_alu instid0(VALU_DEP_2) | instskip(SKIP_1) | instid1(SALU_CYCLE_1)
	v_cmp_ne_u32_e64 s0, 0, v5
	s_and_b32 s0, vcc_lo, s0
	v_cndmask_b32_e64 v5, 0, 1, s0
	s_delay_alu instid0(VALU_DEP_1)
	v_add_nc_u32_e32 v5, v1, v5
.LBB47_2617:
	s_or_b32 exec_lo, exec_lo, s3
	s_mov_b32 s0, 0
	s_mov_b32 s3, -1
	global_store_b8 v[2:3], v5, off
.LBB47_2618:
	s_mov_b32 s6, 0
.LBB47_2619:
	s_delay_alu instid0(SALU_CYCLE_1)
	s_and_b32 vcc_lo, exec_lo, s6
	s_cbranch_vccz .LBB47_2622
; %bb.2620:
	s_cmp_eq_u32 s1, 29
	s_mov_b32 s0, -1
	s_cbranch_scc0 .LBB47_2622
; %bb.2621:
	s_wait_xcnt 0x0
	v_lshlrev_b32_e32 v1, 16, v7
	s_mov_b32 s0, 0
	s_mov_b32 s3, -1
	s_delay_alu instid0(VALU_DEP_1) | instskip(NEXT) | instid1(VALU_DEP_1)
	v_trunc_f32_e32 v1, v1
	v_mul_f32_e32 v5, 0x2f800000, v1
	s_delay_alu instid0(VALU_DEP_1) | instskip(NEXT) | instid1(VALU_DEP_1)
	v_floor_f32_e32 v5, v5
	v_fmamk_f32 v1, v5, 0xcf800000, v1
	v_cvt_u32_f32_e32 v11, v5
	s_delay_alu instid0(VALU_DEP_2)
	v_cvt_u32_f32_e32 v10, v1
	global_store_b64 v[2:3], v[10:11], off
.LBB47_2622:
	s_mov_b32 s6, 0
.LBB47_2623:
	s_delay_alu instid0(SALU_CYCLE_1)
	s_and_b32 vcc_lo, exec_lo, s6
	s_cbranch_vccz .LBB47_2639
; %bb.2624:
	s_cmp_lt_i32 s1, 27
	s_mov_b32 s3, -1
	s_cbranch_scc1 .LBB47_2630
; %bb.2625:
	s_cmp_gt_i32 s1, 27
	s_cbranch_scc0 .LBB47_2627
; %bb.2626:
	s_wait_xcnt 0x0
	v_lshlrev_b32_e32 v1, 16, v7
	s_mov_b32 s3, 0
	s_delay_alu instid0(VALU_DEP_1)
	v_cvt_u32_f32_e32 v1, v1
	global_store_b32 v[2:3], v1, off
.LBB47_2627:
	s_and_not1_b32 vcc_lo, exec_lo, s3
	s_cbranch_vccnz .LBB47_2629
; %bb.2628:
	s_wait_xcnt 0x0
	v_lshlrev_b32_e32 v1, 16, v7
	s_delay_alu instid0(VALU_DEP_1)
	v_cvt_u32_f32_e32 v1, v1
	global_store_b16 v[2:3], v1, off
.LBB47_2629:
	s_mov_b32 s3, 0
.LBB47_2630:
	s_delay_alu instid0(SALU_CYCLE_1)
	s_and_not1_b32 vcc_lo, exec_lo, s3
	s_cbranch_vccnz .LBB47_2638
; %bb.2631:
	v_lshlrev_b32_e32 v6, 16, v7
	s_wait_xcnt 0x0
	v_mov_b32_e32 v10, 0x80
	s_mov_b32 s3, exec_lo
	s_delay_alu instid0(VALU_DEP_2) | instskip(NEXT) | instid1(VALU_DEP_1)
	v_and_b32_e32 v5, 0x7fffffff, v6
	v_cmpx_gt_u32_e32 0x43800000, v5
	s_cbranch_execz .LBB47_2637
; %bb.2632:
	v_and_b32_e32 v1, 0xffff, v7
	v_cmp_lt_u32_e32 vcc_lo, 0x3bffffff, v5
	s_mov_b32 s6, 0
                                        ; implicit-def: $vgpr5
	s_and_saveexec_b32 s7, vcc_lo
	s_delay_alu instid0(SALU_CYCLE_1)
	s_xor_b32 s7, exec_lo, s7
	s_cbranch_execz .LBB47_3087
; %bb.2633:
	v_bfe_u32 v5, v1, 4, 1
	s_mov_b32 s6, exec_lo
	s_delay_alu instid0(VALU_DEP_1) | instskip(NEXT) | instid1(VALU_DEP_1)
	v_add3_u32 v5, v6, v5, 0x487ffff
                                        ; implicit-def: $vgpr6
	v_lshrrev_b32_e32 v5, 20, v5
	s_and_not1_saveexec_b32 s7, s7
	s_cbranch_execnz .LBB47_3088
.LBB47_2634:
	s_or_b32 exec_lo, exec_lo, s7
	v_mov_b32_e32 v10, 0
	s_and_saveexec_b32 s7, s6
.LBB47_2635:
	v_lshrrev_b32_e32 v1, 8, v1
	s_delay_alu instid0(VALU_DEP_1)
	v_and_or_b32 v10, 0x80, v1, v5
.LBB47_2636:
	s_or_b32 exec_lo, exec_lo, s7
.LBB47_2637:
	s_delay_alu instid0(SALU_CYCLE_1)
	s_or_b32 exec_lo, exec_lo, s3
	global_store_b8 v[2:3], v10, off
.LBB47_2638:
	s_mov_b32 s3, -1
.LBB47_2639:
	s_mov_b32 s6, 0
.LBB47_2640:
	s_delay_alu instid0(SALU_CYCLE_1)
	s_and_b32 vcc_lo, exec_lo, s6
	s_cbranch_vccz .LBB47_2680
; %bb.2641:
	s_cmp_gt_i32 s1, 22
	s_mov_b32 s2, -1
	s_cbranch_scc0 .LBB47_2673
; %bb.2642:
	s_cmp_lt_i32 s1, 24
	s_cbranch_scc1 .LBB47_2662
; %bb.2643:
	s_cmp_gt_i32 s1, 24
	s_cbranch_scc0 .LBB47_2651
; %bb.2644:
	v_lshlrev_b32_e32 v6, 16, v7
	s_wait_xcnt 0x0
	v_mov_b32_e32 v10, 0x80
	s_mov_b32 s2, exec_lo
	s_delay_alu instid0(VALU_DEP_2) | instskip(NEXT) | instid1(VALU_DEP_1)
	v_and_b32_e32 v5, 0x7fffffff, v6
	v_cmpx_gt_u32_e32 0x47800000, v5
	s_cbranch_execz .LBB47_2650
; %bb.2645:
	v_and_b32_e32 v1, 0xffff, v7
	v_cmp_lt_u32_e32 vcc_lo, 0x37ffffff, v5
	s_mov_b32 s3, 0
                                        ; implicit-def: $vgpr5
	s_and_saveexec_b32 s6, vcc_lo
	s_delay_alu instid0(SALU_CYCLE_1)
	s_xor_b32 s6, exec_lo, s6
	s_cbranch_execz .LBB47_3090
; %bb.2646:
	v_bfe_u32 v5, v1, 5, 1
	s_mov_b32 s3, exec_lo
	s_delay_alu instid0(VALU_DEP_1) | instskip(NEXT) | instid1(VALU_DEP_1)
	v_add3_u32 v5, v6, v5, 0x88fffff
                                        ; implicit-def: $vgpr6
	v_lshrrev_b32_e32 v5, 21, v5
	s_and_not1_saveexec_b32 s6, s6
	s_cbranch_execnz .LBB47_3091
.LBB47_2647:
	s_or_b32 exec_lo, exec_lo, s6
	v_mov_b32_e32 v10, 0
	s_and_saveexec_b32 s6, s3
.LBB47_2648:
	v_lshrrev_b32_e32 v1, 8, v1
	s_delay_alu instid0(VALU_DEP_1)
	v_and_or_b32 v10, 0x80, v1, v5
.LBB47_2649:
	s_or_b32 exec_lo, exec_lo, s6
.LBB47_2650:
	s_delay_alu instid0(SALU_CYCLE_1)
	s_or_b32 exec_lo, exec_lo, s2
	s_mov_b32 s2, 0
	global_store_b8 v[2:3], v10, off
.LBB47_2651:
	s_and_b32 vcc_lo, exec_lo, s2
	s_cbranch_vccz .LBB47_2661
; %bb.2652:
	v_lshlrev_b32_e32 v6, 16, v7
	s_wait_xcnt 0x0
	v_and_b32_e32 v1, 0xffff, v7
	s_mov_b32 s2, exec_lo
                                        ; implicit-def: $vgpr5
	s_delay_alu instid0(VALU_DEP_2) | instskip(NEXT) | instid1(VALU_DEP_1)
	v_and_b32_e32 v10, 0x7fffffff, v6
	v_cmpx_gt_u32_e32 0x43f00000, v10
	s_xor_b32 s2, exec_lo, s2
	s_cbranch_execz .LBB47_2658
; %bb.2653:
	s_mov_b32 s3, exec_lo
                                        ; implicit-def: $vgpr5
	v_cmpx_lt_u32_e32 0x3c7fffff, v10
	s_xor_b32 s3, exec_lo, s3
; %bb.2654:
	v_bfe_u32 v5, v1, 4, 1
	s_delay_alu instid0(VALU_DEP_1) | instskip(NEXT) | instid1(VALU_DEP_1)
	v_add3_u32 v5, v6, v5, 0x407ffff
	v_and_b32_e32 v6, 0xff00000, v5
	v_lshrrev_b32_e32 v5, 20, v5
	s_delay_alu instid0(VALU_DEP_2) | instskip(NEXT) | instid1(VALU_DEP_2)
	v_cmp_ne_u32_e32 vcc_lo, 0x7f00000, v6
                                        ; implicit-def: $vgpr6
	v_cndmask_b32_e32 v5, 0x7e, v5, vcc_lo
; %bb.2655:
	s_and_not1_saveexec_b32 s3, s3
; %bb.2656:
	v_add_f32_e64 v5, 0x46800000, |v6|
; %bb.2657:
	s_or_b32 exec_lo, exec_lo, s3
                                        ; implicit-def: $vgpr10
.LBB47_2658:
	s_and_not1_saveexec_b32 s2, s2
; %bb.2659:
	v_mov_b32_e32 v5, 0x7f
	v_cmp_lt_u32_e32 vcc_lo, 0x7f800000, v10
	s_delay_alu instid0(VALU_DEP_2)
	v_cndmask_b32_e32 v5, 0x7e, v5, vcc_lo
; %bb.2660:
	s_or_b32 exec_lo, exec_lo, s2
	v_lshrrev_b32_e32 v1, 8, v1
	s_delay_alu instid0(VALU_DEP_1)
	v_and_or_b32 v1, 0x80, v1, v5
	global_store_b8 v[2:3], v1, off
.LBB47_2661:
	s_mov_b32 s2, 0
.LBB47_2662:
	s_delay_alu instid0(SALU_CYCLE_1)
	s_and_not1_b32 vcc_lo, exec_lo, s2
	s_cbranch_vccnz .LBB47_2672
; %bb.2663:
	v_lshlrev_b32_e32 v6, 16, v7
	s_wait_xcnt 0x0
	v_and_b32_e32 v1, 0xffff, v7
	s_mov_b32 s2, exec_lo
                                        ; implicit-def: $vgpr5
	s_delay_alu instid0(VALU_DEP_2) | instskip(NEXT) | instid1(VALU_DEP_1)
	v_and_b32_e32 v10, 0x7fffffff, v6
	v_cmpx_gt_u32_e32 0x47800000, v10
	s_xor_b32 s2, exec_lo, s2
	s_cbranch_execz .LBB47_2669
; %bb.2664:
	s_mov_b32 s3, exec_lo
                                        ; implicit-def: $vgpr5
	v_cmpx_lt_u32_e32 0x387fffff, v10
	s_xor_b32 s3, exec_lo, s3
; %bb.2665:
	v_bfe_u32 v5, v1, 5, 1
	s_delay_alu instid0(VALU_DEP_1) | instskip(NEXT) | instid1(VALU_DEP_1)
	v_add3_u32 v5, v6, v5, 0x80fffff
                                        ; implicit-def: $vgpr6
	v_lshrrev_b32_e32 v5, 21, v5
; %bb.2666:
	s_and_not1_saveexec_b32 s3, s3
; %bb.2667:
	v_add_f32_e64 v5, 0x43000000, |v6|
; %bb.2668:
	s_or_b32 exec_lo, exec_lo, s3
                                        ; implicit-def: $vgpr10
.LBB47_2669:
	s_and_not1_saveexec_b32 s2, s2
; %bb.2670:
	v_mov_b32_e32 v5, 0x7f
	v_cmp_lt_u32_e32 vcc_lo, 0x7f800000, v10
	s_delay_alu instid0(VALU_DEP_2)
	v_cndmask_b32_e32 v5, 0x7c, v5, vcc_lo
; %bb.2671:
	s_or_b32 exec_lo, exec_lo, s2
	v_lshrrev_b32_e32 v1, 8, v1
	s_delay_alu instid0(VALU_DEP_1)
	v_and_or_b32 v1, 0x80, v1, v5
	global_store_b8 v[2:3], v1, off
.LBB47_2672:
	s_mov_b32 s2, 0
	s_mov_b32 s3, -1
.LBB47_2673:
	s_and_not1_b32 vcc_lo, exec_lo, s2
	s_mov_b32 s2, 0
	s_cbranch_vccnz .LBB47_2680
; %bb.2674:
	s_cmp_gt_i32 s1, 14
	s_mov_b32 s2, -1
	s_cbranch_scc0 .LBB47_2678
; %bb.2675:
	s_cmp_eq_u32 s1, 15
	s_mov_b32 s0, -1
	s_cbranch_scc0 .LBB47_2677
; %bb.2676:
	s_mov_b32 s0, 0
	s_mov_b32 s3, -1
	global_store_b16 v[2:3], v7, off
.LBB47_2677:
	s_mov_b32 s2, 0
.LBB47_2678:
	s_delay_alu instid0(SALU_CYCLE_1)
	s_and_b32 vcc_lo, exec_lo, s2
	s_mov_b32 s2, 0
	s_cbranch_vccz .LBB47_2680
; %bb.2679:
	s_cmp_lg_u32 s1, 11
	s_mov_b32 s2, -1
	s_cselect_b32 s0, -1, 0
.LBB47_2680:
	s_delay_alu instid0(SALU_CYCLE_1)
	s_and_b32 vcc_lo, exec_lo, s0
	s_cbranch_vccnz .LBB47_3089
; %bb.2681:
	s_and_not1_b32 vcc_lo, exec_lo, s2
	s_cbranch_vccnz .LBB47_2683
.LBB47_2682:
	s_wait_xcnt 0x0
	v_and_b32_e32 v1, 0x7fff, v7
	s_mov_b32 s3, -1
	s_delay_alu instid0(VALU_DEP_1)
	v_cmp_ne_u16_e32 vcc_lo, 0, v1
	v_cndmask_b32_e64 v1, 0, 1, vcc_lo
	global_store_b8 v[2:3], v1, off
.LBB47_2683:
	s_mov_b32 s0, 0
	s_branch .LBB47_2730
.LBB47_2684:
	s_mov_b32 s0, 0
	s_mov_b32 s2, 0
                                        ; implicit-def: $sgpr16
                                        ; implicit-def: $vgpr0_vgpr1
                                        ; implicit-def: $vgpr4
.LBB47_2685:
	s_and_not1_b32 s1, s15, exec_lo
	s_and_b32 s3, s12, exec_lo
	s_and_b32 s0, s0, exec_lo
	;; [unrolled: 1-line block ×3, first 2 shown]
	s_or_b32 s15, s1, s3
.LBB47_2686:
	s_wait_xcnt 0x0
	s_or_b32 exec_lo, exec_lo, s14
	s_and_saveexec_b32 s1, s15
	s_cbranch_execz .LBB47_2689
; %bb.2687:
	; divergent unreachable
	s_or_b32 exec_lo, exec_lo, s1
	s_and_saveexec_b32 s1, s12
	s_delay_alu instid0(SALU_CYCLE_1)
	s_xor_b32 s1, exec_lo, s1
	s_cbranch_execnz .LBB47_2690
.LBB47_2688:
	s_or_b32 exec_lo, exec_lo, s1
	s_and_saveexec_b32 s1, s0
	s_cbranch_execnz .LBB47_2691
	s_branch .LBB47_2728
.LBB47_2689:
	s_or_b32 exec_lo, exec_lo, s1
	s_and_saveexec_b32 s1, s12
	s_delay_alu instid0(SALU_CYCLE_1)
	s_xor_b32 s1, exec_lo, s1
	s_cbranch_execz .LBB47_2688
.LBB47_2690:
	s_wait_loadcnt 0x0
	v_and_b32_e32 v2, 0x7fff, v4
	s_delay_alu instid0(VALU_DEP_1)
	v_cmp_ne_u16_e32 vcc_lo, 0, v2
	v_cndmask_b32_e64 v2, 0, 1, vcc_lo
	global_store_b8 v[0:1], v2, off
	s_wait_xcnt 0x0
	s_or_b32 exec_lo, exec_lo, s1
	s_and_saveexec_b32 s1, s0
	s_cbranch_execz .LBB47_2728
.LBB47_2691:
	s_sext_i32_i16 s1, s16
	s_mov_b32 s0, -1
	s_cmp_lt_i32 s1, 5
	s_cbranch_scc1 .LBB47_2712
; %bb.2692:
	s_cmp_lt_i32 s1, 8
	s_cbranch_scc1 .LBB47_2702
; %bb.2693:
	s_cmp_lt_i32 s1, 9
	s_cbranch_scc1 .LBB47_2699
; %bb.2694:
	s_wait_loadcnt 0x0
	v_lshlrev_b32_e32 v2, 16, v4
	s_cmp_gt_i32 s1, 9
	s_cbranch_scc0 .LBB47_2696
; %bb.2695:
	s_delay_alu instid0(VALU_DEP_1) | instskip(SKIP_2) | instid1(VALU_DEP_1)
	v_cvt_f64_f32_e32 v[6:7], v2
	v_mov_b32_e32 v8, 0
	s_mov_b32 s0, 0
	v_mov_b32_e32 v9, v8
	global_store_b128 v[0:1], v[6:9], off
.LBB47_2696:
	s_and_not1_b32 vcc_lo, exec_lo, s0
	s_cbranch_vccnz .LBB47_2698
; %bb.2697:
	v_mov_b32_e32 v3, 0
	global_store_b64 v[0:1], v[2:3], off
.LBB47_2698:
	s_mov_b32 s0, 0
.LBB47_2699:
	s_delay_alu instid0(SALU_CYCLE_1)
	s_and_not1_b32 vcc_lo, exec_lo, s0
	s_cbranch_vccnz .LBB47_2701
; %bb.2700:
	s_wait_loadcnt 0x0
	v_lshlrev_b32_e32 v2, 16, v4
	s_delay_alu instid0(VALU_DEP_1) | instskip(NEXT) | instid1(VALU_DEP_1)
	v_cvt_f16_f32_e32 v2, v2
	v_and_b32_e32 v2, 0xffff, v2
	global_store_b32 v[0:1], v2, off
.LBB47_2701:
	s_mov_b32 s0, 0
.LBB47_2702:
	s_delay_alu instid0(SALU_CYCLE_1)
	s_and_not1_b32 vcc_lo, exec_lo, s0
	s_cbranch_vccnz .LBB47_2711
; %bb.2703:
	s_sext_i32_i16 s1, s16
	s_mov_b32 s0, -1
	s_cmp_lt_i32 s1, 6
	s_cbranch_scc1 .LBB47_2709
; %bb.2704:
	s_wait_loadcnt 0x0
	v_lshlrev_b32_e32 v2, 16, v4
	s_cmp_gt_i32 s1, 6
	s_cbranch_scc0 .LBB47_2706
; %bb.2705:
	s_delay_alu instid0(VALU_DEP_1)
	v_cvt_f64_f32_e32 v[6:7], v2
	s_mov_b32 s0, 0
	global_store_b64 v[0:1], v[6:7], off
.LBB47_2706:
	s_and_not1_b32 vcc_lo, exec_lo, s0
	s_cbranch_vccnz .LBB47_2708
; %bb.2707:
	global_store_b32 v[0:1], v2, off
.LBB47_2708:
	s_mov_b32 s0, 0
.LBB47_2709:
	s_delay_alu instid0(SALU_CYCLE_1)
	s_and_not1_b32 vcc_lo, exec_lo, s0
	s_cbranch_vccnz .LBB47_2711
; %bb.2710:
	s_wait_loadcnt 0x0
	v_lshlrev_b32_e32 v2, 16, v4
	s_delay_alu instid0(VALU_DEP_1)
	v_cvt_f16_f32_e32 v2, v2
	global_store_b16 v[0:1], v2, off
.LBB47_2711:
	s_mov_b32 s0, 0
.LBB47_2712:
	s_delay_alu instid0(SALU_CYCLE_1)
	s_and_not1_b32 vcc_lo, exec_lo, s0
	s_cbranch_vccnz .LBB47_2728
; %bb.2713:
	s_sext_i32_i16 s1, s16
	s_mov_b32 s0, -1
	s_cmp_lt_i32 s1, 2
	s_cbranch_scc1 .LBB47_2723
; %bb.2714:
	s_cmp_lt_i32 s1, 3
	s_cbranch_scc1 .LBB47_2720
; %bb.2715:
	s_wait_loadcnt 0x0
	v_lshlrev_b32_e32 v2, 16, v4
	s_cmp_gt_i32 s1, 3
	s_cbranch_scc0 .LBB47_2717
; %bb.2716:
	s_delay_alu instid0(VALU_DEP_1) | instskip(SKIP_1) | instid1(VALU_DEP_1)
	v_trunc_f32_e32 v3, v2
	s_mov_b32 s0, 0
	v_mul_f32_e64 v5, 0x2f800000, |v3|
	v_ashrrev_i32_e32 v6, 31, v3
	s_delay_alu instid0(VALU_DEP_2) | instskip(NEXT) | instid1(VALU_DEP_1)
	v_floor_f32_e32 v5, v5
	v_fma_f32 v7, 0xcf800000, v5, |v3|
	v_cvt_u32_f32_e32 v3, v5
	s_delay_alu instid0(VALU_DEP_2) | instskip(NEXT) | instid1(VALU_DEP_2)
	v_cvt_u32_f32_e32 v5, v7
	v_dual_mov_b32 v7, v6 :: v_dual_bitop2_b32 v9, v3, v6 bitop3:0x14
	s_delay_alu instid0(VALU_DEP_2) | instskip(NEXT) | instid1(VALU_DEP_1)
	v_xor_b32_e32 v8, v5, v6
	v_sub_nc_u64_e32 v[6:7], v[8:9], v[6:7]
	global_store_b64 v[0:1], v[6:7], off
.LBB47_2717:
	s_and_not1_b32 vcc_lo, exec_lo, s0
	s_cbranch_vccnz .LBB47_2719
; %bb.2718:
	v_cvt_i32_f32_e32 v2, v2
	global_store_b32 v[0:1], v2, off
.LBB47_2719:
	s_mov_b32 s0, 0
.LBB47_2720:
	s_delay_alu instid0(SALU_CYCLE_1)
	s_and_not1_b32 vcc_lo, exec_lo, s0
	s_cbranch_vccnz .LBB47_2722
; %bb.2721:
	s_wait_loadcnt 0x0
	v_lshlrev_b32_e32 v2, 16, v4
	s_delay_alu instid0(VALU_DEP_1)
	v_cvt_i32_f32_e32 v2, v2
	global_store_b16 v[0:1], v2, off
.LBB47_2722:
	s_mov_b32 s0, 0
.LBB47_2723:
	s_delay_alu instid0(SALU_CYCLE_1)
	s_and_not1_b32 vcc_lo, exec_lo, s0
	s_cbranch_vccnz .LBB47_2728
; %bb.2724:
	s_wait_loadcnt 0x0
	v_lshlrev_b32_e32 v2, 16, v4
	s_sext_i32_i16 s0, s16
	s_delay_alu instid0(SALU_CYCLE_1)
	s_cmp_gt_i32 s0, 0
	s_mov_b32 s0, -1
	s_cbranch_scc0 .LBB47_2726
; %bb.2725:
	v_cvt_i32_f32_e32 v3, v2
	s_mov_b32 s0, 0
	global_store_b8 v[0:1], v3, off
.LBB47_2726:
	s_and_not1_b32 vcc_lo, exec_lo, s0
	s_cbranch_vccnz .LBB47_2728
; %bb.2727:
	v_trunc_f32_e32 v2, v2
	s_wait_xcnt 0x0
	s_delay_alu instid0(VALU_DEP_1) | instskip(NEXT) | instid1(VALU_DEP_1)
	v_mul_f32_e64 v3, 0x2f800000, |v2|
	v_floor_f32_e32 v3, v3
	s_delay_alu instid0(VALU_DEP_1) | instskip(SKIP_1) | instid1(VALU_DEP_2)
	v_fma_f32 v3, 0xcf800000, v3, |v2|
	v_ashrrev_i32_e32 v2, 31, v2
	v_cvt_u32_f32_e32 v3, v3
	s_delay_alu instid0(VALU_DEP_1) | instskip(NEXT) | instid1(VALU_DEP_1)
	v_xor_b32_e32 v3, v3, v2
	v_sub_nc_u32_e32 v2, v3, v2
	global_store_b8 v[0:1], v2, off
	s_endpgm
.LBB47_2728:
	s_endpgm
.LBB47_2729:
	s_mov_b32 s0, -1
	s_mov_b32 s3, 0
.LBB47_2730:
	s_and_b32 vcc_lo, exec_lo, s0
	s_cbranch_vccz .LBB47_2769
; %bb.2731:
	s_and_b32 s0, 0xffff, s16
	s_mov_b32 s1, -1
	s_cmp_lt_i32 s0, 5
	s_cbranch_scc1 .LBB47_2752
; %bb.2732:
	s_cmp_lt_i32 s0, 8
	s_cbranch_scc1 .LBB47_2742
; %bb.2733:
	;; [unrolled: 3-line block ×3, first 2 shown]
	s_cmp_gt_i32 s0, 9
	s_cbranch_scc0 .LBB47_2736
; %bb.2735:
	s_wait_xcnt 0x0
	v_dual_mov_b32 v12, 0 :: v_dual_lshlrev_b32 v1, 16, v7
	s_mov_b32 s1, 0
	s_delay_alu instid0(VALU_DEP_1) | instskip(NEXT) | instid1(VALU_DEP_2)
	v_cvt_f64_f32_e32 v[10:11], v1
	v_mov_b32_e32 v13, v12
	global_store_b128 v[2:3], v[10:13], off
.LBB47_2736:
	s_and_not1_b32 vcc_lo, exec_lo, s1
	s_cbranch_vccnz .LBB47_2738
; %bb.2737:
	s_wait_xcnt 0x0
	v_dual_mov_b32 v11, 0 :: v_dual_lshlrev_b32 v10, 16, v7
	global_store_b64 v[2:3], v[10:11], off
.LBB47_2738:
	s_mov_b32 s1, 0
.LBB47_2739:
	s_delay_alu instid0(SALU_CYCLE_1)
	s_and_not1_b32 vcc_lo, exec_lo, s1
	s_cbranch_vccnz .LBB47_2741
; %bb.2740:
	s_wait_xcnt 0x0
	v_lshlrev_b32_e32 v1, 16, v7
	s_delay_alu instid0(VALU_DEP_1) | instskip(NEXT) | instid1(VALU_DEP_1)
	v_cvt_f16_f32_e32 v1, v1
	v_and_b32_e32 v1, 0xffff, v1
	global_store_b32 v[2:3], v1, off
.LBB47_2741:
	s_mov_b32 s1, 0
.LBB47_2742:
	s_delay_alu instid0(SALU_CYCLE_1)
	s_and_not1_b32 vcc_lo, exec_lo, s1
	s_cbranch_vccnz .LBB47_2751
; %bb.2743:
	s_cmp_lt_i32 s0, 6
	s_mov_b32 s1, -1
	s_cbranch_scc1 .LBB47_2749
; %bb.2744:
	s_cmp_gt_i32 s0, 6
	s_cbranch_scc0 .LBB47_2746
; %bb.2745:
	s_wait_xcnt 0x0
	v_lshlrev_b32_e32 v1, 16, v7
	s_mov_b32 s1, 0
	s_delay_alu instid0(VALU_DEP_1)
	v_cvt_f64_f32_e32 v[10:11], v1
	global_store_b64 v[2:3], v[10:11], off
.LBB47_2746:
	s_and_not1_b32 vcc_lo, exec_lo, s1
	s_cbranch_vccnz .LBB47_2748
; %bb.2747:
	s_wait_xcnt 0x0
	v_lshlrev_b32_e32 v1, 16, v7
	global_store_b32 v[2:3], v1, off
.LBB47_2748:
	s_mov_b32 s1, 0
.LBB47_2749:
	s_delay_alu instid0(SALU_CYCLE_1)
	s_and_not1_b32 vcc_lo, exec_lo, s1
	s_cbranch_vccnz .LBB47_2751
; %bb.2750:
	s_wait_xcnt 0x0
	v_lshlrev_b32_e32 v1, 16, v7
	s_delay_alu instid0(VALU_DEP_1)
	v_cvt_f16_f32_e32 v1, v1
	global_store_b16 v[2:3], v1, off
.LBB47_2751:
	s_mov_b32 s1, 0
.LBB47_2752:
	s_delay_alu instid0(SALU_CYCLE_1)
	s_and_not1_b32 vcc_lo, exec_lo, s1
	s_cbranch_vccnz .LBB47_2768
; %bb.2753:
	s_cmp_lt_i32 s0, 2
	s_mov_b32 s1, -1
	s_cbranch_scc1 .LBB47_2763
; %bb.2754:
	s_cmp_lt_i32 s0, 3
	s_cbranch_scc1 .LBB47_2760
; %bb.2755:
	s_cmp_gt_i32 s0, 3
	s_cbranch_scc0 .LBB47_2757
; %bb.2756:
	s_wait_xcnt 0x0
	v_lshlrev_b32_e32 v1, 16, v7
	s_mov_b32 s1, 0
	s_delay_alu instid0(VALU_DEP_1) | instskip(NEXT) | instid1(VALU_DEP_1)
	v_trunc_f32_e32 v1, v1
	v_mul_f32_e64 v5, 0x2f800000, |v1|
	v_ashrrev_i32_e32 v10, 31, v1
	s_delay_alu instid0(VALU_DEP_2) | instskip(NEXT) | instid1(VALU_DEP_2)
	v_floor_f32_e32 v5, v5
	v_mov_b32_e32 v11, v10
	s_delay_alu instid0(VALU_DEP_2) | instskip(SKIP_1) | instid1(VALU_DEP_2)
	v_fma_f32 v6, 0xcf800000, v5, |v1|
	v_cvt_u32_f32_e32 v1, v5
	v_cvt_u32_f32_e32 v5, v6
	s_delay_alu instid0(VALU_DEP_2) | instskip(NEXT) | instid1(VALU_DEP_2)
	v_xor_b32_e32 v13, v1, v10
	v_xor_b32_e32 v12, v5, v10
	s_delay_alu instid0(VALU_DEP_1)
	v_sub_nc_u64_e32 v[10:11], v[12:13], v[10:11]
	global_store_b64 v[2:3], v[10:11], off
.LBB47_2757:
	s_and_not1_b32 vcc_lo, exec_lo, s1
	s_cbranch_vccnz .LBB47_2759
; %bb.2758:
	s_wait_xcnt 0x0
	v_lshlrev_b32_e32 v1, 16, v7
	s_delay_alu instid0(VALU_DEP_1)
	v_cvt_i32_f32_e32 v1, v1
	global_store_b32 v[2:3], v1, off
.LBB47_2759:
	s_mov_b32 s1, 0
.LBB47_2760:
	s_delay_alu instid0(SALU_CYCLE_1)
	s_and_not1_b32 vcc_lo, exec_lo, s1
	s_cbranch_vccnz .LBB47_2762
; %bb.2761:
	s_wait_xcnt 0x0
	v_lshlrev_b32_e32 v1, 16, v7
	s_delay_alu instid0(VALU_DEP_1)
	v_cvt_i32_f32_e32 v1, v1
	global_store_b16 v[2:3], v1, off
.LBB47_2762:
	s_mov_b32 s1, 0
.LBB47_2763:
	s_delay_alu instid0(SALU_CYCLE_1)
	s_and_not1_b32 vcc_lo, exec_lo, s1
	s_cbranch_vccnz .LBB47_2768
; %bb.2764:
	s_wait_xcnt 0x0
	v_lshlrev_b32_e32 v1, 16, v7
	s_cmp_gt_i32 s0, 0
	s_mov_b32 s0, -1
	s_cbranch_scc0 .LBB47_2766
; %bb.2765:
	s_delay_alu instid0(VALU_DEP_1)
	v_cvt_i32_f32_e32 v5, v1
	s_mov_b32 s0, 0
	global_store_b8 v[2:3], v5, off
.LBB47_2766:
	s_and_not1_b32 vcc_lo, exec_lo, s0
	s_cbranch_vccnz .LBB47_2768
; %bb.2767:
	v_trunc_f32_e32 v1, v1
	s_wait_xcnt 0x0
	s_delay_alu instid0(VALU_DEP_1) | instskip(NEXT) | instid1(VALU_DEP_1)
	v_mul_f32_e64 v5, 0x2f800000, |v1|
	v_floor_f32_e32 v5, v5
	s_delay_alu instid0(VALU_DEP_1) | instskip(SKIP_1) | instid1(VALU_DEP_2)
	v_fma_f32 v5, 0xcf800000, v5, |v1|
	v_ashrrev_i32_e32 v1, 31, v1
	v_cvt_u32_f32_e32 v5, v5
	s_delay_alu instid0(VALU_DEP_1) | instskip(NEXT) | instid1(VALU_DEP_1)
	v_xor_b32_e32 v5, v5, v1
	v_sub_nc_u32_e32 v1, v5, v1
	global_store_b8 v[2:3], v1, off
.LBB47_2768:
	s_mov_b32 s3, -1
.LBB47_2769:
	s_delay_alu instid0(SALU_CYCLE_1)
	s_and_not1_b32 vcc_lo, exec_lo, s3
	s_cbranch_vccnz .LBB47_3084
; %bb.2770:
	s_lshl_b32 s1, s8, 7
	s_cmp_lt_i32 s16, 11
	v_add_nc_u32_e32 v0, s1, v0
	s_wait_xcnt 0x0
	s_delay_alu instid0(VALU_DEP_1) | instskip(NEXT) | instid1(VALU_DEP_1)
	v_ashrrev_i32_e32 v1, 31, v0
	v_add_nc_u64_e32 v[2:3], s[4:5], v[0:1]
	s_cbranch_scc1 .LBB47_2848
; %bb.2771:
	s_and_b32 s2, 0xffff, s16
	s_mov_b32 s7, -1
	s_mov_b32 s3, 0
	s_cmp_gt_i32 s2, 25
	s_mov_b32 s6, 0
	s_mov_b32 s0, 0
	s_cbranch_scc0 .LBB47_2804
; %bb.2772:
	s_cmp_gt_i32 s2, 28
	s_cbranch_scc0 .LBB47_2787
; %bb.2773:
	s_cmp_gt_i32 s2, 43
	;; [unrolled: 3-line block ×3, first 2 shown]
	s_cbranch_scc0 .LBB47_2777
; %bb.2775:
	s_mov_b32 s0, -1
	s_mov_b32 s7, 0
	s_cmp_eq_u32 s2, 46
	s_cbranch_scc0 .LBB47_2777
; %bb.2776:
	v_and_b32_e32 v1, 0xffff, v8
	s_mov_b32 s0, 0
	s_mov_b32 s6, -1
	global_store_b32 v[2:3], v1, off
.LBB47_2777:
	s_and_b32 vcc_lo, exec_lo, s7
	s_cbranch_vccz .LBB47_2782
; %bb.2778:
	s_cmp_eq_u32 s2, 44
	s_mov_b32 s0, -1
	s_cbranch_scc0 .LBB47_2782
; %bb.2779:
	s_wait_xcnt 0x0
	v_and_b32_e32 v1, 0xffff, v8
	v_mov_b32_e32 v5, 0xff
	s_mov_b32 s6, exec_lo
	s_delay_alu instid0(VALU_DEP_2) | instskip(NEXT) | instid1(VALU_DEP_1)
	v_bfe_u32 v6, v1, 7, 8
	v_cmpx_ne_u32_e32 0xff, v6
	s_cbranch_execz .LBB47_2781
; %bb.2780:
	v_dual_lshlrev_b32 v5, 16, v1 :: v_dual_bitop2_b32 v7, 64, v1 bitop3:0x40
	v_lshrrev_b32_e32 v1, 7, v1
	s_delay_alu instid0(VALU_DEP_2) | instskip(NEXT) | instid1(VALU_DEP_3)
	v_and_or_b32 v5, 0x3f0000, v5, v6
	v_cmp_ne_u32_e32 vcc_lo, 0, v7
	s_delay_alu instid0(VALU_DEP_2) | instskip(SKIP_1) | instid1(SALU_CYCLE_1)
	v_cmp_ne_u32_e64 s0, 0, v5
	s_and_b32 s0, vcc_lo, s0
	v_cndmask_b32_e64 v5, 0, 1, s0
	s_delay_alu instid0(VALU_DEP_1)
	v_add_nc_u32_e32 v5, v1, v5
.LBB47_2781:
	s_or_b32 exec_lo, exec_lo, s6
	s_mov_b32 s0, 0
	s_mov_b32 s6, -1
	global_store_b8 v[2:3], v5, off
.LBB47_2782:
	s_mov_b32 s7, 0
.LBB47_2783:
	s_delay_alu instid0(SALU_CYCLE_1)
	s_and_b32 vcc_lo, exec_lo, s7
	s_cbranch_vccz .LBB47_2786
; %bb.2784:
	s_cmp_eq_u32 s2, 29
	s_mov_b32 s0, -1
	s_cbranch_scc0 .LBB47_2786
; %bb.2785:
	s_wait_xcnt 0x0
	v_lshlrev_b32_e32 v1, 16, v8
	s_mov_b32 s0, 0
	s_mov_b32 s6, -1
	s_delay_alu instid0(VALU_DEP_1) | instskip(NEXT) | instid1(VALU_DEP_1)
	v_trunc_f32_e32 v1, v1
	v_mul_f32_e32 v5, 0x2f800000, v1
	s_delay_alu instid0(VALU_DEP_1) | instskip(NEXT) | instid1(VALU_DEP_1)
	v_floor_f32_e32 v5, v5
	v_fmamk_f32 v1, v5, 0xcf800000, v1
	v_cvt_u32_f32_e32 v7, v5
	s_delay_alu instid0(VALU_DEP_2)
	v_cvt_u32_f32_e32 v6, v1
	global_store_b64 v[2:3], v[6:7], off
.LBB47_2786:
	s_mov_b32 s7, 0
.LBB47_2787:
	s_delay_alu instid0(SALU_CYCLE_1)
	s_and_b32 vcc_lo, exec_lo, s7
	s_cbranch_vccz .LBB47_2803
; %bb.2788:
	s_cmp_lt_i32 s2, 27
	s_mov_b32 s6, -1
	s_cbranch_scc1 .LBB47_2794
; %bb.2789:
	s_cmp_gt_i32 s2, 27
	s_cbranch_scc0 .LBB47_2791
; %bb.2790:
	s_wait_xcnt 0x0
	v_lshlrev_b32_e32 v1, 16, v8
	s_mov_b32 s6, 0
	s_delay_alu instid0(VALU_DEP_1)
	v_cvt_u32_f32_e32 v1, v1
	global_store_b32 v[2:3], v1, off
.LBB47_2791:
	s_and_not1_b32 vcc_lo, exec_lo, s6
	s_cbranch_vccnz .LBB47_2793
; %bb.2792:
	s_wait_xcnt 0x0
	v_lshlrev_b32_e32 v1, 16, v8
	s_delay_alu instid0(VALU_DEP_1)
	v_cvt_u32_f32_e32 v1, v1
	global_store_b16 v[2:3], v1, off
.LBB47_2793:
	s_mov_b32 s6, 0
.LBB47_2794:
	s_delay_alu instid0(SALU_CYCLE_1)
	s_and_not1_b32 vcc_lo, exec_lo, s6
	s_cbranch_vccnz .LBB47_2802
; %bb.2795:
	s_wait_xcnt 0x0
	v_dual_mov_b32 v7, 0x80 :: v_dual_lshlrev_b32 v6, 16, v8
	s_mov_b32 s6, exec_lo
	s_delay_alu instid0(VALU_DEP_1) | instskip(NEXT) | instid1(VALU_DEP_1)
	v_and_b32_e32 v5, 0x7fffffff, v6
	v_cmpx_gt_u32_e32 0x43800000, v5
	s_cbranch_execz .LBB47_2801
; %bb.2796:
	v_and_b32_e32 v1, 0xffff, v8
	v_cmp_lt_u32_e32 vcc_lo, 0x3bffffff, v5
	s_mov_b32 s7, 0
                                        ; implicit-def: $vgpr5
	s_and_saveexec_b32 s8, vcc_lo
	s_delay_alu instid0(SALU_CYCLE_1)
	s_xor_b32 s8, exec_lo, s8
	s_cbranch_execz .LBB47_3092
; %bb.2797:
	v_bfe_u32 v5, v1, 4, 1
	s_mov_b32 s7, exec_lo
	s_delay_alu instid0(VALU_DEP_1) | instskip(NEXT) | instid1(VALU_DEP_1)
	v_add3_u32 v5, v6, v5, 0x487ffff
                                        ; implicit-def: $vgpr6
	v_lshrrev_b32_e32 v5, 20, v5
	s_and_not1_saveexec_b32 s8, s8
	s_cbranch_execnz .LBB47_3093
.LBB47_2798:
	s_or_b32 exec_lo, exec_lo, s8
	v_mov_b32_e32 v7, 0
	s_and_saveexec_b32 s8, s7
.LBB47_2799:
	v_lshrrev_b32_e32 v1, 8, v1
	s_delay_alu instid0(VALU_DEP_1)
	v_and_or_b32 v7, 0x80, v1, v5
.LBB47_2800:
	s_or_b32 exec_lo, exec_lo, s8
.LBB47_2801:
	s_delay_alu instid0(SALU_CYCLE_1)
	s_or_b32 exec_lo, exec_lo, s6
	global_store_b8 v[2:3], v7, off
.LBB47_2802:
	s_mov_b32 s6, -1
.LBB47_2803:
	s_mov_b32 s7, 0
.LBB47_2804:
	s_delay_alu instid0(SALU_CYCLE_1)
	s_and_b32 vcc_lo, exec_lo, s7
	s_cbranch_vccz .LBB47_2844
; %bb.2805:
	s_cmp_gt_i32 s2, 22
	s_mov_b32 s3, -1
	s_cbranch_scc0 .LBB47_2837
; %bb.2806:
	s_cmp_lt_i32 s2, 24
	s_cbranch_scc1 .LBB47_2826
; %bb.2807:
	s_cmp_gt_i32 s2, 24
	s_cbranch_scc0 .LBB47_2815
; %bb.2808:
	s_wait_xcnt 0x0
	v_dual_mov_b32 v7, 0x80 :: v_dual_lshlrev_b32 v6, 16, v8
	s_mov_b32 s3, exec_lo
	s_delay_alu instid0(VALU_DEP_1) | instskip(NEXT) | instid1(VALU_DEP_1)
	v_and_b32_e32 v5, 0x7fffffff, v6
	v_cmpx_gt_u32_e32 0x47800000, v5
	s_cbranch_execz .LBB47_2814
; %bb.2809:
	v_and_b32_e32 v1, 0xffff, v8
	v_cmp_lt_u32_e32 vcc_lo, 0x37ffffff, v5
	s_mov_b32 s6, 0
                                        ; implicit-def: $vgpr5
	s_and_saveexec_b32 s7, vcc_lo
	s_delay_alu instid0(SALU_CYCLE_1)
	s_xor_b32 s7, exec_lo, s7
	s_cbranch_execz .LBB47_3095
; %bb.2810:
	v_bfe_u32 v5, v1, 5, 1
	s_mov_b32 s6, exec_lo
	s_delay_alu instid0(VALU_DEP_1) | instskip(NEXT) | instid1(VALU_DEP_1)
	v_add3_u32 v5, v6, v5, 0x88fffff
                                        ; implicit-def: $vgpr6
	v_lshrrev_b32_e32 v5, 21, v5
	s_and_not1_saveexec_b32 s7, s7
	s_cbranch_execnz .LBB47_3096
.LBB47_2811:
	s_or_b32 exec_lo, exec_lo, s7
	v_mov_b32_e32 v7, 0
	s_and_saveexec_b32 s7, s6
.LBB47_2812:
	v_lshrrev_b32_e32 v1, 8, v1
	s_delay_alu instid0(VALU_DEP_1)
	v_and_or_b32 v7, 0x80, v1, v5
.LBB47_2813:
	s_or_b32 exec_lo, exec_lo, s7
.LBB47_2814:
	s_delay_alu instid0(SALU_CYCLE_1)
	s_or_b32 exec_lo, exec_lo, s3
	s_mov_b32 s3, 0
	global_store_b8 v[2:3], v7, off
.LBB47_2815:
	s_and_b32 vcc_lo, exec_lo, s3
	s_cbranch_vccz .LBB47_2825
; %bb.2816:
	s_wait_xcnt 0x0
	v_lshlrev_b32_e32 v6, 16, v8
	v_and_b32_e32 v1, 0xffff, v8
	s_mov_b32 s3, exec_lo
                                        ; implicit-def: $vgpr5
	s_delay_alu instid0(VALU_DEP_2) | instskip(NEXT) | instid1(VALU_DEP_1)
	v_and_b32_e32 v7, 0x7fffffff, v6
	v_cmpx_gt_u32_e32 0x43f00000, v7
	s_xor_b32 s3, exec_lo, s3
	s_cbranch_execz .LBB47_2822
; %bb.2817:
	s_mov_b32 s6, exec_lo
                                        ; implicit-def: $vgpr5
	v_cmpx_lt_u32_e32 0x3c7fffff, v7
	s_xor_b32 s6, exec_lo, s6
; %bb.2818:
	v_bfe_u32 v5, v1, 4, 1
	s_delay_alu instid0(VALU_DEP_1) | instskip(NEXT) | instid1(VALU_DEP_1)
	v_add3_u32 v5, v6, v5, 0x407ffff
	v_and_b32_e32 v6, 0xff00000, v5
	v_lshrrev_b32_e32 v5, 20, v5
	s_delay_alu instid0(VALU_DEP_2) | instskip(NEXT) | instid1(VALU_DEP_2)
	v_cmp_ne_u32_e32 vcc_lo, 0x7f00000, v6
                                        ; implicit-def: $vgpr6
	v_cndmask_b32_e32 v5, 0x7e, v5, vcc_lo
; %bb.2819:
	s_and_not1_saveexec_b32 s6, s6
; %bb.2820:
	v_add_f32_e64 v5, 0x46800000, |v6|
; %bb.2821:
	s_or_b32 exec_lo, exec_lo, s6
                                        ; implicit-def: $vgpr7
.LBB47_2822:
	s_and_not1_saveexec_b32 s3, s3
; %bb.2823:
	v_mov_b32_e32 v5, 0x7f
	v_cmp_lt_u32_e32 vcc_lo, 0x7f800000, v7
	s_delay_alu instid0(VALU_DEP_2)
	v_cndmask_b32_e32 v5, 0x7e, v5, vcc_lo
; %bb.2824:
	s_or_b32 exec_lo, exec_lo, s3
	v_lshrrev_b32_e32 v1, 8, v1
	s_delay_alu instid0(VALU_DEP_1)
	v_and_or_b32 v1, 0x80, v1, v5
	global_store_b8 v[2:3], v1, off
.LBB47_2825:
	s_mov_b32 s3, 0
.LBB47_2826:
	s_delay_alu instid0(SALU_CYCLE_1)
	s_and_not1_b32 vcc_lo, exec_lo, s3
	s_cbranch_vccnz .LBB47_2836
; %bb.2827:
	s_wait_xcnt 0x0
	v_lshlrev_b32_e32 v6, 16, v8
	v_and_b32_e32 v1, 0xffff, v8
	s_mov_b32 s3, exec_lo
                                        ; implicit-def: $vgpr5
	s_delay_alu instid0(VALU_DEP_2) | instskip(NEXT) | instid1(VALU_DEP_1)
	v_and_b32_e32 v7, 0x7fffffff, v6
	v_cmpx_gt_u32_e32 0x47800000, v7
	s_xor_b32 s3, exec_lo, s3
	s_cbranch_execz .LBB47_2833
; %bb.2828:
	s_mov_b32 s6, exec_lo
                                        ; implicit-def: $vgpr5
	v_cmpx_lt_u32_e32 0x387fffff, v7
	s_xor_b32 s6, exec_lo, s6
; %bb.2829:
	v_bfe_u32 v5, v1, 5, 1
	s_delay_alu instid0(VALU_DEP_1) | instskip(NEXT) | instid1(VALU_DEP_1)
	v_add3_u32 v5, v6, v5, 0x80fffff
                                        ; implicit-def: $vgpr6
	v_lshrrev_b32_e32 v5, 21, v5
; %bb.2830:
	s_and_not1_saveexec_b32 s6, s6
; %bb.2831:
	v_add_f32_e64 v5, 0x43000000, |v6|
; %bb.2832:
	s_or_b32 exec_lo, exec_lo, s6
                                        ; implicit-def: $vgpr7
.LBB47_2833:
	s_and_not1_saveexec_b32 s3, s3
; %bb.2834:
	v_mov_b32_e32 v5, 0x7f
	v_cmp_lt_u32_e32 vcc_lo, 0x7f800000, v7
	s_delay_alu instid0(VALU_DEP_2)
	v_cndmask_b32_e32 v5, 0x7c, v5, vcc_lo
; %bb.2835:
	s_or_b32 exec_lo, exec_lo, s3
	v_lshrrev_b32_e32 v1, 8, v1
	s_delay_alu instid0(VALU_DEP_1)
	v_and_or_b32 v1, 0x80, v1, v5
	global_store_b8 v[2:3], v1, off
.LBB47_2836:
	s_mov_b32 s3, 0
	s_mov_b32 s6, -1
.LBB47_2837:
	s_and_not1_b32 vcc_lo, exec_lo, s3
	s_mov_b32 s3, 0
	s_cbranch_vccnz .LBB47_2844
; %bb.2838:
	s_cmp_gt_i32 s2, 14
	s_mov_b32 s3, -1
	s_cbranch_scc0 .LBB47_2842
; %bb.2839:
	s_cmp_eq_u32 s2, 15
	s_mov_b32 s0, -1
	s_cbranch_scc0 .LBB47_2841
; %bb.2840:
	s_mov_b32 s0, 0
	s_mov_b32 s6, -1
	global_store_b16 v[2:3], v8, off
.LBB47_2841:
	s_mov_b32 s3, 0
.LBB47_2842:
	s_delay_alu instid0(SALU_CYCLE_1)
	s_and_b32 vcc_lo, exec_lo, s3
	s_mov_b32 s3, 0
	s_cbranch_vccz .LBB47_2844
; %bb.2843:
	s_cmp_lg_u32 s2, 11
	s_mov_b32 s3, -1
	s_cselect_b32 s0, -1, 0
.LBB47_2844:
	s_delay_alu instid0(SALU_CYCLE_1)
	s_and_b32 vcc_lo, exec_lo, s0
	s_cbranch_vccnz .LBB47_3094
; %bb.2845:
	s_and_not1_b32 vcc_lo, exec_lo, s3
	s_cbranch_vccnz .LBB47_2847
.LBB47_2846:
	s_wait_xcnt 0x0
	v_and_b32_e32 v1, 0x7fff, v8
	s_mov_b32 s6, -1
	s_delay_alu instid0(VALU_DEP_1)
	v_cmp_ne_u16_e32 vcc_lo, 0, v1
	v_cndmask_b32_e64 v1, 0, 1, vcc_lo
	global_store_b8 v[2:3], v1, off
.LBB47_2847:
	s_mov_b32 s0, 0
	s_branch .LBB47_2849
.LBB47_2848:
	s_mov_b32 s0, -1
	s_mov_b32 s6, 0
.LBB47_2849:
	s_and_b32 vcc_lo, exec_lo, s0
	s_cbranch_vccz .LBB47_2888
; %bb.2850:
	s_and_b32 s0, 0xffff, s16
	s_mov_b32 s2, -1
	s_cmp_lt_i32 s0, 5
	s_cbranch_scc1 .LBB47_2871
; %bb.2851:
	s_cmp_lt_i32 s0, 8
	s_cbranch_scc1 .LBB47_2861
; %bb.2852:
	;; [unrolled: 3-line block ×3, first 2 shown]
	s_cmp_gt_i32 s0, 9
	s_cbranch_scc0 .LBB47_2855
; %bb.2854:
	s_wait_xcnt 0x0
	v_dual_mov_b32 v12, 0 :: v_dual_lshlrev_b32 v1, 16, v8
	s_mov_b32 s2, 0
	s_delay_alu instid0(VALU_DEP_1) | instskip(NEXT) | instid1(VALU_DEP_2)
	v_cvt_f64_f32_e32 v[10:11], v1
	v_mov_b32_e32 v13, v12
	global_store_b128 v[2:3], v[10:13], off
.LBB47_2855:
	s_and_not1_b32 vcc_lo, exec_lo, s2
	s_cbranch_vccnz .LBB47_2857
; %bb.2856:
	s_wait_xcnt 0x0
	v_dual_mov_b32 v7, 0 :: v_dual_lshlrev_b32 v6, 16, v8
	global_store_b64 v[2:3], v[6:7], off
.LBB47_2857:
	s_mov_b32 s2, 0
.LBB47_2858:
	s_delay_alu instid0(SALU_CYCLE_1)
	s_and_not1_b32 vcc_lo, exec_lo, s2
	s_cbranch_vccnz .LBB47_2860
; %bb.2859:
	s_wait_xcnt 0x0
	v_lshlrev_b32_e32 v1, 16, v8
	s_delay_alu instid0(VALU_DEP_1) | instskip(NEXT) | instid1(VALU_DEP_1)
	v_cvt_f16_f32_e32 v1, v1
	v_and_b32_e32 v1, 0xffff, v1
	global_store_b32 v[2:3], v1, off
.LBB47_2860:
	s_mov_b32 s2, 0
.LBB47_2861:
	s_delay_alu instid0(SALU_CYCLE_1)
	s_and_not1_b32 vcc_lo, exec_lo, s2
	s_cbranch_vccnz .LBB47_2870
; %bb.2862:
	s_cmp_lt_i32 s0, 6
	s_mov_b32 s2, -1
	s_cbranch_scc1 .LBB47_2868
; %bb.2863:
	s_cmp_gt_i32 s0, 6
	s_cbranch_scc0 .LBB47_2865
; %bb.2864:
	s_wait_xcnt 0x0
	v_lshlrev_b32_e32 v1, 16, v8
	s_mov_b32 s2, 0
	s_delay_alu instid0(VALU_DEP_1)
	v_cvt_f64_f32_e32 v[6:7], v1
	global_store_b64 v[2:3], v[6:7], off
.LBB47_2865:
	s_and_not1_b32 vcc_lo, exec_lo, s2
	s_cbranch_vccnz .LBB47_2867
; %bb.2866:
	s_wait_xcnt 0x0
	v_lshlrev_b32_e32 v1, 16, v8
	global_store_b32 v[2:3], v1, off
.LBB47_2867:
	s_mov_b32 s2, 0
.LBB47_2868:
	s_delay_alu instid0(SALU_CYCLE_1)
	s_and_not1_b32 vcc_lo, exec_lo, s2
	s_cbranch_vccnz .LBB47_2870
; %bb.2869:
	s_wait_xcnt 0x0
	v_lshlrev_b32_e32 v1, 16, v8
	s_delay_alu instid0(VALU_DEP_1)
	v_cvt_f16_f32_e32 v1, v1
	global_store_b16 v[2:3], v1, off
.LBB47_2870:
	s_mov_b32 s2, 0
.LBB47_2871:
	s_delay_alu instid0(SALU_CYCLE_1)
	s_and_not1_b32 vcc_lo, exec_lo, s2
	s_cbranch_vccnz .LBB47_2887
; %bb.2872:
	s_cmp_lt_i32 s0, 2
	s_mov_b32 s2, -1
	s_cbranch_scc1 .LBB47_2882
; %bb.2873:
	s_cmp_lt_i32 s0, 3
	s_cbranch_scc1 .LBB47_2879
; %bb.2874:
	s_cmp_gt_i32 s0, 3
	s_cbranch_scc0 .LBB47_2876
; %bb.2875:
	s_wait_xcnt 0x0
	v_lshlrev_b32_e32 v1, 16, v8
	s_mov_b32 s2, 0
	s_delay_alu instid0(VALU_DEP_1) | instskip(NEXT) | instid1(VALU_DEP_1)
	v_trunc_f32_e32 v1, v1
	v_mul_f32_e64 v5, 0x2f800000, |v1|
	v_ashrrev_i32_e32 v6, 31, v1
	s_delay_alu instid0(VALU_DEP_2) | instskip(NEXT) | instid1(VALU_DEP_1)
	v_floor_f32_e32 v5, v5
	v_fma_f32 v7, 0xcf800000, v5, |v1|
	v_cvt_u32_f32_e32 v1, v5
	s_delay_alu instid0(VALU_DEP_2) | instskip(NEXT) | instid1(VALU_DEP_2)
	v_cvt_u32_f32_e32 v5, v7
	v_dual_mov_b32 v7, v6 :: v_dual_bitop2_b32 v11, v1, v6 bitop3:0x14
	s_delay_alu instid0(VALU_DEP_2) | instskip(NEXT) | instid1(VALU_DEP_1)
	v_xor_b32_e32 v10, v5, v6
	v_sub_nc_u64_e32 v[6:7], v[10:11], v[6:7]
	global_store_b64 v[2:3], v[6:7], off
.LBB47_2876:
	s_and_not1_b32 vcc_lo, exec_lo, s2
	s_cbranch_vccnz .LBB47_2878
; %bb.2877:
	s_wait_xcnt 0x0
	v_lshlrev_b32_e32 v1, 16, v8
	s_delay_alu instid0(VALU_DEP_1)
	v_cvt_i32_f32_e32 v1, v1
	global_store_b32 v[2:3], v1, off
.LBB47_2878:
	s_mov_b32 s2, 0
.LBB47_2879:
	s_delay_alu instid0(SALU_CYCLE_1)
	s_and_not1_b32 vcc_lo, exec_lo, s2
	s_cbranch_vccnz .LBB47_2881
; %bb.2880:
	s_wait_xcnt 0x0
	v_lshlrev_b32_e32 v1, 16, v8
	s_delay_alu instid0(VALU_DEP_1)
	v_cvt_i32_f32_e32 v1, v1
	global_store_b16 v[2:3], v1, off
.LBB47_2881:
	s_mov_b32 s2, 0
.LBB47_2882:
	s_delay_alu instid0(SALU_CYCLE_1)
	s_and_not1_b32 vcc_lo, exec_lo, s2
	s_cbranch_vccnz .LBB47_2887
; %bb.2883:
	s_wait_xcnt 0x0
	v_lshlrev_b32_e32 v1, 16, v8
	s_cmp_gt_i32 s0, 0
	s_mov_b32 s0, -1
	s_cbranch_scc0 .LBB47_2885
; %bb.2884:
	s_delay_alu instid0(VALU_DEP_1)
	v_cvt_i32_f32_e32 v5, v1
	s_mov_b32 s0, 0
	global_store_b8 v[2:3], v5, off
.LBB47_2885:
	s_and_not1_b32 vcc_lo, exec_lo, s0
	s_cbranch_vccnz .LBB47_2887
; %bb.2886:
	v_trunc_f32_e32 v1, v1
	s_wait_xcnt 0x0
	s_delay_alu instid0(VALU_DEP_1) | instskip(NEXT) | instid1(VALU_DEP_1)
	v_mul_f32_e64 v5, 0x2f800000, |v1|
	v_floor_f32_e32 v5, v5
	s_delay_alu instid0(VALU_DEP_1) | instskip(SKIP_1) | instid1(VALU_DEP_2)
	v_fma_f32 v5, 0xcf800000, v5, |v1|
	v_ashrrev_i32_e32 v1, 31, v1
	v_cvt_u32_f32_e32 v5, v5
	s_delay_alu instid0(VALU_DEP_1) | instskip(NEXT) | instid1(VALU_DEP_1)
	v_xor_b32_e32 v5, v5, v1
	v_sub_nc_u32_e32 v1, v5, v1
	global_store_b8 v[2:3], v1, off
.LBB47_2887:
	s_mov_b32 s6, -1
.LBB47_2888:
	s_delay_alu instid0(SALU_CYCLE_1)
	s_and_not1_b32 vcc_lo, exec_lo, s6
	s_cbranch_vccnz .LBB47_3084
; %bb.2889:
	v_add_nc_u32_e32 v0, s1, v0
	s_cmp_lt_i32 s16, 11
	s_wait_xcnt 0x0
	s_delay_alu instid0(VALU_DEP_1) | instskip(NEXT) | instid1(VALU_DEP_1)
	v_ashrrev_i32_e32 v1, 31, v0
	v_add_nc_u64_e32 v[2:3], s[4:5], v[0:1]
	s_cbranch_scc1 .LBB47_2967
; %bb.2890:
	s_and_b32 s2, 0xffff, s16
	s_mov_b32 s7, -1
	s_mov_b32 s3, 0
	s_cmp_gt_i32 s2, 25
	s_mov_b32 s6, 0
	s_mov_b32 s0, 0
	s_cbranch_scc0 .LBB47_2923
; %bb.2891:
	s_cmp_gt_i32 s2, 28
	s_cbranch_scc0 .LBB47_2906
; %bb.2892:
	s_cmp_gt_i32 s2, 43
	;; [unrolled: 3-line block ×3, first 2 shown]
	s_cbranch_scc0 .LBB47_2896
; %bb.2894:
	s_mov_b32 s0, -1
	s_mov_b32 s7, 0
	s_cmp_eq_u32 s2, 46
	s_cbranch_scc0 .LBB47_2896
; %bb.2895:
	v_and_b32_e32 v1, 0xffff, v9
	s_mov_b32 s0, 0
	s_mov_b32 s6, -1
	global_store_b32 v[2:3], v1, off
.LBB47_2896:
	s_and_b32 vcc_lo, exec_lo, s7
	s_cbranch_vccz .LBB47_2901
; %bb.2897:
	s_cmp_eq_u32 s2, 44
	s_mov_b32 s0, -1
	s_cbranch_scc0 .LBB47_2901
; %bb.2898:
	s_wait_xcnt 0x0
	v_and_b32_e32 v1, 0xffff, v9
	v_mov_b32_e32 v5, 0xff
	s_mov_b32 s6, exec_lo
	s_delay_alu instid0(VALU_DEP_2) | instskip(NEXT) | instid1(VALU_DEP_1)
	v_bfe_u32 v6, v1, 7, 8
	v_cmpx_ne_u32_e32 0xff, v6
	s_cbranch_execz .LBB47_2900
; %bb.2899:
	v_dual_lshlrev_b32 v5, 16, v1 :: v_dual_bitop2_b32 v7, 64, v1 bitop3:0x40
	v_lshrrev_b32_e32 v1, 7, v1
	s_delay_alu instid0(VALU_DEP_2) | instskip(NEXT) | instid1(VALU_DEP_3)
	v_and_or_b32 v5, 0x3f0000, v5, v6
	v_cmp_ne_u32_e32 vcc_lo, 0, v7
	s_delay_alu instid0(VALU_DEP_2) | instskip(SKIP_1) | instid1(SALU_CYCLE_1)
	v_cmp_ne_u32_e64 s0, 0, v5
	s_and_b32 s0, vcc_lo, s0
	v_cndmask_b32_e64 v5, 0, 1, s0
	s_delay_alu instid0(VALU_DEP_1)
	v_add_nc_u32_e32 v5, v1, v5
.LBB47_2900:
	s_or_b32 exec_lo, exec_lo, s6
	s_mov_b32 s0, 0
	s_mov_b32 s6, -1
	global_store_b8 v[2:3], v5, off
.LBB47_2901:
	s_mov_b32 s7, 0
.LBB47_2902:
	s_delay_alu instid0(SALU_CYCLE_1)
	s_and_b32 vcc_lo, exec_lo, s7
	s_cbranch_vccz .LBB47_2905
; %bb.2903:
	s_cmp_eq_u32 s2, 29
	s_mov_b32 s0, -1
	s_cbranch_scc0 .LBB47_2905
; %bb.2904:
	s_wait_xcnt 0x0
	v_lshlrev_b32_e32 v1, 16, v9
	s_mov_b32 s0, 0
	s_mov_b32 s6, -1
	s_delay_alu instid0(VALU_DEP_1) | instskip(NEXT) | instid1(VALU_DEP_1)
	v_trunc_f32_e32 v1, v1
	v_mul_f32_e32 v5, 0x2f800000, v1
	s_delay_alu instid0(VALU_DEP_1) | instskip(NEXT) | instid1(VALU_DEP_1)
	v_floor_f32_e32 v5, v5
	v_fmamk_f32 v1, v5, 0xcf800000, v1
	v_cvt_u32_f32_e32 v7, v5
	s_delay_alu instid0(VALU_DEP_2)
	v_cvt_u32_f32_e32 v6, v1
	global_store_b64 v[2:3], v[6:7], off
.LBB47_2905:
	s_mov_b32 s7, 0
.LBB47_2906:
	s_delay_alu instid0(SALU_CYCLE_1)
	s_and_b32 vcc_lo, exec_lo, s7
	s_cbranch_vccz .LBB47_2922
; %bb.2907:
	s_cmp_lt_i32 s2, 27
	s_mov_b32 s6, -1
	s_cbranch_scc1 .LBB47_2913
; %bb.2908:
	s_cmp_gt_i32 s2, 27
	s_cbranch_scc0 .LBB47_2910
; %bb.2909:
	s_wait_xcnt 0x0
	v_lshlrev_b32_e32 v1, 16, v9
	s_mov_b32 s6, 0
	s_delay_alu instid0(VALU_DEP_1)
	v_cvt_u32_f32_e32 v1, v1
	global_store_b32 v[2:3], v1, off
.LBB47_2910:
	s_and_not1_b32 vcc_lo, exec_lo, s6
	s_cbranch_vccnz .LBB47_2912
; %bb.2911:
	s_wait_xcnt 0x0
	v_lshlrev_b32_e32 v1, 16, v9
	s_delay_alu instid0(VALU_DEP_1)
	v_cvt_u32_f32_e32 v1, v1
	global_store_b16 v[2:3], v1, off
.LBB47_2912:
	s_mov_b32 s6, 0
.LBB47_2913:
	s_delay_alu instid0(SALU_CYCLE_1)
	s_and_not1_b32 vcc_lo, exec_lo, s6
	s_cbranch_vccnz .LBB47_2921
; %bb.2914:
	s_wait_xcnt 0x0
	v_dual_mov_b32 v7, 0x80 :: v_dual_lshlrev_b32 v6, 16, v9
	s_mov_b32 s6, exec_lo
	s_delay_alu instid0(VALU_DEP_1) | instskip(NEXT) | instid1(VALU_DEP_1)
	v_and_b32_e32 v5, 0x7fffffff, v6
	v_cmpx_gt_u32_e32 0x43800000, v5
	s_cbranch_execz .LBB47_2920
; %bb.2915:
	v_and_b32_e32 v1, 0xffff, v9
	v_cmp_lt_u32_e32 vcc_lo, 0x3bffffff, v5
	s_mov_b32 s7, 0
                                        ; implicit-def: $vgpr5
	s_and_saveexec_b32 s8, vcc_lo
	s_delay_alu instid0(SALU_CYCLE_1)
	s_xor_b32 s8, exec_lo, s8
	s_cbranch_execz .LBB47_3097
; %bb.2916:
	v_bfe_u32 v5, v1, 4, 1
	s_mov_b32 s7, exec_lo
	s_delay_alu instid0(VALU_DEP_1) | instskip(NEXT) | instid1(VALU_DEP_1)
	v_add3_u32 v5, v6, v5, 0x487ffff
                                        ; implicit-def: $vgpr6
	v_lshrrev_b32_e32 v5, 20, v5
	s_and_not1_saveexec_b32 s8, s8
	s_cbranch_execnz .LBB47_3098
.LBB47_2917:
	s_or_b32 exec_lo, exec_lo, s8
	v_mov_b32_e32 v7, 0
	s_and_saveexec_b32 s8, s7
.LBB47_2918:
	v_lshrrev_b32_e32 v1, 8, v1
	s_delay_alu instid0(VALU_DEP_1)
	v_and_or_b32 v7, 0x80, v1, v5
.LBB47_2919:
	s_or_b32 exec_lo, exec_lo, s8
.LBB47_2920:
	s_delay_alu instid0(SALU_CYCLE_1)
	s_or_b32 exec_lo, exec_lo, s6
	global_store_b8 v[2:3], v7, off
.LBB47_2921:
	s_mov_b32 s6, -1
.LBB47_2922:
	s_mov_b32 s7, 0
.LBB47_2923:
	s_delay_alu instid0(SALU_CYCLE_1)
	s_and_b32 vcc_lo, exec_lo, s7
	s_cbranch_vccz .LBB47_2963
; %bb.2924:
	s_cmp_gt_i32 s2, 22
	s_mov_b32 s3, -1
	s_cbranch_scc0 .LBB47_2956
; %bb.2925:
	s_cmp_lt_i32 s2, 24
	s_cbranch_scc1 .LBB47_2945
; %bb.2926:
	s_cmp_gt_i32 s2, 24
	s_cbranch_scc0 .LBB47_2934
; %bb.2927:
	s_wait_xcnt 0x0
	v_dual_mov_b32 v7, 0x80 :: v_dual_lshlrev_b32 v6, 16, v9
	s_mov_b32 s3, exec_lo
	s_delay_alu instid0(VALU_DEP_1) | instskip(NEXT) | instid1(VALU_DEP_1)
	v_and_b32_e32 v5, 0x7fffffff, v6
	v_cmpx_gt_u32_e32 0x47800000, v5
	s_cbranch_execz .LBB47_2933
; %bb.2928:
	v_and_b32_e32 v1, 0xffff, v9
	v_cmp_lt_u32_e32 vcc_lo, 0x37ffffff, v5
	s_mov_b32 s6, 0
                                        ; implicit-def: $vgpr5
	s_and_saveexec_b32 s7, vcc_lo
	s_delay_alu instid0(SALU_CYCLE_1)
	s_xor_b32 s7, exec_lo, s7
	s_cbranch_execz .LBB47_3100
; %bb.2929:
	v_bfe_u32 v5, v1, 5, 1
	s_mov_b32 s6, exec_lo
	s_delay_alu instid0(VALU_DEP_1) | instskip(NEXT) | instid1(VALU_DEP_1)
	v_add3_u32 v5, v6, v5, 0x88fffff
                                        ; implicit-def: $vgpr6
	v_lshrrev_b32_e32 v5, 21, v5
	s_and_not1_saveexec_b32 s7, s7
	s_cbranch_execnz .LBB47_3101
.LBB47_2930:
	s_or_b32 exec_lo, exec_lo, s7
	v_mov_b32_e32 v7, 0
	s_and_saveexec_b32 s7, s6
.LBB47_2931:
	v_lshrrev_b32_e32 v1, 8, v1
	s_delay_alu instid0(VALU_DEP_1)
	v_and_or_b32 v7, 0x80, v1, v5
.LBB47_2932:
	s_or_b32 exec_lo, exec_lo, s7
.LBB47_2933:
	s_delay_alu instid0(SALU_CYCLE_1)
	s_or_b32 exec_lo, exec_lo, s3
	s_mov_b32 s3, 0
	global_store_b8 v[2:3], v7, off
.LBB47_2934:
	s_and_b32 vcc_lo, exec_lo, s3
	s_cbranch_vccz .LBB47_2944
; %bb.2935:
	s_wait_xcnt 0x0
	v_lshlrev_b32_e32 v6, 16, v9
	v_and_b32_e32 v1, 0xffff, v9
	s_mov_b32 s3, exec_lo
                                        ; implicit-def: $vgpr5
	s_delay_alu instid0(VALU_DEP_2) | instskip(NEXT) | instid1(VALU_DEP_1)
	v_and_b32_e32 v7, 0x7fffffff, v6
	v_cmpx_gt_u32_e32 0x43f00000, v7
	s_xor_b32 s3, exec_lo, s3
	s_cbranch_execz .LBB47_2941
; %bb.2936:
	s_mov_b32 s6, exec_lo
                                        ; implicit-def: $vgpr5
	v_cmpx_lt_u32_e32 0x3c7fffff, v7
	s_xor_b32 s6, exec_lo, s6
; %bb.2937:
	v_bfe_u32 v5, v1, 4, 1
	s_delay_alu instid0(VALU_DEP_1) | instskip(NEXT) | instid1(VALU_DEP_1)
	v_add3_u32 v5, v6, v5, 0x407ffff
	v_and_b32_e32 v6, 0xff00000, v5
	v_lshrrev_b32_e32 v5, 20, v5
	s_delay_alu instid0(VALU_DEP_2) | instskip(NEXT) | instid1(VALU_DEP_2)
	v_cmp_ne_u32_e32 vcc_lo, 0x7f00000, v6
                                        ; implicit-def: $vgpr6
	v_cndmask_b32_e32 v5, 0x7e, v5, vcc_lo
; %bb.2938:
	s_and_not1_saveexec_b32 s6, s6
; %bb.2939:
	v_add_f32_e64 v5, 0x46800000, |v6|
; %bb.2940:
	s_or_b32 exec_lo, exec_lo, s6
                                        ; implicit-def: $vgpr7
.LBB47_2941:
	s_and_not1_saveexec_b32 s3, s3
; %bb.2942:
	v_mov_b32_e32 v5, 0x7f
	v_cmp_lt_u32_e32 vcc_lo, 0x7f800000, v7
	s_delay_alu instid0(VALU_DEP_2)
	v_cndmask_b32_e32 v5, 0x7e, v5, vcc_lo
; %bb.2943:
	s_or_b32 exec_lo, exec_lo, s3
	v_lshrrev_b32_e32 v1, 8, v1
	s_delay_alu instid0(VALU_DEP_1)
	v_and_or_b32 v1, 0x80, v1, v5
	global_store_b8 v[2:3], v1, off
.LBB47_2944:
	s_mov_b32 s3, 0
.LBB47_2945:
	s_delay_alu instid0(SALU_CYCLE_1)
	s_and_not1_b32 vcc_lo, exec_lo, s3
	s_cbranch_vccnz .LBB47_2955
; %bb.2946:
	s_wait_xcnt 0x0
	v_lshlrev_b32_e32 v6, 16, v9
	v_and_b32_e32 v1, 0xffff, v9
	s_mov_b32 s3, exec_lo
                                        ; implicit-def: $vgpr5
	s_delay_alu instid0(VALU_DEP_2) | instskip(NEXT) | instid1(VALU_DEP_1)
	v_and_b32_e32 v7, 0x7fffffff, v6
	v_cmpx_gt_u32_e32 0x47800000, v7
	s_xor_b32 s3, exec_lo, s3
	s_cbranch_execz .LBB47_2952
; %bb.2947:
	s_mov_b32 s6, exec_lo
                                        ; implicit-def: $vgpr5
	v_cmpx_lt_u32_e32 0x387fffff, v7
	s_xor_b32 s6, exec_lo, s6
; %bb.2948:
	v_bfe_u32 v5, v1, 5, 1
	s_delay_alu instid0(VALU_DEP_1) | instskip(NEXT) | instid1(VALU_DEP_1)
	v_add3_u32 v5, v6, v5, 0x80fffff
                                        ; implicit-def: $vgpr6
	v_lshrrev_b32_e32 v5, 21, v5
; %bb.2949:
	s_and_not1_saveexec_b32 s6, s6
; %bb.2950:
	v_add_f32_e64 v5, 0x43000000, |v6|
; %bb.2951:
	s_or_b32 exec_lo, exec_lo, s6
                                        ; implicit-def: $vgpr7
.LBB47_2952:
	s_and_not1_saveexec_b32 s3, s3
; %bb.2953:
	v_mov_b32_e32 v5, 0x7f
	v_cmp_lt_u32_e32 vcc_lo, 0x7f800000, v7
	s_delay_alu instid0(VALU_DEP_2)
	v_cndmask_b32_e32 v5, 0x7c, v5, vcc_lo
; %bb.2954:
	s_or_b32 exec_lo, exec_lo, s3
	v_lshrrev_b32_e32 v1, 8, v1
	s_delay_alu instid0(VALU_DEP_1)
	v_and_or_b32 v1, 0x80, v1, v5
	global_store_b8 v[2:3], v1, off
.LBB47_2955:
	s_mov_b32 s3, 0
	s_mov_b32 s6, -1
.LBB47_2956:
	s_and_not1_b32 vcc_lo, exec_lo, s3
	s_mov_b32 s3, 0
	s_cbranch_vccnz .LBB47_2963
; %bb.2957:
	s_cmp_gt_i32 s2, 14
	s_mov_b32 s3, -1
	s_cbranch_scc0 .LBB47_2961
; %bb.2958:
	s_cmp_eq_u32 s2, 15
	s_mov_b32 s0, -1
	s_cbranch_scc0 .LBB47_2960
; %bb.2959:
	s_mov_b32 s0, 0
	s_mov_b32 s6, -1
	global_store_b16 v[2:3], v9, off
.LBB47_2960:
	s_mov_b32 s3, 0
.LBB47_2961:
	s_delay_alu instid0(SALU_CYCLE_1)
	s_and_b32 vcc_lo, exec_lo, s3
	s_mov_b32 s3, 0
	s_cbranch_vccz .LBB47_2963
; %bb.2962:
	s_cmp_lg_u32 s2, 11
	s_mov_b32 s3, -1
	s_cselect_b32 s0, -1, 0
.LBB47_2963:
	s_delay_alu instid0(SALU_CYCLE_1)
	s_and_b32 vcc_lo, exec_lo, s0
	s_cbranch_vccnz .LBB47_3099
; %bb.2964:
	s_and_not1_b32 vcc_lo, exec_lo, s3
	s_cbranch_vccnz .LBB47_2966
.LBB47_2965:
	s_wait_xcnt 0x0
	v_and_b32_e32 v1, 0x7fff, v9
	s_mov_b32 s6, -1
	s_delay_alu instid0(VALU_DEP_1)
	v_cmp_ne_u16_e32 vcc_lo, 0, v1
	v_cndmask_b32_e64 v1, 0, 1, vcc_lo
	global_store_b8 v[2:3], v1, off
.LBB47_2966:
	s_mov_b32 s0, 0
	s_branch .LBB47_2968
.LBB47_2967:
	s_mov_b32 s0, -1
	s_mov_b32 s6, 0
.LBB47_2968:
	s_and_b32 vcc_lo, exec_lo, s0
	s_cbranch_vccz .LBB47_3007
; %bb.2969:
	s_and_b32 s0, 0xffff, s16
	s_mov_b32 s2, -1
	s_cmp_lt_i32 s0, 5
	s_cbranch_scc1 .LBB47_2990
; %bb.2970:
	s_cmp_lt_i32 s0, 8
	s_cbranch_scc1 .LBB47_2980
; %bb.2971:
	;; [unrolled: 3-line block ×3, first 2 shown]
	s_cmp_gt_i32 s0, 9
	s_cbranch_scc0 .LBB47_2974
; %bb.2973:
	s_wait_xcnt 0x0
	v_dual_mov_b32 v12, 0 :: v_dual_lshlrev_b32 v1, 16, v9
	s_mov_b32 s2, 0
	s_delay_alu instid0(VALU_DEP_1) | instskip(NEXT) | instid1(VALU_DEP_2)
	v_cvt_f64_f32_e32 v[10:11], v1
	v_mov_b32_e32 v13, v12
	global_store_b128 v[2:3], v[10:13], off
.LBB47_2974:
	s_and_not1_b32 vcc_lo, exec_lo, s2
	s_cbranch_vccnz .LBB47_2976
; %bb.2975:
	s_wait_xcnt 0x0
	v_dual_mov_b32 v7, 0 :: v_dual_lshlrev_b32 v6, 16, v9
	global_store_b64 v[2:3], v[6:7], off
.LBB47_2976:
	s_mov_b32 s2, 0
.LBB47_2977:
	s_delay_alu instid0(SALU_CYCLE_1)
	s_and_not1_b32 vcc_lo, exec_lo, s2
	s_cbranch_vccnz .LBB47_2979
; %bb.2978:
	s_wait_xcnt 0x0
	v_lshlrev_b32_e32 v1, 16, v9
	s_delay_alu instid0(VALU_DEP_1) | instskip(NEXT) | instid1(VALU_DEP_1)
	v_cvt_f16_f32_e32 v1, v1
	v_and_b32_e32 v1, 0xffff, v1
	global_store_b32 v[2:3], v1, off
.LBB47_2979:
	s_mov_b32 s2, 0
.LBB47_2980:
	s_delay_alu instid0(SALU_CYCLE_1)
	s_and_not1_b32 vcc_lo, exec_lo, s2
	s_cbranch_vccnz .LBB47_2989
; %bb.2981:
	s_cmp_lt_i32 s0, 6
	s_mov_b32 s2, -1
	s_cbranch_scc1 .LBB47_2987
; %bb.2982:
	s_cmp_gt_i32 s0, 6
	s_cbranch_scc0 .LBB47_2984
; %bb.2983:
	s_wait_xcnt 0x0
	v_lshlrev_b32_e32 v1, 16, v9
	s_mov_b32 s2, 0
	s_delay_alu instid0(VALU_DEP_1)
	v_cvt_f64_f32_e32 v[6:7], v1
	global_store_b64 v[2:3], v[6:7], off
.LBB47_2984:
	s_and_not1_b32 vcc_lo, exec_lo, s2
	s_cbranch_vccnz .LBB47_2986
; %bb.2985:
	s_wait_xcnt 0x0
	v_lshlrev_b32_e32 v1, 16, v9
	global_store_b32 v[2:3], v1, off
.LBB47_2986:
	s_mov_b32 s2, 0
.LBB47_2987:
	s_delay_alu instid0(SALU_CYCLE_1)
	s_and_not1_b32 vcc_lo, exec_lo, s2
	s_cbranch_vccnz .LBB47_2989
; %bb.2988:
	s_wait_xcnt 0x0
	v_lshlrev_b32_e32 v1, 16, v9
	s_delay_alu instid0(VALU_DEP_1)
	v_cvt_f16_f32_e32 v1, v1
	global_store_b16 v[2:3], v1, off
.LBB47_2989:
	s_mov_b32 s2, 0
.LBB47_2990:
	s_delay_alu instid0(SALU_CYCLE_1)
	s_and_not1_b32 vcc_lo, exec_lo, s2
	s_cbranch_vccnz .LBB47_3006
; %bb.2991:
	s_cmp_lt_i32 s0, 2
	s_mov_b32 s2, -1
	s_cbranch_scc1 .LBB47_3001
; %bb.2992:
	s_cmp_lt_i32 s0, 3
	s_cbranch_scc1 .LBB47_2998
; %bb.2993:
	s_cmp_gt_i32 s0, 3
	s_cbranch_scc0 .LBB47_2995
; %bb.2994:
	s_wait_xcnt 0x0
	v_lshlrev_b32_e32 v1, 16, v9
	s_mov_b32 s2, 0
	s_delay_alu instid0(VALU_DEP_1) | instskip(NEXT) | instid1(VALU_DEP_1)
	v_trunc_f32_e32 v1, v1
	v_mul_f32_e64 v5, 0x2f800000, |v1|
	v_ashrrev_i32_e32 v6, 31, v1
	s_delay_alu instid0(VALU_DEP_2) | instskip(NEXT) | instid1(VALU_DEP_1)
	v_floor_f32_e32 v5, v5
	v_fma_f32 v7, 0xcf800000, v5, |v1|
	v_cvt_u32_f32_e32 v1, v5
	s_delay_alu instid0(VALU_DEP_2) | instskip(NEXT) | instid1(VALU_DEP_2)
	v_cvt_u32_f32_e32 v5, v7
	v_dual_mov_b32 v7, v6 :: v_dual_bitop2_b32 v11, v1, v6 bitop3:0x14
	s_delay_alu instid0(VALU_DEP_2) | instskip(NEXT) | instid1(VALU_DEP_1)
	v_xor_b32_e32 v10, v5, v6
	v_sub_nc_u64_e32 v[6:7], v[10:11], v[6:7]
	global_store_b64 v[2:3], v[6:7], off
.LBB47_2995:
	s_and_not1_b32 vcc_lo, exec_lo, s2
	s_cbranch_vccnz .LBB47_2997
; %bb.2996:
	s_wait_xcnt 0x0
	v_lshlrev_b32_e32 v1, 16, v9
	s_delay_alu instid0(VALU_DEP_1)
	v_cvt_i32_f32_e32 v1, v1
	global_store_b32 v[2:3], v1, off
.LBB47_2997:
	s_mov_b32 s2, 0
.LBB47_2998:
	s_delay_alu instid0(SALU_CYCLE_1)
	s_and_not1_b32 vcc_lo, exec_lo, s2
	s_cbranch_vccnz .LBB47_3000
; %bb.2999:
	s_wait_xcnt 0x0
	v_lshlrev_b32_e32 v1, 16, v9
	s_delay_alu instid0(VALU_DEP_1)
	v_cvt_i32_f32_e32 v1, v1
	global_store_b16 v[2:3], v1, off
.LBB47_3000:
	s_mov_b32 s2, 0
.LBB47_3001:
	s_delay_alu instid0(SALU_CYCLE_1)
	s_and_not1_b32 vcc_lo, exec_lo, s2
	s_cbranch_vccnz .LBB47_3006
; %bb.3002:
	s_wait_xcnt 0x0
	v_lshlrev_b32_e32 v1, 16, v9
	s_cmp_gt_i32 s0, 0
	s_mov_b32 s0, -1
	s_cbranch_scc0 .LBB47_3004
; %bb.3003:
	s_delay_alu instid0(VALU_DEP_1)
	v_cvt_i32_f32_e32 v5, v1
	s_mov_b32 s0, 0
	global_store_b8 v[2:3], v5, off
.LBB47_3004:
	s_and_not1_b32 vcc_lo, exec_lo, s0
	s_cbranch_vccnz .LBB47_3006
; %bb.3005:
	v_trunc_f32_e32 v1, v1
	s_wait_xcnt 0x0
	s_delay_alu instid0(VALU_DEP_1) | instskip(NEXT) | instid1(VALU_DEP_1)
	v_mul_f32_e64 v5, 0x2f800000, |v1|
	v_floor_f32_e32 v5, v5
	s_delay_alu instid0(VALU_DEP_1) | instskip(SKIP_1) | instid1(VALU_DEP_2)
	v_fma_f32 v5, 0xcf800000, v5, |v1|
	v_ashrrev_i32_e32 v1, 31, v1
	v_cvt_u32_f32_e32 v5, v5
	s_delay_alu instid0(VALU_DEP_1) | instskip(NEXT) | instid1(VALU_DEP_1)
	v_xor_b32_e32 v5, v5, v1
	v_sub_nc_u32_e32 v1, v5, v1
	global_store_b8 v[2:3], v1, off
.LBB47_3006:
	s_mov_b32 s6, -1
.LBB47_3007:
	s_delay_alu instid0(SALU_CYCLE_1)
	s_and_not1_b32 vcc_lo, exec_lo, s6
	s_cbranch_vccnz .LBB47_3084
; %bb.3008:
	v_add_nc_u32_e32 v0, s1, v0
	s_cmp_lt_i32 s16, 11
	s_wait_xcnt 0x0
	s_delay_alu instid0(VALU_DEP_1) | instskip(NEXT) | instid1(VALU_DEP_1)
	v_ashrrev_i32_e32 v1, 31, v0
	v_add_nc_u64_e32 v[0:1], s[4:5], v[0:1]
	s_cbranch_scc1 .LBB47_3085
; %bb.3009:
	s_and_b32 s1, 0xffff, s16
	s_mov_b32 s3, -1
	s_mov_b32 s2, 0
	s_cmp_gt_i32 s1, 25
	s_mov_b32 s0, 0
	s_cbranch_scc0 .LBB47_3042
; %bb.3010:
	s_cmp_gt_i32 s1, 28
	s_cbranch_scc0 .LBB47_3026
; %bb.3011:
	s_cmp_gt_i32 s1, 43
	;; [unrolled: 3-line block ×3, first 2 shown]
	s_cbranch_scc0 .LBB47_3016
; %bb.3013:
	s_cmp_eq_u32 s1, 46
	s_mov_b32 s0, -1
	s_cbranch_scc0 .LBB47_3015
; %bb.3014:
	v_and_b32_e32 v2, 0xffff, v4
	s_mov_b32 s0, 0
	global_store_b32 v[0:1], v2, off
.LBB47_3015:
	s_mov_b32 s3, 0
.LBB47_3016:
	s_delay_alu instid0(SALU_CYCLE_1)
	s_and_b32 vcc_lo, exec_lo, s3
	s_cbranch_vccz .LBB47_3021
; %bb.3017:
	s_cmp_eq_u32 s1, 44
	s_mov_b32 s0, -1
	s_cbranch_scc0 .LBB47_3021
; %bb.3018:
	s_wait_xcnt 0x0
	v_and_b32_e32 v2, 0xffff, v4
	v_mov_b32_e32 v3, 0xff
	s_mov_b32 s3, exec_lo
	s_delay_alu instid0(VALU_DEP_2) | instskip(NEXT) | instid1(VALU_DEP_1)
	v_bfe_u32 v5, v2, 7, 8
	v_cmpx_ne_u32_e32 0xff, v5
	s_cbranch_execz .LBB47_3020
; %bb.3019:
	v_dual_lshlrev_b32 v3, 16, v2 :: v_dual_bitop2_b32 v6, 64, v2 bitop3:0x40
	v_lshrrev_b32_e32 v2, 7, v2
	s_delay_alu instid0(VALU_DEP_2) | instskip(NEXT) | instid1(VALU_DEP_3)
	v_and_or_b32 v3, 0x3f0000, v3, v5
	v_cmp_ne_u32_e32 vcc_lo, 0, v6
	s_delay_alu instid0(VALU_DEP_2) | instskip(SKIP_1) | instid1(SALU_CYCLE_1)
	v_cmp_ne_u32_e64 s0, 0, v3
	s_and_b32 s0, vcc_lo, s0
	v_cndmask_b32_e64 v3, 0, 1, s0
	s_delay_alu instid0(VALU_DEP_1)
	v_add_nc_u32_e32 v3, v2, v3
.LBB47_3020:
	s_or_b32 exec_lo, exec_lo, s3
	s_mov_b32 s0, 0
	global_store_b8 v[0:1], v3, off
.LBB47_3021:
	s_mov_b32 s3, 0
.LBB47_3022:
	s_delay_alu instid0(SALU_CYCLE_1)
	s_and_b32 vcc_lo, exec_lo, s3
	s_cbranch_vccz .LBB47_3025
; %bb.3023:
	s_cmp_eq_u32 s1, 29
	s_mov_b32 s0, -1
	s_cbranch_scc0 .LBB47_3025
; %bb.3024:
	s_wait_xcnt 0x0
	v_lshlrev_b32_e32 v2, 16, v4
	s_mov_b32 s0, 0
	s_delay_alu instid0(VALU_DEP_1) | instskip(NEXT) | instid1(VALU_DEP_1)
	v_trunc_f32_e32 v2, v2
	v_mul_f32_e32 v3, 0x2f800000, v2
	s_delay_alu instid0(VALU_DEP_1) | instskip(NEXT) | instid1(VALU_DEP_1)
	v_floor_f32_e32 v3, v3
	v_fmamk_f32 v2, v3, 0xcf800000, v2
	v_cvt_u32_f32_e32 v3, v3
	s_delay_alu instid0(VALU_DEP_2)
	v_cvt_u32_f32_e32 v2, v2
	global_store_b64 v[0:1], v[2:3], off
.LBB47_3025:
	s_mov_b32 s3, 0
.LBB47_3026:
	s_delay_alu instid0(SALU_CYCLE_1)
	s_and_b32 vcc_lo, exec_lo, s3
	s_cbranch_vccz .LBB47_3041
; %bb.3027:
	s_cmp_lt_i32 s1, 27
	s_mov_b32 s3, -1
	s_cbranch_scc1 .LBB47_3033
; %bb.3028:
	s_cmp_gt_i32 s1, 27
	s_cbranch_scc0 .LBB47_3030
; %bb.3029:
	s_wait_xcnt 0x0
	v_lshlrev_b32_e32 v2, 16, v4
	s_mov_b32 s3, 0
	s_delay_alu instid0(VALU_DEP_1)
	v_cvt_u32_f32_e32 v2, v2
	global_store_b32 v[0:1], v2, off
.LBB47_3030:
	s_and_not1_b32 vcc_lo, exec_lo, s3
	s_cbranch_vccnz .LBB47_3032
; %bb.3031:
	s_wait_xcnt 0x0
	v_lshlrev_b32_e32 v2, 16, v4
	s_delay_alu instid0(VALU_DEP_1)
	v_cvt_u32_f32_e32 v2, v2
	global_store_b16 v[0:1], v2, off
.LBB47_3032:
	s_mov_b32 s3, 0
.LBB47_3033:
	s_delay_alu instid0(SALU_CYCLE_1)
	s_and_not1_b32 vcc_lo, exec_lo, s3
	s_cbranch_vccnz .LBB47_3041
; %bb.3034:
	v_dual_mov_b32 v6, 0x80 :: v_dual_lshlrev_b32 v5, 16, v4
	s_mov_b32 s3, exec_lo
	s_wait_xcnt 0x0
	s_delay_alu instid0(VALU_DEP_1) | instskip(NEXT) | instid1(VALU_DEP_1)
	v_and_b32_e32 v3, 0x7fffffff, v5
	v_cmpx_gt_u32_e32 0x43800000, v3
	s_cbranch_execz .LBB47_3040
; %bb.3035:
	v_and_b32_e32 v2, 0xffff, v4
	v_cmp_lt_u32_e32 vcc_lo, 0x3bffffff, v3
	s_mov_b32 s4, 0
                                        ; implicit-def: $vgpr3
	s_and_saveexec_b32 s5, vcc_lo
	s_delay_alu instid0(SALU_CYCLE_1)
	s_xor_b32 s5, exec_lo, s5
	s_cbranch_execz .LBB47_3102
; %bb.3036:
	v_bfe_u32 v3, v2, 4, 1
	s_mov_b32 s4, exec_lo
	s_delay_alu instid0(VALU_DEP_1) | instskip(NEXT) | instid1(VALU_DEP_1)
	v_add3_u32 v3, v5, v3, 0x487ffff
                                        ; implicit-def: $vgpr5
	v_lshrrev_b32_e32 v3, 20, v3
	s_and_not1_saveexec_b32 s5, s5
	s_cbranch_execnz .LBB47_3103
.LBB47_3037:
	s_or_b32 exec_lo, exec_lo, s5
	v_mov_b32_e32 v6, 0
	s_and_saveexec_b32 s5, s4
.LBB47_3038:
	v_lshrrev_b32_e32 v2, 8, v2
	s_delay_alu instid0(VALU_DEP_1)
	v_and_or_b32 v6, 0x80, v2, v3
.LBB47_3039:
	s_or_b32 exec_lo, exec_lo, s5
.LBB47_3040:
	s_delay_alu instid0(SALU_CYCLE_1)
	s_or_b32 exec_lo, exec_lo, s3
	global_store_b8 v[0:1], v6, off
.LBB47_3041:
	s_mov_b32 s3, 0
.LBB47_3042:
	s_delay_alu instid0(SALU_CYCLE_1)
	s_and_b32 vcc_lo, exec_lo, s3
	s_cbranch_vccz .LBB47_3082
; %bb.3043:
	s_cmp_gt_i32 s1, 22
	s_mov_b32 s2, -1
	s_cbranch_scc0 .LBB47_3075
; %bb.3044:
	s_cmp_lt_i32 s1, 24
	s_cbranch_scc1 .LBB47_3064
; %bb.3045:
	s_cmp_gt_i32 s1, 24
	s_cbranch_scc0 .LBB47_3053
; %bb.3046:
	s_wait_xcnt 0x0
	v_dual_mov_b32 v6, 0x80 :: v_dual_lshlrev_b32 v5, 16, v4
	s_mov_b32 s2, exec_lo
	s_delay_alu instid0(VALU_DEP_1) | instskip(NEXT) | instid1(VALU_DEP_1)
	v_and_b32_e32 v3, 0x7fffffff, v5
	v_cmpx_gt_u32_e32 0x47800000, v3
	s_cbranch_execz .LBB47_3052
; %bb.3047:
	v_and_b32_e32 v2, 0xffff, v4
	v_cmp_lt_u32_e32 vcc_lo, 0x37ffffff, v3
	s_mov_b32 s3, 0
                                        ; implicit-def: $vgpr3
	s_and_saveexec_b32 s4, vcc_lo
	s_delay_alu instid0(SALU_CYCLE_1)
	s_xor_b32 s4, exec_lo, s4
	s_cbranch_execz .LBB47_3105
; %bb.3048:
	v_bfe_u32 v3, v2, 5, 1
	s_mov_b32 s3, exec_lo
	s_delay_alu instid0(VALU_DEP_1) | instskip(NEXT) | instid1(VALU_DEP_1)
	v_add3_u32 v3, v5, v3, 0x88fffff
                                        ; implicit-def: $vgpr5
	v_lshrrev_b32_e32 v3, 21, v3
	s_and_not1_saveexec_b32 s4, s4
	s_cbranch_execnz .LBB47_3106
.LBB47_3049:
	s_or_b32 exec_lo, exec_lo, s4
	v_mov_b32_e32 v6, 0
	s_and_saveexec_b32 s4, s3
.LBB47_3050:
	v_lshrrev_b32_e32 v2, 8, v2
	s_delay_alu instid0(VALU_DEP_1)
	v_and_or_b32 v6, 0x80, v2, v3
.LBB47_3051:
	s_or_b32 exec_lo, exec_lo, s4
.LBB47_3052:
	s_delay_alu instid0(SALU_CYCLE_1)
	s_or_b32 exec_lo, exec_lo, s2
	s_mov_b32 s2, 0
	global_store_b8 v[0:1], v6, off
.LBB47_3053:
	s_and_b32 vcc_lo, exec_lo, s2
	s_cbranch_vccz .LBB47_3063
; %bb.3054:
	v_lshlrev_b32_e32 v5, 16, v4
	s_wait_xcnt 0x0
	v_and_b32_e32 v2, 0xffff, v4
	s_mov_b32 s2, exec_lo
                                        ; implicit-def: $vgpr3
	s_delay_alu instid0(VALU_DEP_2) | instskip(NEXT) | instid1(VALU_DEP_1)
	v_and_b32_e32 v6, 0x7fffffff, v5
	v_cmpx_gt_u32_e32 0x43f00000, v6
	s_xor_b32 s2, exec_lo, s2
	s_cbranch_execz .LBB47_3060
; %bb.3055:
	s_mov_b32 s3, exec_lo
                                        ; implicit-def: $vgpr3
	v_cmpx_lt_u32_e32 0x3c7fffff, v6
	s_xor_b32 s3, exec_lo, s3
; %bb.3056:
	v_bfe_u32 v3, v2, 4, 1
	s_delay_alu instid0(VALU_DEP_1) | instskip(NEXT) | instid1(VALU_DEP_1)
	v_add3_u32 v3, v5, v3, 0x407ffff
	v_and_b32_e32 v5, 0xff00000, v3
	v_lshrrev_b32_e32 v3, 20, v3
	s_delay_alu instid0(VALU_DEP_2) | instskip(NEXT) | instid1(VALU_DEP_2)
	v_cmp_ne_u32_e32 vcc_lo, 0x7f00000, v5
                                        ; implicit-def: $vgpr5
	v_cndmask_b32_e32 v3, 0x7e, v3, vcc_lo
; %bb.3057:
	s_and_not1_saveexec_b32 s3, s3
; %bb.3058:
	v_add_f32_e64 v3, 0x46800000, |v5|
; %bb.3059:
	s_or_b32 exec_lo, exec_lo, s3
                                        ; implicit-def: $vgpr6
.LBB47_3060:
	s_and_not1_saveexec_b32 s2, s2
; %bb.3061:
	v_mov_b32_e32 v3, 0x7f
	v_cmp_lt_u32_e32 vcc_lo, 0x7f800000, v6
	s_delay_alu instid0(VALU_DEP_2)
	v_cndmask_b32_e32 v3, 0x7e, v3, vcc_lo
; %bb.3062:
	s_or_b32 exec_lo, exec_lo, s2
	v_lshrrev_b32_e32 v2, 8, v2
	s_delay_alu instid0(VALU_DEP_1)
	v_and_or_b32 v2, 0x80, v2, v3
	global_store_b8 v[0:1], v2, off
.LBB47_3063:
	s_mov_b32 s2, 0
.LBB47_3064:
	s_delay_alu instid0(SALU_CYCLE_1)
	s_and_not1_b32 vcc_lo, exec_lo, s2
	s_cbranch_vccnz .LBB47_3074
; %bb.3065:
	v_lshlrev_b32_e32 v5, 16, v4
	s_wait_xcnt 0x0
	v_and_b32_e32 v2, 0xffff, v4
	s_mov_b32 s2, exec_lo
                                        ; implicit-def: $vgpr3
	s_delay_alu instid0(VALU_DEP_2) | instskip(NEXT) | instid1(VALU_DEP_1)
	v_and_b32_e32 v6, 0x7fffffff, v5
	v_cmpx_gt_u32_e32 0x47800000, v6
	s_xor_b32 s2, exec_lo, s2
	s_cbranch_execz .LBB47_3071
; %bb.3066:
	s_mov_b32 s3, exec_lo
                                        ; implicit-def: $vgpr3
	v_cmpx_lt_u32_e32 0x387fffff, v6
	s_xor_b32 s3, exec_lo, s3
; %bb.3067:
	v_bfe_u32 v3, v2, 5, 1
	s_delay_alu instid0(VALU_DEP_1) | instskip(NEXT) | instid1(VALU_DEP_1)
	v_add3_u32 v3, v5, v3, 0x80fffff
                                        ; implicit-def: $vgpr5
	v_lshrrev_b32_e32 v3, 21, v3
; %bb.3068:
	s_and_not1_saveexec_b32 s3, s3
; %bb.3069:
	v_add_f32_e64 v3, 0x43000000, |v5|
; %bb.3070:
	s_or_b32 exec_lo, exec_lo, s3
                                        ; implicit-def: $vgpr6
.LBB47_3071:
	s_and_not1_saveexec_b32 s2, s2
; %bb.3072:
	v_mov_b32_e32 v3, 0x7f
	v_cmp_lt_u32_e32 vcc_lo, 0x7f800000, v6
	s_delay_alu instid0(VALU_DEP_2)
	v_cndmask_b32_e32 v3, 0x7c, v3, vcc_lo
; %bb.3073:
	s_or_b32 exec_lo, exec_lo, s2
	v_lshrrev_b32_e32 v2, 8, v2
	s_delay_alu instid0(VALU_DEP_1)
	v_and_or_b32 v2, 0x80, v2, v3
	global_store_b8 v[0:1], v2, off
.LBB47_3074:
	s_mov_b32 s2, 0
.LBB47_3075:
	s_delay_alu instid0(SALU_CYCLE_1)
	s_and_not1_b32 vcc_lo, exec_lo, s2
	s_mov_b32 s2, 0
	s_cbranch_vccnz .LBB47_3082
; %bb.3076:
	s_cmp_gt_i32 s1, 14
	s_mov_b32 s2, -1
	s_cbranch_scc0 .LBB47_3080
; %bb.3077:
	s_cmp_eq_u32 s1, 15
	s_mov_b32 s0, -1
	s_cbranch_scc0 .LBB47_3079
; %bb.3078:
	s_mov_b32 s0, 0
	global_store_b16 v[0:1], v4, off
.LBB47_3079:
	s_mov_b32 s2, 0
.LBB47_3080:
	s_delay_alu instid0(SALU_CYCLE_1)
	s_and_b32 vcc_lo, exec_lo, s2
	s_mov_b32 s2, 0
	s_cbranch_vccz .LBB47_3082
; %bb.3081:
	s_cmp_lg_u32 s1, 11
	s_mov_b32 s2, -1
	s_cselect_b32 s0, -1, 0
.LBB47_3082:
	s_delay_alu instid0(SALU_CYCLE_1)
	s_and_b32 vcc_lo, exec_lo, s0
	s_cbranch_vccnz .LBB47_3104
.LBB47_3083:
	s_mov_b32 s0, 0
	s_branch .LBB47_2685
.LBB47_3084:
	s_mov_b32 s0, 0
	s_mov_b32 s2, 0
                                        ; implicit-def: $sgpr16
                                        ; implicit-def: $vgpr0_vgpr1
	s_branch .LBB47_2685
.LBB47_3085:
	s_mov_b32 s2, 0
	s_mov_b32 s0, -1
	s_branch .LBB47_2685
.LBB47_3086:
	s_or_b32 s12, s12, exec_lo
	s_trap 2
	s_cbranch_execz .LBB47_2552
	s_branch .LBB47_2553
.LBB47_3087:
	s_and_not1_saveexec_b32 s7, s7
	s_cbranch_execz .LBB47_2634
.LBB47_3088:
	v_add_f32_e64 v5, 0x46000000, |v6|
	s_and_not1_b32 s6, s6, exec_lo
	s_delay_alu instid0(VALU_DEP_1) | instskip(NEXT) | instid1(VALU_DEP_1)
	v_and_b32_e32 v5, 0xff, v5
	v_cmp_ne_u32_e32 vcc_lo, 0, v5
	s_and_b32 s9, vcc_lo, exec_lo
	s_delay_alu instid0(SALU_CYCLE_1)
	s_or_b32 s6, s6, s9
	s_or_b32 exec_lo, exec_lo, s7
	v_mov_b32_e32 v10, 0
	s_and_saveexec_b32 s7, s6
	s_cbranch_execnz .LBB47_2635
	s_branch .LBB47_2636
.LBB47_3089:
	s_or_b32 s12, s12, exec_lo
	s_trap 2
	s_cbranch_execz .LBB47_2682
	s_branch .LBB47_2683
.LBB47_3090:
	s_and_not1_saveexec_b32 s6, s6
	s_cbranch_execz .LBB47_2647
.LBB47_3091:
	v_add_f32_e64 v5, 0x42800000, |v6|
	s_and_not1_b32 s3, s3, exec_lo
	s_delay_alu instid0(VALU_DEP_1) | instskip(NEXT) | instid1(VALU_DEP_1)
	v_and_b32_e32 v5, 0xff, v5
	v_cmp_ne_u32_e32 vcc_lo, 0, v5
	s_and_b32 s7, vcc_lo, exec_lo
	s_delay_alu instid0(SALU_CYCLE_1)
	s_or_b32 s3, s3, s7
	s_or_b32 exec_lo, exec_lo, s6
	v_mov_b32_e32 v10, 0
	s_and_saveexec_b32 s6, s3
	s_cbranch_execnz .LBB47_2648
	s_branch .LBB47_2649
.LBB47_3092:
	s_and_not1_saveexec_b32 s8, s8
	s_cbranch_execz .LBB47_2798
.LBB47_3093:
	v_add_f32_e64 v5, 0x46000000, |v6|
	s_and_not1_b32 s7, s7, exec_lo
	s_delay_alu instid0(VALU_DEP_1) | instskip(NEXT) | instid1(VALU_DEP_1)
	v_and_b32_e32 v5, 0xff, v5
	v_cmp_ne_u32_e32 vcc_lo, 0, v5
	s_and_b32 s9, vcc_lo, exec_lo
	s_delay_alu instid0(SALU_CYCLE_1)
	s_or_b32 s7, s7, s9
	s_or_b32 exec_lo, exec_lo, s8
	v_mov_b32_e32 v7, 0
	s_and_saveexec_b32 s8, s7
	s_cbranch_execnz .LBB47_2799
	s_branch .LBB47_2800
.LBB47_3094:
	s_or_b32 s12, s12, exec_lo
	s_trap 2
	s_cbranch_execz .LBB47_2846
	s_branch .LBB47_2847
.LBB47_3095:
	s_and_not1_saveexec_b32 s7, s7
	s_cbranch_execz .LBB47_2811
.LBB47_3096:
	v_add_f32_e64 v5, 0x42800000, |v6|
	s_and_not1_b32 s6, s6, exec_lo
	s_delay_alu instid0(VALU_DEP_1) | instskip(NEXT) | instid1(VALU_DEP_1)
	v_and_b32_e32 v5, 0xff, v5
	v_cmp_ne_u32_e32 vcc_lo, 0, v5
	s_and_b32 s8, vcc_lo, exec_lo
	s_delay_alu instid0(SALU_CYCLE_1)
	s_or_b32 s6, s6, s8
	s_or_b32 exec_lo, exec_lo, s7
	v_mov_b32_e32 v7, 0
	s_and_saveexec_b32 s7, s6
	s_cbranch_execnz .LBB47_2812
	s_branch .LBB47_2813
.LBB47_3097:
	s_and_not1_saveexec_b32 s8, s8
	s_cbranch_execz .LBB47_2917
.LBB47_3098:
	v_add_f32_e64 v5, 0x46000000, |v6|
	s_and_not1_b32 s7, s7, exec_lo
	s_delay_alu instid0(VALU_DEP_1) | instskip(NEXT) | instid1(VALU_DEP_1)
	v_and_b32_e32 v5, 0xff, v5
	v_cmp_ne_u32_e32 vcc_lo, 0, v5
	s_and_b32 s9, vcc_lo, exec_lo
	s_delay_alu instid0(SALU_CYCLE_1)
	s_or_b32 s7, s7, s9
	s_or_b32 exec_lo, exec_lo, s8
	v_mov_b32_e32 v7, 0
	s_and_saveexec_b32 s8, s7
	s_cbranch_execnz .LBB47_2918
	s_branch .LBB47_2919
.LBB47_3099:
	s_or_b32 s12, s12, exec_lo
	s_trap 2
	s_cbranch_execz .LBB47_2965
	s_branch .LBB47_2966
.LBB47_3100:
	s_and_not1_saveexec_b32 s7, s7
	s_cbranch_execz .LBB47_2930
.LBB47_3101:
	v_add_f32_e64 v5, 0x42800000, |v6|
	s_and_not1_b32 s6, s6, exec_lo
	s_delay_alu instid0(VALU_DEP_1) | instskip(NEXT) | instid1(VALU_DEP_1)
	v_and_b32_e32 v5, 0xff, v5
	v_cmp_ne_u32_e32 vcc_lo, 0, v5
	s_and_b32 s8, vcc_lo, exec_lo
	s_delay_alu instid0(SALU_CYCLE_1)
	s_or_b32 s6, s6, s8
	s_or_b32 exec_lo, exec_lo, s7
	v_mov_b32_e32 v7, 0
	s_and_saveexec_b32 s7, s6
	s_cbranch_execnz .LBB47_2931
	s_branch .LBB47_2932
.LBB47_3102:
	s_and_not1_saveexec_b32 s5, s5
	s_cbranch_execz .LBB47_3037
.LBB47_3103:
	v_add_f32_e64 v3, 0x46000000, |v5|
	s_and_not1_b32 s4, s4, exec_lo
	s_delay_alu instid0(VALU_DEP_1) | instskip(NEXT) | instid1(VALU_DEP_1)
	v_and_b32_e32 v3, 0xff, v3
	v_cmp_ne_u32_e32 vcc_lo, 0, v3
	s_and_b32 s6, vcc_lo, exec_lo
	s_delay_alu instid0(SALU_CYCLE_1)
	s_or_b32 s4, s4, s6
	s_or_b32 exec_lo, exec_lo, s5
	v_mov_b32_e32 v6, 0
	s_and_saveexec_b32 s5, s4
	s_cbranch_execnz .LBB47_3038
	s_branch .LBB47_3039
.LBB47_3104:
	s_mov_b32 s2, 0
	s_or_b32 s12, s12, exec_lo
	s_trap 2
	s_branch .LBB47_3083
.LBB47_3105:
	s_and_not1_saveexec_b32 s4, s4
	s_cbranch_execz .LBB47_3049
.LBB47_3106:
	v_add_f32_e64 v3, 0x42800000, |v5|
	s_and_not1_b32 s3, s3, exec_lo
	s_delay_alu instid0(VALU_DEP_1) | instskip(NEXT) | instid1(VALU_DEP_1)
	v_and_b32_e32 v3, 0xff, v3
	v_cmp_ne_u32_e32 vcc_lo, 0, v3
	s_and_b32 s5, vcc_lo, exec_lo
	s_delay_alu instid0(SALU_CYCLE_1)
	s_or_b32 s3, s3, s5
	s_or_b32 exec_lo, exec_lo, s4
	v_mov_b32_e32 v6, 0
	s_and_saveexec_b32 s4, s3
	s_cbranch_execnz .LBB47_3050
	s_branch .LBB47_3051
	.section	.rodata,"a",@progbits
	.p2align	6, 0x0
	.amdhsa_kernel _ZN2at6native32elementwise_kernel_manual_unrollILi128ELi4EZNS0_15gpu_kernel_implIZZZNS0_12prelu_kernelERNS_14TensorIteratorEENKUlvE_clEvENKUlvE1_clEvEUlN3c108BFloat16ES8_E_EEvRNS_18TensorIteratorBaseERKT_EUlibE_EEviT1_
		.amdhsa_group_segment_fixed_size 0
		.amdhsa_private_segment_fixed_size 0
		.amdhsa_kernarg_size 48
		.amdhsa_user_sgpr_count 2
		.amdhsa_user_sgpr_dispatch_ptr 0
		.amdhsa_user_sgpr_queue_ptr 0
		.amdhsa_user_sgpr_kernarg_segment_ptr 1
		.amdhsa_user_sgpr_dispatch_id 0
		.amdhsa_user_sgpr_kernarg_preload_length 0
		.amdhsa_user_sgpr_kernarg_preload_offset 0
		.amdhsa_user_sgpr_private_segment_size 0
		.amdhsa_wavefront_size32 1
		.amdhsa_uses_dynamic_stack 0
		.amdhsa_enable_private_segment 0
		.amdhsa_system_sgpr_workgroup_id_x 1
		.amdhsa_system_sgpr_workgroup_id_y 0
		.amdhsa_system_sgpr_workgroup_id_z 0
		.amdhsa_system_sgpr_workgroup_info 0
		.amdhsa_system_vgpr_workitem_id 0
		.amdhsa_next_free_vgpr 14
		.amdhsa_next_free_sgpr 35
		.amdhsa_named_barrier_count 0
		.amdhsa_reserve_vcc 1
		.amdhsa_float_round_mode_32 0
		.amdhsa_float_round_mode_16_64 0
		.amdhsa_float_denorm_mode_32 3
		.amdhsa_float_denorm_mode_16_64 3
		.amdhsa_fp16_overflow 0
		.amdhsa_memory_ordered 1
		.amdhsa_forward_progress 1
		.amdhsa_inst_pref_size 255
		.amdhsa_round_robin_scheduling 0
		.amdhsa_exception_fp_ieee_invalid_op 0
		.amdhsa_exception_fp_denorm_src 0
		.amdhsa_exception_fp_ieee_div_zero 0
		.amdhsa_exception_fp_ieee_overflow 0
		.amdhsa_exception_fp_ieee_underflow 0
		.amdhsa_exception_fp_ieee_inexact 0
		.amdhsa_exception_int_div_zero 0
	.end_amdhsa_kernel
	.section	.text._ZN2at6native32elementwise_kernel_manual_unrollILi128ELi4EZNS0_15gpu_kernel_implIZZZNS0_12prelu_kernelERNS_14TensorIteratorEENKUlvE_clEvENKUlvE1_clEvEUlN3c108BFloat16ES8_E_EEvRNS_18TensorIteratorBaseERKT_EUlibE_EEviT1_,"axG",@progbits,_ZN2at6native32elementwise_kernel_manual_unrollILi128ELi4EZNS0_15gpu_kernel_implIZZZNS0_12prelu_kernelERNS_14TensorIteratorEENKUlvE_clEvENKUlvE1_clEvEUlN3c108BFloat16ES8_E_EEvRNS_18TensorIteratorBaseERKT_EUlibE_EEviT1_,comdat
.Lfunc_end47:
	.size	_ZN2at6native32elementwise_kernel_manual_unrollILi128ELi4EZNS0_15gpu_kernel_implIZZZNS0_12prelu_kernelERNS_14TensorIteratorEENKUlvE_clEvENKUlvE1_clEvEUlN3c108BFloat16ES8_E_EEvRNS_18TensorIteratorBaseERKT_EUlibE_EEviT1_, .Lfunc_end47-_ZN2at6native32elementwise_kernel_manual_unrollILi128ELi4EZNS0_15gpu_kernel_implIZZZNS0_12prelu_kernelERNS_14TensorIteratorEENKUlvE_clEvENKUlvE1_clEvEUlN3c108BFloat16ES8_E_EEvRNS_18TensorIteratorBaseERKT_EUlibE_EEviT1_
                                        ; -- End function
	.set _ZN2at6native32elementwise_kernel_manual_unrollILi128ELi4EZNS0_15gpu_kernel_implIZZZNS0_12prelu_kernelERNS_14TensorIteratorEENKUlvE_clEvENKUlvE1_clEvEUlN3c108BFloat16ES8_E_EEvRNS_18TensorIteratorBaseERKT_EUlibE_EEviT1_.num_vgpr, 14
	.set _ZN2at6native32elementwise_kernel_manual_unrollILi128ELi4EZNS0_15gpu_kernel_implIZZZNS0_12prelu_kernelERNS_14TensorIteratorEENKUlvE_clEvENKUlvE1_clEvEUlN3c108BFloat16ES8_E_EEvRNS_18TensorIteratorBaseERKT_EUlibE_EEviT1_.num_agpr, 0
	.set _ZN2at6native32elementwise_kernel_manual_unrollILi128ELi4EZNS0_15gpu_kernel_implIZZZNS0_12prelu_kernelERNS_14TensorIteratorEENKUlvE_clEvENKUlvE1_clEvEUlN3c108BFloat16ES8_E_EEvRNS_18TensorIteratorBaseERKT_EUlibE_EEviT1_.numbered_sgpr, 35
	.set _ZN2at6native32elementwise_kernel_manual_unrollILi128ELi4EZNS0_15gpu_kernel_implIZZZNS0_12prelu_kernelERNS_14TensorIteratorEENKUlvE_clEvENKUlvE1_clEvEUlN3c108BFloat16ES8_E_EEvRNS_18TensorIteratorBaseERKT_EUlibE_EEviT1_.num_named_barrier, 0
	.set _ZN2at6native32elementwise_kernel_manual_unrollILi128ELi4EZNS0_15gpu_kernel_implIZZZNS0_12prelu_kernelERNS_14TensorIteratorEENKUlvE_clEvENKUlvE1_clEvEUlN3c108BFloat16ES8_E_EEvRNS_18TensorIteratorBaseERKT_EUlibE_EEviT1_.private_seg_size, 0
	.set _ZN2at6native32elementwise_kernel_manual_unrollILi128ELi4EZNS0_15gpu_kernel_implIZZZNS0_12prelu_kernelERNS_14TensorIteratorEENKUlvE_clEvENKUlvE1_clEvEUlN3c108BFloat16ES8_E_EEvRNS_18TensorIteratorBaseERKT_EUlibE_EEviT1_.uses_vcc, 1
	.set _ZN2at6native32elementwise_kernel_manual_unrollILi128ELi4EZNS0_15gpu_kernel_implIZZZNS0_12prelu_kernelERNS_14TensorIteratorEENKUlvE_clEvENKUlvE1_clEvEUlN3c108BFloat16ES8_E_EEvRNS_18TensorIteratorBaseERKT_EUlibE_EEviT1_.uses_flat_scratch, 0
	.set _ZN2at6native32elementwise_kernel_manual_unrollILi128ELi4EZNS0_15gpu_kernel_implIZZZNS0_12prelu_kernelERNS_14TensorIteratorEENKUlvE_clEvENKUlvE1_clEvEUlN3c108BFloat16ES8_E_EEvRNS_18TensorIteratorBaseERKT_EUlibE_EEviT1_.has_dyn_sized_stack, 0
	.set _ZN2at6native32elementwise_kernel_manual_unrollILi128ELi4EZNS0_15gpu_kernel_implIZZZNS0_12prelu_kernelERNS_14TensorIteratorEENKUlvE_clEvENKUlvE1_clEvEUlN3c108BFloat16ES8_E_EEvRNS_18TensorIteratorBaseERKT_EUlibE_EEviT1_.has_recursion, 0
	.set _ZN2at6native32elementwise_kernel_manual_unrollILi128ELi4EZNS0_15gpu_kernel_implIZZZNS0_12prelu_kernelERNS_14TensorIteratorEENKUlvE_clEvENKUlvE1_clEvEUlN3c108BFloat16ES8_E_EEvRNS_18TensorIteratorBaseERKT_EUlibE_EEviT1_.has_indirect_call, 0
	.section	.AMDGPU.csdata,"",@progbits
; Kernel info:
; codeLenInByte = 69312
; TotalNumSgprs: 37
; NumVgprs: 14
; ScratchSize: 0
; MemoryBound: 0
; FloatMode: 240
; IeeeMode: 1
; LDSByteSize: 0 bytes/workgroup (compile time only)
; SGPRBlocks: 0
; VGPRBlocks: 0
; NumSGPRsForWavesPerEU: 37
; NumVGPRsForWavesPerEU: 14
; NamedBarCnt: 0
; Occupancy: 16
; WaveLimiterHint : 0
; COMPUTE_PGM_RSRC2:SCRATCH_EN: 0
; COMPUTE_PGM_RSRC2:USER_SGPR: 2
; COMPUTE_PGM_RSRC2:TRAP_HANDLER: 0
; COMPUTE_PGM_RSRC2:TGID_X_EN: 1
; COMPUTE_PGM_RSRC2:TGID_Y_EN: 0
; COMPUTE_PGM_RSRC2:TGID_Z_EN: 0
; COMPUTE_PGM_RSRC2:TIDIG_COMP_CNT: 0
	.section	.text._ZN2at6native32elementwise_kernel_manual_unrollILi128ELi4EZNS0_15gpu_kernel_implIZZZNS0_12prelu_kernelERNS_14TensorIteratorEENKUlvE_clEvENKUlvE1_clEvEUlN3c108BFloat16ES8_E_EEvRNS_18TensorIteratorBaseERKT_EUlibE0_EEviT1_,"axG",@progbits,_ZN2at6native32elementwise_kernel_manual_unrollILi128ELi4EZNS0_15gpu_kernel_implIZZZNS0_12prelu_kernelERNS_14TensorIteratorEENKUlvE_clEvENKUlvE1_clEvEUlN3c108BFloat16ES8_E_EEvRNS_18TensorIteratorBaseERKT_EUlibE0_EEviT1_,comdat
	.globl	_ZN2at6native32elementwise_kernel_manual_unrollILi128ELi4EZNS0_15gpu_kernel_implIZZZNS0_12prelu_kernelERNS_14TensorIteratorEENKUlvE_clEvENKUlvE1_clEvEUlN3c108BFloat16ES8_E_EEvRNS_18TensorIteratorBaseERKT_EUlibE0_EEviT1_ ; -- Begin function _ZN2at6native32elementwise_kernel_manual_unrollILi128ELi4EZNS0_15gpu_kernel_implIZZZNS0_12prelu_kernelERNS_14TensorIteratorEENKUlvE_clEvENKUlvE1_clEvEUlN3c108BFloat16ES8_E_EEvRNS_18TensorIteratorBaseERKT_EUlibE0_EEviT1_
	.p2align	8
	.type	_ZN2at6native32elementwise_kernel_manual_unrollILi128ELi4EZNS0_15gpu_kernel_implIZZZNS0_12prelu_kernelERNS_14TensorIteratorEENKUlvE_clEvENKUlvE1_clEvEUlN3c108BFloat16ES8_E_EEvRNS_18TensorIteratorBaseERKT_EUlibE0_EEviT1_,@function
_ZN2at6native32elementwise_kernel_manual_unrollILi128ELi4EZNS0_15gpu_kernel_implIZZZNS0_12prelu_kernelERNS_14TensorIteratorEENKUlvE_clEvENKUlvE1_clEvEUlN3c108BFloat16ES8_E_EEvRNS_18TensorIteratorBaseERKT_EUlibE0_EEviT1_: ; @_ZN2at6native32elementwise_kernel_manual_unrollILi128ELi4EZNS0_15gpu_kernel_implIZZZNS0_12prelu_kernelERNS_14TensorIteratorEENKUlvE_clEvENKUlvE1_clEvEUlN3c108BFloat16ES8_E_EEvRNS_18TensorIteratorBaseERKT_EUlibE0_EEviT1_
; %bb.0:
	s_clause 0x1
	s_load_b32 s26, s[0:1], 0x8
	s_load_b32 s36, s[0:1], 0x0
	s_bfe_u32 s2, ttmp6, 0x4000c
	s_and_b32 s3, ttmp6, 15
	s_add_co_i32 s2, s2, 1
	s_getreg_b32 s4, hwreg(HW_REG_IB_STS2, 6, 4)
	s_mul_i32 s2, ttmp9, s2
	s_mov_b32 s28, 0
	s_add_co_i32 s3, s3, s2
	s_cmp_eq_u32 s4, 0
	s_mov_b32 s25, -1
	s_cselect_b32 s2, ttmp9, s3
	s_mov_b32 s8, 0
	v_lshl_or_b32 v0, s2, 9, v0
	s_add_nc_u64 s[2:3], s[0:1], 8
	s_wait_xcnt 0x0
	s_mov_b32 s0, exec_lo
	s_delay_alu instid0(VALU_DEP_1) | instskip(SKIP_2) | instid1(SALU_CYCLE_1)
	v_or_b32_e32 v1, 0x180, v0
	s_wait_kmcnt 0x0
	s_add_co_i32 s27, s26, -1
	s_cmp_gt_u32 s27, 1
	s_cselect_b32 s29, -1, 0
	v_cmpx_le_i32_e64 s36, v1
	s_xor_b32 s30, exec_lo, s0
	s_cbranch_execz .LBB48_1601
; %bb.1:
	v_mov_b32_e32 v1, 0
	s_cmp_lg_u32 s26, 0
	s_mov_b32 s19, 0
	s_cselect_b32 s37, -1, 0
	s_min_u32 s35, s27, 15
	s_clause 0x1
	global_load_u16 v2, v1, s[2:3] offset:417
	global_load_i8 v3, v1, s[2:3] offset:419
	s_clause 0x5
	s_load_b128 s[8:11], s[2:3], 0x4
	s_load_b64 s[0:1], s[2:3], 0x14
	s_load_b128 s[12:15], s[2:3], 0xc4
	s_load_b64 s[20:21], s[2:3], 0xd4
	s_load_b64 s[16:17], s[2:3], 0x198
	s_load_b128 s[4:7], s[2:3], 0x188
	s_cmp_gt_u32 s26, 1
	s_mov_b32 s23, s19
	s_mov_b32 s40, s19
	;; [unrolled: 1-line block ×3, first 2 shown]
	s_cselect_b32 s34, -1, 0
	s_mov_b32 s38, s19
	s_mov_b32 s41, exec_lo
	s_wait_kmcnt 0x0
	s_mov_b32 s18, s9
	s_mov_b32 s22, s0
	s_wait_loadcnt 0x1
	v_readfirstlane_b32 s31, v2
	s_wait_loadcnt 0x0
	v_readfirstlane_b32 s9, v3
	s_lshr_b32 s33, s31, 8
	v_cmpx_gt_i32_e64 s36, v0
	s_cbranch_execz .LBB48_395
; %bb.2:
	s_and_not1_b32 vcc_lo, exec_lo, s29
	s_cbranch_vccnz .LBB48_8
; %bb.3:
	s_and_not1_b32 vcc_lo, exec_lo, s37
	s_cbranch_vccnz .LBB48_9
; %bb.4:
	v_dual_mov_b32 v2, 0 :: v_dual_mov_b32 v1, v0
	v_dual_mov_b32 v6, 0 :: v_dual_mov_b32 v4, 0
	s_add_co_i32 s0, s35, 1
	s_mov_b64 s[24:25], 0xffffffffffffffe8
	s_and_b32 s0, s0, 30
	s_add_nc_u64 s[24:25], s[2:3], s[24:25]
.LBB48_5:                               ; =>This Inner Loop Header: Depth=1
	s_clause 0x3
	s_load_b128 s[44:47], s[24:25], 0x1c
	s_load_b64 s[38:39], s[24:25], 0x2c
	s_load_b128 s[48:51], s[24:25], 0xdc
	s_load_b64 s[42:43], s[24:25], 0xec
	s_add_co_i32 s0, s0, -2
	s_wait_xcnt 0x0
	s_add_nc_u64 s[24:25], s[24:25], 24
	s_cmp_lg_u32 s0, 0
	s_wait_kmcnt 0x0
	v_mul_hi_u32 v3, s45, v1
	s_delay_alu instid0(VALU_DEP_1) | instskip(NEXT) | instid1(VALU_DEP_1)
	v_add_nc_u32_e32 v3, v1, v3
	v_lshrrev_b32_e32 v3, s46, v3
	s_delay_alu instid0(VALU_DEP_1) | instskip(SKIP_1) | instid1(VALU_DEP_1)
	v_mul_hi_u32 v5, s38, v3
	v_mul_lo_u32 v7, v3, s44
	v_dual_add_nc_u32 v5, v3, v5 :: v_dual_sub_nc_u32 v7, v1, v7
	s_delay_alu instid0(VALU_DEP_1) | instskip(NEXT) | instid1(VALU_DEP_2)
	v_lshrrev_b32_e32 v1, s39, v5
	v_mad_u32 v2, v7, s48, v2
	v_mad_u32 v4, v7, s50, v4
	;; [unrolled: 1-line block ×3, first 2 shown]
	s_delay_alu instid0(VALU_DEP_4) | instskip(NEXT) | instid1(VALU_DEP_1)
	v_mul_lo_u32 v5, v1, s47
	v_sub_nc_u32_e32 v3, v3, v5
	s_delay_alu instid0(VALU_DEP_1)
	v_mad_u32 v2, v3, s51, v2
	v_mad_u32 v4, v3, s43, v4
	;; [unrolled: 1-line block ×3, first 2 shown]
	s_cbranch_scc1 .LBB48_5
; %bb.6:
	s_bitcmp1_b32 s35, 0
	s_cselect_b32 s0, -1, 0
	s_delay_alu instid0(SALU_CYCLE_1)
	s_and_b32 vcc_lo, exec_lo, s0
	s_cbranch_vccnz .LBB48_10
; %bb.7:
	s_clause 0x1
	s_load_b96 s[44:46], s[24:25], 0x1c
	s_load_b96 s[48:50], s[24:25], 0xdc
	s_wait_kmcnt 0x0
	v_mul_hi_u32 v3, s45, v1
	s_delay_alu instid0(VALU_DEP_1) | instskip(NEXT) | instid1(VALU_DEP_1)
	v_add_nc_u32_e32 v3, v1, v3
	v_lshrrev_b32_e32 v3, s46, v3
	s_delay_alu instid0(VALU_DEP_1) | instskip(NEXT) | instid1(VALU_DEP_1)
	v_mul_lo_u32 v3, v3, s44
	v_sub_nc_u32_e32 v1, v1, v3
	s_delay_alu instid0(VALU_DEP_1)
	v_mad_u32 v2, v1, s48, v2
	v_mad_u32 v6, v1, s49, v6
	;; [unrolled: 1-line block ×3, first 2 shown]
	s_cbranch_execz .LBB48_11
	s_branch .LBB48_13
.LBB48_8:
                                        ; implicit-def: $vgpr4
                                        ; implicit-def: $vgpr6
                                        ; implicit-def: $vgpr2
	s_branch .LBB48_11
.LBB48_9:
	v_dual_mov_b32 v4, 0 :: v_dual_mov_b32 v6, 0
	v_mov_b32_e32 v2, 0
.LBB48_10:
	s_cbranch_execnz .LBB48_13
.LBB48_11:
	v_mov_b32_e32 v1, 0
	s_and_not1_b32 vcc_lo, exec_lo, s34
	s_delay_alu instid0(VALU_DEP_1) | instskip(NEXT) | instid1(VALU_DEP_1)
	v_mul_u64_e32 v[2:3], s[18:19], v[0:1]
	v_add_nc_u32_e32 v2, v0, v3
	s_delay_alu instid0(VALU_DEP_1) | instskip(NEXT) | instid1(VALU_DEP_1)
	v_lshrrev_b32_e32 v8, s10, v2
	v_mul_lo_u32 v2, v8, s8
	s_delay_alu instid0(VALU_DEP_1) | instskip(NEXT) | instid1(VALU_DEP_1)
	v_sub_nc_u32_e32 v3, v0, v2
	v_mul_lo_u32 v2, v3, s12
	v_mul_lo_u32 v4, v3, s14
	;; [unrolled: 1-line block ×3, first 2 shown]
	s_cbranch_vccnz .LBB48_13
; %bb.12:
	v_mov_b32_e32 v9, v1
	s_delay_alu instid0(VALU_DEP_1) | instskip(NEXT) | instid1(VALU_DEP_1)
	v_mul_u64_e32 v[10:11], s[22:23], v[8:9]
	v_add_nc_u32_e32 v1, v8, v11
	s_delay_alu instid0(VALU_DEP_1) | instskip(NEXT) | instid1(VALU_DEP_1)
	v_lshrrev_b32_e32 v1, s1, v1
	v_mul_lo_u32 v1, v1, s11
	s_delay_alu instid0(VALU_DEP_1) | instskip(NEXT) | instid1(VALU_DEP_1)
	v_sub_nc_u32_e32 v1, v8, v1
	v_mad_u32 v2, v1, s15, v2
	v_mad_u32 v6, v1, s20, v6
	;; [unrolled: 1-line block ×3, first 2 shown]
.LBB48_13:
	v_mov_b32_e32 v7, 0
	s_and_b32 s0, s33, 0xff
	s_delay_alu instid0(SALU_CYCLE_1) | instskip(NEXT) | instid1(VALU_DEP_1)
	s_cmp_lt_i32 s0, 11
	v_add_nc_u64_e32 v[6:7], s[6:7], v[6:7]
	s_cbranch_scc1 .LBB48_20
; %bb.14:
	s_and_b32 s25, 0xffff, s0
	s_delay_alu instid0(SALU_CYCLE_1)
	s_cmp_gt_i32 s25, 25
	s_cbranch_scc0 .LBB48_29
; %bb.15:
	s_cmp_gt_i32 s25, 28
	s_cbranch_scc0 .LBB48_41
; %bb.16:
	;; [unrolled: 3-line block ×4, first 2 shown]
	s_cmp_eq_u32 s25, 46
	s_mov_b32 s39, 0
	s_cbranch_scc0 .LBB48_50
; %bb.19:
	global_load_b32 v1, v[6:7], off
	s_mov_b32 s38, -1
	s_mov_b32 s24, 0
	s_branch .LBB48_52
.LBB48_20:
	s_mov_b32 s24, 0
	s_mov_b32 s38, 0
                                        ; implicit-def: $vgpr1
	s_cbranch_execnz .LBB48_118
.LBB48_21:
	s_and_not1_b32 vcc_lo, exec_lo, s38
	s_cbranch_vccnz .LBB48_165
.LBB48_22:
	v_mov_b32_e32 v5, 0
	s_and_b32 s0, s9, 0xff
	s_delay_alu instid0(SALU_CYCLE_1) | instskip(NEXT) | instid1(VALU_DEP_1)
	s_cmp_lt_i32 s0, 11
	v_add_nc_u64_e32 v[4:5], s[16:17], v[4:5]
	s_cbranch_scc1 .LBB48_30
; %bb.23:
	s_and_b32 s38, 0xffff, s0
	s_delay_alu instid0(SALU_CYCLE_1)
	s_cmp_gt_i32 s38, 25
	s_cbranch_scc0 .LBB48_42
; %bb.24:
	s_cmp_gt_i32 s38, 28
	s_cbranch_scc0 .LBB48_45
; %bb.25:
	;; [unrolled: 3-line block ×4, first 2 shown]
	s_cmp_eq_u32 s38, 46
	s_mov_b32 s40, 0
	s_cbranch_scc0 .LBB48_166
; %bb.28:
	global_load_b32 v3, v[4:5], off
	s_mov_b32 s39, -1
	s_mov_b32 s25, 0
	s_branch .LBB48_168
.LBB48_29:
	s_mov_b32 s24, 0
	s_mov_b32 s38, 0
                                        ; implicit-def: $vgpr1
	s_cbranch_execnz .LBB48_83
	s_branch .LBB48_117
.LBB48_30:
	s_mov_b32 s25, 0
	s_mov_b32 s39, 0
                                        ; implicit-def: $vgpr3
	s_cbranch_execnz .LBB48_344
.LBB48_31:
	s_and_not1_b32 vcc_lo, exec_lo, s39
	s_cbranch_vccnz .LBB48_392
.LBB48_32:
	s_wait_loadcnt 0x0
	v_lshlrev_b32_e32 v4, 16, v1
	s_mov_b32 s0, exec_lo
	s_delay_alu instid0(VALU_DEP_1)
	v_cmpx_nlt_f32_e32 0, v4
	s_cbranch_execz .LBB48_34
; %bb.33:
	v_lshlrev_b32_e32 v1, 16, v3
	s_delay_alu instid0(VALU_DEP_1) | instskip(NEXT) | instid1(VALU_DEP_1)
	v_mul_f32_e32 v1, v4, v1
	v_bfe_u32 v3, v1, 16, 1
	v_cmp_o_f32_e32 vcc_lo, v1, v1
	s_delay_alu instid0(VALU_DEP_2) | instskip(NEXT) | instid1(VALU_DEP_1)
	v_add3_u32 v3, v1, v3, 0x7fff
	v_lshrrev_b32_e32 v3, 16, v3
	s_delay_alu instid0(VALU_DEP_1)
	v_cndmask_b32_e32 v1, 0x7fc0, v3, vcc_lo
.LBB48_34:
	s_or_b32 exec_lo, exec_lo, s0
	v_mov_b32_e32 v3, 0
	s_and_b32 s38, s31, 0xff
	s_delay_alu instid0(SALU_CYCLE_1) | instskip(NEXT) | instid1(VALU_DEP_1)
	s_cmp_lt_i32 s38, 11
	v_add_nc_u64_e32 v[2:3], s[4:5], v[2:3]
	s_cbranch_scc1 .LBB48_43
; %bb.35:
	s_and_b32 s39, 0xffff, s38
	s_delay_alu instid0(SALU_CYCLE_1)
	s_cmp_gt_i32 s39, 25
	s_cbranch_scc0 .LBB48_46
; %bb.36:
	s_cmp_gt_i32 s39, 28
	s_cbranch_scc0 .LBB48_49
; %bb.37:
	;; [unrolled: 3-line block ×4, first 2 shown]
	s_mov_b32 s42, 0
	s_mov_b32 s0, -1
	s_cmp_eq_u32 s39, 46
	s_mov_b32 s40, 0
	s_cbranch_scc0 .LBB48_172
; %bb.40:
	v_and_b32_e32 v4, 0xffff, v1
	s_mov_b32 s40, -1
	s_mov_b32 s0, 0
	global_store_b32 v[2:3], v4, off
	s_branch .LBB48_172
.LBB48_41:
	s_mov_b32 s39, -1
	s_mov_b32 s24, 0
	s_mov_b32 s38, 0
                                        ; implicit-def: $vgpr1
	s_branch .LBB48_64
.LBB48_42:
	s_mov_b32 s40, -1
	s_mov_b32 s25, 0
	s_mov_b32 s39, 0
                                        ; implicit-def: $vgpr3
	s_branch .LBB48_308
.LBB48_43:
	s_mov_b32 s39, -1
	s_mov_b32 s0, 0
	s_mov_b32 s40, 0
	s_branch .LBB48_241
.LBB48_44:
	s_mov_b32 s39, -1
	s_mov_b32 s24, 0
	s_mov_b32 s38, 0
                                        ; implicit-def: $vgpr1
	s_branch .LBB48_59
.LBB48_45:
	s_mov_b32 s40, -1
	s_mov_b32 s25, 0
	s_mov_b32 s39, 0
                                        ; implicit-def: $vgpr3
	s_branch .LBB48_289
.LBB48_46:
	s_mov_b32 s42, -1
	s_mov_b32 s0, 0
	s_mov_b32 s40, 0
	s_branch .LBB48_199
.LBB48_47:
	s_mov_b32 s39, -1
	s_mov_b32 s24, 0
	s_branch .LBB48_51
.LBB48_48:
	s_mov_b32 s40, -1
	s_mov_b32 s25, 0
	s_mov_b32 s39, 0
                                        ; implicit-def: $vgpr3
	s_branch .LBB48_284
.LBB48_49:
	s_mov_b32 s42, -1
	s_mov_b32 s0, 0
	s_mov_b32 s40, 0
	s_branch .LBB48_182
.LBB48_50:
	s_mov_b32 s24, -1
.LBB48_51:
	s_mov_b32 s38, 0
                                        ; implicit-def: $vgpr1
.LBB48_52:
	s_and_b32 vcc_lo, exec_lo, s39
	s_cbranch_vccz .LBB48_58
; %bb.53:
	s_cmp_eq_u32 s25, 44
	s_cbranch_scc0 .LBB48_57
; %bb.54:
	s_wait_loadcnt 0x0
	global_load_u8 v1, v[6:7], off
	s_mov_b32 s24, 0
	s_mov_b32 s38, -1
	s_wait_loadcnt 0x0
	v_lshlrev_b32_e32 v3, 23, v1
	v_cmp_ne_u32_e32 vcc_lo, 0xff, v1
	s_delay_alu instid0(VALU_DEP_2) | instskip(SKIP_1) | instid1(VALU_DEP_2)
	v_cndmask_b32_e32 v3, 0x7f800001, v3, vcc_lo
	v_cmp_ne_u32_e32 vcc_lo, 0, v1
	v_cndmask_b32_e32 v1, 0x400000, v3, vcc_lo
	s_delay_alu instid0(VALU_DEP_1) | instskip(SKIP_1) | instid1(VALU_DEP_2)
	v_add_nc_u32_e32 v3, 0x7fff, v1
	v_cmp_o_f32_e32 vcc_lo, v1, v1
	v_lshrrev_b32_e32 v3, 16, v3
	s_delay_alu instid0(VALU_DEP_1)
	v_cndmask_b32_e32 v1, 0x7fc0, v3, vcc_lo
	s_branch .LBB48_58
.LBB48_55:
	s_mov_b32 s40, -1
	s_mov_b32 s25, 0
	s_branch .LBB48_167
.LBB48_56:
	s_mov_b32 s42, -1
	s_mov_b32 s0, 0
	s_mov_b32 s40, 0
	s_branch .LBB48_178
.LBB48_57:
	s_mov_b32 s24, -1
                                        ; implicit-def: $vgpr1
.LBB48_58:
	s_mov_b32 s39, 0
.LBB48_59:
	s_delay_alu instid0(SALU_CYCLE_1)
	s_and_b32 vcc_lo, exec_lo, s39
	s_cbranch_vccz .LBB48_63
; %bb.60:
	s_cmp_eq_u32 s25, 29
	s_cbranch_scc0 .LBB48_62
; %bb.61:
	global_load_b64 v[8:9], v[6:7], off
	s_mov_b32 s38, -1
	s_mov_b32 s24, 0
	s_mov_b32 s39, 0
	s_wait_loadcnt 0x0
	v_clz_i32_u32_e32 v1, v9
	s_delay_alu instid0(VALU_DEP_1) | instskip(NEXT) | instid1(VALU_DEP_1)
	v_min_u32_e32 v1, 32, v1
	v_lshlrev_b64_e32 v[8:9], v1, v[8:9]
	v_sub_nc_u32_e32 v1, 32, v1
	s_delay_alu instid0(VALU_DEP_2) | instskip(NEXT) | instid1(VALU_DEP_1)
	v_min_u32_e32 v3, 1, v8
	v_or_b32_e32 v3, v9, v3
	s_delay_alu instid0(VALU_DEP_1) | instskip(NEXT) | instid1(VALU_DEP_1)
	v_cvt_f32_u32_e32 v3, v3
	v_ldexp_f32 v1, v3, v1
	s_delay_alu instid0(VALU_DEP_1) | instskip(NEXT) | instid1(VALU_DEP_1)
	v_bfe_u32 v3, v1, 16, 1
	v_add3_u32 v1, v1, v3, 0x7fff
	s_delay_alu instid0(VALU_DEP_1)
	v_lshrrev_b32_e32 v1, 16, v1
	s_branch .LBB48_64
.LBB48_62:
	s_mov_b32 s24, -1
                                        ; implicit-def: $vgpr1
.LBB48_63:
	s_mov_b32 s39, 0
.LBB48_64:
	s_delay_alu instid0(SALU_CYCLE_1)
	s_and_b32 vcc_lo, exec_lo, s39
	s_cbranch_vccz .LBB48_82
; %bb.65:
	s_cmp_lt_i32 s25, 27
	s_cbranch_scc1 .LBB48_68
; %bb.66:
	s_cmp_gt_i32 s25, 27
	s_cbranch_scc0 .LBB48_69
; %bb.67:
	s_wait_loadcnt 0x0
	global_load_b32 v1, v[6:7], off
	s_mov_b32 s38, 0
	s_wait_loadcnt 0x0
	v_cvt_f32_u32_e32 v1, v1
	s_delay_alu instid0(VALU_DEP_1) | instskip(NEXT) | instid1(VALU_DEP_1)
	v_bfe_u32 v3, v1, 16, 1
	v_add3_u32 v1, v1, v3, 0x7fff
	s_delay_alu instid0(VALU_DEP_1)
	v_lshrrev_b32_e32 v1, 16, v1
	s_branch .LBB48_70
.LBB48_68:
	s_mov_b32 s38, -1
                                        ; implicit-def: $vgpr1
	s_branch .LBB48_73
.LBB48_69:
	s_mov_b32 s38, -1
                                        ; implicit-def: $vgpr1
.LBB48_70:
	s_delay_alu instid0(SALU_CYCLE_1)
	s_and_not1_b32 vcc_lo, exec_lo, s38
	s_cbranch_vccnz .LBB48_72
; %bb.71:
	s_wait_loadcnt 0x0
	global_load_u16 v1, v[6:7], off
	s_wait_loadcnt 0x0
	v_cvt_f32_u32_e32 v1, v1
	s_delay_alu instid0(VALU_DEP_1) | instskip(NEXT) | instid1(VALU_DEP_1)
	v_bfe_u32 v3, v1, 16, 1
	v_add3_u32 v1, v1, v3, 0x7fff
	s_delay_alu instid0(VALU_DEP_1)
	v_lshrrev_b32_e32 v1, 16, v1
.LBB48_72:
	s_mov_b32 s38, 0
.LBB48_73:
	s_delay_alu instid0(SALU_CYCLE_1)
	s_and_not1_b32 vcc_lo, exec_lo, s38
	s_cbranch_vccnz .LBB48_81
; %bb.74:
	s_wait_loadcnt 0x0
	global_load_u8 v1, v[6:7], off
	s_mov_b32 s38, 0
	s_mov_b32 s39, exec_lo
	s_wait_loadcnt 0x0
	v_cmpx_lt_i16_e32 0x7f, v1
	s_xor_b32 s39, exec_lo, s39
	s_cbranch_execz .LBB48_94
; %bb.75:
	s_mov_b32 s38, -1
	s_mov_b32 s40, exec_lo
	v_cmpx_eq_u16_e32 0x80, v1
; %bb.76:
	s_xor_b32 s38, exec_lo, -1
; %bb.77:
	s_or_b32 exec_lo, exec_lo, s40
	s_delay_alu instid0(SALU_CYCLE_1)
	s_and_b32 s38, s38, exec_lo
	s_or_saveexec_b32 s39, s39
	v_mov_b32_e32 v3, 0x7f800001
	s_xor_b32 exec_lo, exec_lo, s39
	s_cbranch_execnz .LBB48_95
.LBB48_78:
	s_or_b32 exec_lo, exec_lo, s39
	s_and_saveexec_b32 s39, s38
	s_cbranch_execz .LBB48_80
.LBB48_79:
	v_and_b32_e32 v3, 0xffff, v1
	s_delay_alu instid0(VALU_DEP_1) | instskip(SKIP_1) | instid1(VALU_DEP_2)
	v_and_b32_e32 v5, 7, v3
	v_bfe_u32 v10, v3, 3, 4
	v_clz_i32_u32_e32 v8, v5
	s_delay_alu instid0(VALU_DEP_2) | instskip(NEXT) | instid1(VALU_DEP_2)
	v_cmp_eq_u32_e32 vcc_lo, 0, v10
	v_min_u32_e32 v8, 32, v8
	s_delay_alu instid0(VALU_DEP_1) | instskip(NEXT) | instid1(VALU_DEP_1)
	v_subrev_nc_u32_e32 v9, 28, v8
	v_dual_lshlrev_b32 v3, v9, v3 :: v_dual_sub_nc_u32 v8, 29, v8
	s_delay_alu instid0(VALU_DEP_1) | instskip(NEXT) | instid1(VALU_DEP_1)
	v_dual_lshlrev_b32 v1, 24, v1 :: v_dual_bitop2_b32 v3, 7, v3 bitop3:0x40
	v_dual_cndmask_b32 v8, v10, v8 :: v_dual_cndmask_b32 v3, v5, v3
	s_delay_alu instid0(VALU_DEP_2) | instskip(NEXT) | instid1(VALU_DEP_2)
	v_and_b32_e32 v1, 0x80000000, v1
	v_lshl_add_u32 v5, v8, 23, 0x3b800000
	s_delay_alu instid0(VALU_DEP_3) | instskip(NEXT) | instid1(VALU_DEP_1)
	v_lshlrev_b32_e32 v3, 20, v3
	v_or3_b32 v3, v1, v5, v3
.LBB48_80:
	s_or_b32 exec_lo, exec_lo, s39
	s_delay_alu instid0(VALU_DEP_1) | instskip(SKIP_1) | instid1(VALU_DEP_2)
	v_bfe_u32 v1, v3, 16, 1
	v_cmp_o_f32_e32 vcc_lo, v3, v3
	v_add3_u32 v1, v3, v1, 0x7fff
	s_delay_alu instid0(VALU_DEP_1) | instskip(NEXT) | instid1(VALU_DEP_1)
	v_lshrrev_b32_e32 v1, 16, v1
	v_cndmask_b32_e32 v1, 0x7fc0, v1, vcc_lo
.LBB48_81:
	s_mov_b32 s38, -1
.LBB48_82:
	s_branch .LBB48_117
.LBB48_83:
	s_cmp_gt_i32 s25, 22
	s_cbranch_scc0 .LBB48_93
; %bb.84:
	s_cmp_lt_i32 s25, 24
	s_cbranch_scc1 .LBB48_96
; %bb.85:
	s_cmp_gt_i32 s25, 24
	s_cbranch_scc0 .LBB48_97
; %bb.86:
	s_wait_loadcnt 0x0
	global_load_u8 v1, v[6:7], off
	s_mov_b32 s38, 0
	s_mov_b32 s39, exec_lo
	s_wait_loadcnt 0x0
	v_cmpx_lt_i16_e32 0x7f, v1
	s_xor_b32 s39, exec_lo, s39
	s_cbranch_execz .LBB48_109
; %bb.87:
	s_mov_b32 s38, -1
	s_mov_b32 s40, exec_lo
	v_cmpx_eq_u16_e32 0x80, v1
; %bb.88:
	s_xor_b32 s38, exec_lo, -1
; %bb.89:
	s_or_b32 exec_lo, exec_lo, s40
	s_delay_alu instid0(SALU_CYCLE_1)
	s_and_b32 s38, s38, exec_lo
	s_or_saveexec_b32 s39, s39
	v_mov_b32_e32 v3, 0x7f800001
	s_xor_b32 exec_lo, exec_lo, s39
	s_cbranch_execnz .LBB48_110
.LBB48_90:
	s_or_b32 exec_lo, exec_lo, s39
	s_and_saveexec_b32 s39, s38
	s_cbranch_execz .LBB48_92
.LBB48_91:
	v_and_b32_e32 v3, 0xffff, v1
	s_delay_alu instid0(VALU_DEP_1) | instskip(SKIP_1) | instid1(VALU_DEP_2)
	v_and_b32_e32 v5, 3, v3
	v_bfe_u32 v10, v3, 2, 5
	v_clz_i32_u32_e32 v8, v5
	s_delay_alu instid0(VALU_DEP_2) | instskip(NEXT) | instid1(VALU_DEP_2)
	v_cmp_eq_u32_e32 vcc_lo, 0, v10
	v_min_u32_e32 v8, 32, v8
	s_delay_alu instid0(VALU_DEP_1) | instskip(NEXT) | instid1(VALU_DEP_1)
	v_subrev_nc_u32_e32 v9, 29, v8
	v_dual_lshlrev_b32 v3, v9, v3 :: v_dual_sub_nc_u32 v8, 30, v8
	s_delay_alu instid0(VALU_DEP_1) | instskip(NEXT) | instid1(VALU_DEP_1)
	v_dual_lshlrev_b32 v1, 24, v1 :: v_dual_bitop2_b32 v3, 3, v3 bitop3:0x40
	v_dual_cndmask_b32 v8, v10, v8 :: v_dual_cndmask_b32 v3, v5, v3
	s_delay_alu instid0(VALU_DEP_2) | instskip(NEXT) | instid1(VALU_DEP_2)
	v_and_b32_e32 v1, 0x80000000, v1
	v_lshl_add_u32 v5, v8, 23, 0x37800000
	s_delay_alu instid0(VALU_DEP_3) | instskip(NEXT) | instid1(VALU_DEP_1)
	v_lshlrev_b32_e32 v3, 21, v3
	v_or3_b32 v3, v1, v5, v3
.LBB48_92:
	s_or_b32 exec_lo, exec_lo, s39
	s_delay_alu instid0(VALU_DEP_1) | instskip(SKIP_2) | instid1(VALU_DEP_2)
	v_bfe_u32 v1, v3, 16, 1
	v_cmp_o_f32_e32 vcc_lo, v3, v3
	s_mov_b32 s38, 0
	v_add3_u32 v1, v3, v1, 0x7fff
	s_delay_alu instid0(VALU_DEP_1) | instskip(NEXT) | instid1(VALU_DEP_1)
	v_lshrrev_b32_e32 v1, 16, v1
	v_cndmask_b32_e32 v1, 0x7fc0, v1, vcc_lo
	s_branch .LBB48_98
.LBB48_93:
	s_mov_b32 s39, -1
                                        ; implicit-def: $vgpr1
	s_branch .LBB48_104
.LBB48_94:
	s_or_saveexec_b32 s39, s39
	v_mov_b32_e32 v3, 0x7f800001
	s_xor_b32 exec_lo, exec_lo, s39
	s_cbranch_execz .LBB48_78
.LBB48_95:
	v_cmp_ne_u16_e32 vcc_lo, 0, v1
	v_mov_b32_e32 v3, 0
	s_and_not1_b32 s38, s38, exec_lo
	s_and_b32 s40, vcc_lo, exec_lo
	s_delay_alu instid0(SALU_CYCLE_1)
	s_or_b32 s38, s38, s40
	s_or_b32 exec_lo, exec_lo, s39
	s_and_saveexec_b32 s39, s38
	s_cbranch_execnz .LBB48_79
	s_branch .LBB48_80
.LBB48_96:
	s_mov_b32 s38, -1
                                        ; implicit-def: $vgpr1
	s_branch .LBB48_101
.LBB48_97:
	s_mov_b32 s38, -1
                                        ; implicit-def: $vgpr1
.LBB48_98:
	s_delay_alu instid0(SALU_CYCLE_1)
	s_and_b32 vcc_lo, exec_lo, s38
	s_cbranch_vccz .LBB48_100
; %bb.99:
	s_wait_loadcnt 0x0
	global_load_u8 v1, v[6:7], off
	s_wait_loadcnt 0x0
	v_lshlrev_b32_e32 v1, 24, v1
	s_delay_alu instid0(VALU_DEP_1) | instskip(NEXT) | instid1(VALU_DEP_1)
	v_and_b32_e32 v3, 0x7f000000, v1
	v_clz_i32_u32_e32 v5, v3
	v_add_nc_u32_e32 v9, 0x1000000, v3
	v_cmp_ne_u32_e32 vcc_lo, 0, v3
	s_delay_alu instid0(VALU_DEP_3) | instskip(NEXT) | instid1(VALU_DEP_1)
	v_min_u32_e32 v5, 32, v5
	v_sub_nc_u32_e64 v5, v5, 4 clamp
	s_delay_alu instid0(VALU_DEP_1) | instskip(NEXT) | instid1(VALU_DEP_1)
	v_dual_lshlrev_b32 v8, v5, v3 :: v_dual_lshlrev_b32 v5, 23, v5
	v_lshrrev_b32_e32 v8, 4, v8
	s_delay_alu instid0(VALU_DEP_1) | instskip(SKIP_1) | instid1(VALU_DEP_2)
	v_sub_nc_u32_e32 v5, v8, v5
	v_ashrrev_i32_e32 v8, 8, v9
	v_add_nc_u32_e32 v5, 0x3c000000, v5
	s_delay_alu instid0(VALU_DEP_1) | instskip(NEXT) | instid1(VALU_DEP_1)
	v_and_or_b32 v5, 0x7f800000, v8, v5
	v_cndmask_b32_e32 v3, 0, v5, vcc_lo
	s_delay_alu instid0(VALU_DEP_1) | instskip(SKIP_1) | instid1(VALU_DEP_2)
	v_and_or_b32 v1, 0x80000000, v1, v3
	v_bfe_u32 v3, v3, 16, 1
	v_cmp_o_f32_e32 vcc_lo, v1, v1
	s_delay_alu instid0(VALU_DEP_2) | instskip(NEXT) | instid1(VALU_DEP_1)
	v_add3_u32 v3, v1, v3, 0x7fff
	v_lshrrev_b32_e32 v3, 16, v3
	s_delay_alu instid0(VALU_DEP_1)
	v_cndmask_b32_e32 v1, 0x7fc0, v3, vcc_lo
.LBB48_100:
	s_mov_b32 s38, 0
.LBB48_101:
	s_delay_alu instid0(SALU_CYCLE_1)
	s_and_not1_b32 vcc_lo, exec_lo, s38
	s_cbranch_vccnz .LBB48_103
; %bb.102:
	s_wait_loadcnt 0x0
	global_load_u8 v1, v[6:7], off
	s_wait_loadcnt 0x0
	v_lshlrev_b32_e32 v3, 25, v1
	v_lshlrev_b16 v1, 8, v1
	s_delay_alu instid0(VALU_DEP_1) | instskip(SKIP_1) | instid1(VALU_DEP_2)
	v_and_or_b32 v8, 0x7f00, v1, 0.5
	v_bfe_i32 v1, v1, 0, 16
	v_dual_add_f32 v8, -0.5, v8 :: v_dual_lshrrev_b32 v5, 4, v3
	v_cmp_gt_u32_e32 vcc_lo, 0x8000000, v3
	s_delay_alu instid0(VALU_DEP_2) | instskip(NEXT) | instid1(VALU_DEP_1)
	v_or_b32_e32 v5, 0x70000000, v5
	v_mul_f32_e32 v5, 0x7800000, v5
	s_delay_alu instid0(VALU_DEP_1) | instskip(NEXT) | instid1(VALU_DEP_1)
	v_cndmask_b32_e32 v3, v5, v8, vcc_lo
	v_and_or_b32 v1, 0x80000000, v1, v3
	v_bfe_u32 v3, v3, 16, 1
	s_delay_alu instid0(VALU_DEP_2) | instskip(NEXT) | instid1(VALU_DEP_2)
	v_cmp_o_f32_e32 vcc_lo, v1, v1
	v_add3_u32 v3, v1, v3, 0x7fff
	s_delay_alu instid0(VALU_DEP_1) | instskip(NEXT) | instid1(VALU_DEP_1)
	v_lshrrev_b32_e32 v3, 16, v3
	v_cndmask_b32_e32 v1, 0x7fc0, v3, vcc_lo
.LBB48_103:
	s_mov_b32 s39, 0
	s_mov_b32 s38, -1
.LBB48_104:
	s_and_not1_b32 vcc_lo, exec_lo, s39
	s_cbranch_vccnz .LBB48_117
; %bb.105:
	s_cmp_gt_i32 s25, 14
	s_cbranch_scc0 .LBB48_108
; %bb.106:
	s_cmp_eq_u32 s25, 15
	s_cbranch_scc0 .LBB48_111
; %bb.107:
	s_wait_loadcnt 0x0
	global_load_u16 v1, v[6:7], off
	s_mov_b32 s38, -1
	s_mov_b32 s24, 0
	s_branch .LBB48_112
.LBB48_108:
	s_mov_b32 s39, -1
                                        ; implicit-def: $vgpr1
	s_branch .LBB48_113
.LBB48_109:
	s_or_saveexec_b32 s39, s39
	v_mov_b32_e32 v3, 0x7f800001
	s_xor_b32 exec_lo, exec_lo, s39
	s_cbranch_execz .LBB48_90
.LBB48_110:
	v_cmp_ne_u16_e32 vcc_lo, 0, v1
	v_mov_b32_e32 v3, 0
	s_and_not1_b32 s38, s38, exec_lo
	s_and_b32 s40, vcc_lo, exec_lo
	s_delay_alu instid0(SALU_CYCLE_1)
	s_or_b32 s38, s38, s40
	s_or_b32 exec_lo, exec_lo, s39
	s_and_saveexec_b32 s39, s38
	s_cbranch_execnz .LBB48_91
	s_branch .LBB48_92
.LBB48_111:
	s_mov_b32 s24, -1
                                        ; implicit-def: $vgpr1
.LBB48_112:
	s_mov_b32 s39, 0
.LBB48_113:
	s_delay_alu instid0(SALU_CYCLE_1)
	s_and_b32 vcc_lo, exec_lo, s39
	s_cbranch_vccz .LBB48_117
; %bb.114:
	s_cmp_eq_u32 s25, 11
	s_cbranch_scc0 .LBB48_116
; %bb.115:
	s_wait_loadcnt 0x0
	global_load_u8 v1, v[6:7], off
	s_mov_b32 s24, 0
	s_mov_b32 s38, -1
	s_wait_loadcnt 0x0
	v_cmp_ne_u16_e32 vcc_lo, 0, v1
	v_cndmask_b32_e64 v1, 0, 1.0, vcc_lo
	s_delay_alu instid0(VALU_DEP_1)
	v_lshrrev_b32_e32 v1, 16, v1
	s_branch .LBB48_117
.LBB48_116:
	s_mov_b32 s24, -1
                                        ; implicit-def: $vgpr1
.LBB48_117:
	s_branch .LBB48_21
.LBB48_118:
	s_and_b32 s0, 0xffff, s0
	s_delay_alu instid0(SALU_CYCLE_1)
	s_cmp_lt_i32 s0, 5
	s_cbranch_scc1 .LBB48_123
; %bb.119:
	s_cmp_lt_i32 s0, 8
	s_cbranch_scc1 .LBB48_124
; %bb.120:
	;; [unrolled: 3-line block ×3, first 2 shown]
	s_cmp_gt_i32 s0, 9
	s_cbranch_scc0 .LBB48_126
; %bb.122:
	global_load_b64 v[8:9], v[6:7], off
	s_mov_b32 s25, 0
	s_wait_loadcnt 0x0
	v_cvt_f32_f64_e32 v1, v[8:9]
	s_delay_alu instid0(VALU_DEP_1) | instskip(SKIP_1) | instid1(VALU_DEP_2)
	v_bfe_u32 v3, v1, 16, 1
	v_cmp_o_f32_e32 vcc_lo, v1, v1
	v_add3_u32 v3, v1, v3, 0x7fff
	s_delay_alu instid0(VALU_DEP_1) | instskip(NEXT) | instid1(VALU_DEP_1)
	v_lshrrev_b32_e32 v3, 16, v3
	v_cndmask_b32_e32 v1, 0x7fc0, v3, vcc_lo
	s_branch .LBB48_127
.LBB48_123:
                                        ; implicit-def: $vgpr1
	s_branch .LBB48_145
.LBB48_124:
	s_mov_b32 s25, -1
                                        ; implicit-def: $vgpr1
	s_branch .LBB48_133
.LBB48_125:
	s_mov_b32 s25, -1
                                        ; implicit-def: $vgpr1
	s_branch .LBB48_130
.LBB48_126:
	s_mov_b32 s25, -1
                                        ; implicit-def: $vgpr1
.LBB48_127:
	s_delay_alu instid0(SALU_CYCLE_1)
	s_and_not1_b32 vcc_lo, exec_lo, s25
	s_cbranch_vccnz .LBB48_129
; %bb.128:
	s_wait_loadcnt 0x0
	global_load_b32 v1, v[6:7], off
	s_wait_loadcnt 0x0
	v_bfe_u32 v3, v1, 16, 1
	v_cmp_o_f32_e32 vcc_lo, v1, v1
	s_delay_alu instid0(VALU_DEP_2) | instskip(NEXT) | instid1(VALU_DEP_1)
	v_add3_u32 v3, v1, v3, 0x7fff
	v_lshrrev_b32_e32 v3, 16, v3
	s_delay_alu instid0(VALU_DEP_1)
	v_cndmask_b32_e32 v1, 0x7fc0, v3, vcc_lo
.LBB48_129:
	s_mov_b32 s25, 0
.LBB48_130:
	s_delay_alu instid0(SALU_CYCLE_1)
	s_and_not1_b32 vcc_lo, exec_lo, s25
	s_cbranch_vccnz .LBB48_132
; %bb.131:
	s_wait_loadcnt 0x0
	global_load_b32 v1, v[6:7], off
	s_wait_loadcnt 0x0
	v_cvt_f32_f16_e32 v3, v1
	v_cmp_o_f16_e32 vcc_lo, v1, v1
	s_delay_alu instid0(VALU_DEP_2) | instskip(NEXT) | instid1(VALU_DEP_1)
	v_bfe_u32 v5, v3, 16, 1
	v_add3_u32 v3, v3, v5, 0x7fff
	s_delay_alu instid0(VALU_DEP_1) | instskip(NEXT) | instid1(VALU_DEP_1)
	v_lshrrev_b32_e32 v3, 16, v3
	v_cndmask_b32_e32 v1, 0x7fc0, v3, vcc_lo
.LBB48_132:
	s_mov_b32 s25, 0
.LBB48_133:
	s_delay_alu instid0(SALU_CYCLE_1)
	s_and_not1_b32 vcc_lo, exec_lo, s25
	s_cbranch_vccnz .LBB48_144
; %bb.134:
	s_cmp_lt_i32 s0, 6
	s_cbranch_scc1 .LBB48_137
; %bb.135:
	s_cmp_gt_i32 s0, 6
	s_cbranch_scc0 .LBB48_138
; %bb.136:
	global_load_b64 v[8:9], v[6:7], off
	s_mov_b32 s25, 0
	s_wait_loadcnt 0x0
	v_cvt_f32_f64_e32 v1, v[8:9]
	s_delay_alu instid0(VALU_DEP_1) | instskip(SKIP_1) | instid1(VALU_DEP_2)
	v_bfe_u32 v3, v1, 16, 1
	v_cmp_o_f32_e32 vcc_lo, v1, v1
	v_add3_u32 v3, v1, v3, 0x7fff
	s_delay_alu instid0(VALU_DEP_1) | instskip(NEXT) | instid1(VALU_DEP_1)
	v_lshrrev_b32_e32 v3, 16, v3
	v_cndmask_b32_e32 v1, 0x7fc0, v3, vcc_lo
	s_branch .LBB48_139
.LBB48_137:
	s_mov_b32 s25, -1
                                        ; implicit-def: $vgpr1
	s_branch .LBB48_142
.LBB48_138:
	s_mov_b32 s25, -1
                                        ; implicit-def: $vgpr1
.LBB48_139:
	s_delay_alu instid0(SALU_CYCLE_1)
	s_and_not1_b32 vcc_lo, exec_lo, s25
	s_cbranch_vccnz .LBB48_141
; %bb.140:
	s_wait_loadcnt 0x0
	global_load_b32 v1, v[6:7], off
	s_wait_loadcnt 0x0
	v_bfe_u32 v3, v1, 16, 1
	v_cmp_o_f32_e32 vcc_lo, v1, v1
	s_delay_alu instid0(VALU_DEP_2) | instskip(NEXT) | instid1(VALU_DEP_1)
	v_add3_u32 v3, v1, v3, 0x7fff
	v_lshrrev_b32_e32 v3, 16, v3
	s_delay_alu instid0(VALU_DEP_1)
	v_cndmask_b32_e32 v1, 0x7fc0, v3, vcc_lo
.LBB48_141:
	s_mov_b32 s25, 0
.LBB48_142:
	s_delay_alu instid0(SALU_CYCLE_1)
	s_and_not1_b32 vcc_lo, exec_lo, s25
	s_cbranch_vccnz .LBB48_144
; %bb.143:
	s_wait_loadcnt 0x0
	global_load_u16 v1, v[6:7], off
	s_wait_loadcnt 0x0
	v_cvt_f32_f16_e32 v3, v1
	v_cmp_o_f16_e32 vcc_lo, v1, v1
	s_delay_alu instid0(VALU_DEP_2) | instskip(NEXT) | instid1(VALU_DEP_1)
	v_bfe_u32 v5, v3, 16, 1
	v_add3_u32 v3, v3, v5, 0x7fff
	s_delay_alu instid0(VALU_DEP_1) | instskip(NEXT) | instid1(VALU_DEP_1)
	v_lshrrev_b32_e32 v3, 16, v3
	v_cndmask_b32_e32 v1, 0x7fc0, v3, vcc_lo
.LBB48_144:
	s_cbranch_execnz .LBB48_164
.LBB48_145:
	s_cmp_lt_i32 s0, 2
	s_cbranch_scc1 .LBB48_149
; %bb.146:
	s_cmp_lt_i32 s0, 3
	s_cbranch_scc1 .LBB48_150
; %bb.147:
	s_cmp_gt_i32 s0, 3
	s_cbranch_scc0 .LBB48_151
; %bb.148:
	global_load_b64 v[8:9], v[6:7], off
	s_mov_b32 s25, 0
	s_wait_loadcnt 0x0
	v_xor_b32_e32 v1, v8, v9
	v_cls_i32_e32 v3, v9
	s_delay_alu instid0(VALU_DEP_2) | instskip(NEXT) | instid1(VALU_DEP_1)
	v_ashrrev_i32_e32 v1, 31, v1
	v_add_nc_u32_e32 v1, 32, v1
	s_delay_alu instid0(VALU_DEP_1) | instskip(NEXT) | instid1(VALU_DEP_1)
	v_add_min_u32_e64 v1, v3, -1, v1
	v_lshlrev_b64_e32 v[8:9], v1, v[8:9]
	v_sub_nc_u32_e32 v1, 32, v1
	s_delay_alu instid0(VALU_DEP_2) | instskip(NEXT) | instid1(VALU_DEP_1)
	v_min_u32_e32 v3, 1, v8
	v_or_b32_e32 v3, v9, v3
	s_delay_alu instid0(VALU_DEP_1) | instskip(NEXT) | instid1(VALU_DEP_1)
	v_cvt_f32_i32_e32 v3, v3
	v_ldexp_f32 v1, v3, v1
	s_delay_alu instid0(VALU_DEP_1) | instskip(NEXT) | instid1(VALU_DEP_1)
	v_bfe_u32 v3, v1, 16, 1
	v_add3_u32 v1, v1, v3, 0x7fff
	s_delay_alu instid0(VALU_DEP_1)
	v_lshrrev_b32_e32 v1, 16, v1
	s_branch .LBB48_152
.LBB48_149:
	s_mov_b32 s25, -1
                                        ; implicit-def: $vgpr1
	s_branch .LBB48_158
.LBB48_150:
	s_mov_b32 s25, -1
                                        ; implicit-def: $vgpr1
	s_branch .LBB48_155
.LBB48_151:
	s_mov_b32 s25, -1
                                        ; implicit-def: $vgpr1
.LBB48_152:
	s_delay_alu instid0(SALU_CYCLE_1)
	s_and_not1_b32 vcc_lo, exec_lo, s25
	s_cbranch_vccnz .LBB48_154
; %bb.153:
	s_wait_loadcnt 0x0
	global_load_b32 v1, v[6:7], off
	s_wait_loadcnt 0x0
	v_cvt_f32_i32_e32 v1, v1
	s_delay_alu instid0(VALU_DEP_1) | instskip(NEXT) | instid1(VALU_DEP_1)
	v_bfe_u32 v3, v1, 16, 1
	v_add3_u32 v1, v1, v3, 0x7fff
	s_delay_alu instid0(VALU_DEP_1)
	v_lshrrev_b32_e32 v1, 16, v1
.LBB48_154:
	s_mov_b32 s25, 0
.LBB48_155:
	s_delay_alu instid0(SALU_CYCLE_1)
	s_and_not1_b32 vcc_lo, exec_lo, s25
	s_cbranch_vccnz .LBB48_157
; %bb.156:
	s_wait_loadcnt 0x0
	global_load_i16 v1, v[6:7], off
	s_wait_loadcnt 0x0
	v_cvt_f32_i32_e32 v1, v1
	s_delay_alu instid0(VALU_DEP_1) | instskip(NEXT) | instid1(VALU_DEP_1)
	v_bfe_u32 v3, v1, 16, 1
	v_add3_u32 v1, v1, v3, 0x7fff
	s_delay_alu instid0(VALU_DEP_1)
	v_lshrrev_b32_e32 v1, 16, v1
.LBB48_157:
	s_mov_b32 s25, 0
.LBB48_158:
	s_delay_alu instid0(SALU_CYCLE_1)
	s_and_not1_b32 vcc_lo, exec_lo, s25
	s_cbranch_vccnz .LBB48_164
; %bb.159:
	s_cmp_gt_i32 s0, 0
	s_mov_b32 s0, 0
	s_cbranch_scc0 .LBB48_161
; %bb.160:
	s_wait_loadcnt 0x0
	global_load_i8 v1, v[6:7], off
	s_wait_loadcnt 0x0
	v_cvt_f32_i32_e32 v1, v1
	s_delay_alu instid0(VALU_DEP_1) | instskip(NEXT) | instid1(VALU_DEP_1)
	v_bfe_u32 v3, v1, 16, 1
	v_add3_u32 v1, v1, v3, 0x7fff
	s_delay_alu instid0(VALU_DEP_1)
	v_lshrrev_b32_e32 v1, 16, v1
	s_branch .LBB48_162
.LBB48_161:
	s_mov_b32 s0, -1
                                        ; implicit-def: $vgpr1
.LBB48_162:
	s_delay_alu instid0(SALU_CYCLE_1)
	s_and_not1_b32 vcc_lo, exec_lo, s0
	s_cbranch_vccnz .LBB48_164
; %bb.163:
	s_wait_loadcnt 0x0
	global_load_u8 v1, v[6:7], off
	s_wait_loadcnt 0x0
	v_cvt_f32_ubyte0_e32 v1, v1
	s_delay_alu instid0(VALU_DEP_1) | instskip(NEXT) | instid1(VALU_DEP_1)
	v_bfe_u32 v3, v1, 16, 1
	v_add3_u32 v1, v1, v3, 0x7fff
	s_delay_alu instid0(VALU_DEP_1)
	v_lshrrev_b32_e32 v1, 16, v1
.LBB48_164:
	s_branch .LBB48_22
.LBB48_165:
	s_mov_b32 s0, 0
	s_mov_b32 s25, 0
	s_branch .LBB48_393
.LBB48_166:
	s_mov_b32 s25, -1
.LBB48_167:
	s_mov_b32 s39, 0
                                        ; implicit-def: $vgpr3
.LBB48_168:
	s_and_b32 vcc_lo, exec_lo, s40
	s_cbranch_vccz .LBB48_283
; %bb.169:
	s_cmp_eq_u32 s38, 44
	s_cbranch_scc0 .LBB48_282
; %bb.170:
	s_wait_loadcnt 0x0
	global_load_u8 v3, v[4:5], off
	s_mov_b32 s25, 0
	s_mov_b32 s39, -1
	s_wait_loadcnt 0x0
	v_lshlrev_b32_e32 v6, 23, v3
	v_cmp_ne_u32_e32 vcc_lo, 0xff, v3
	s_delay_alu instid0(VALU_DEP_2) | instskip(SKIP_1) | instid1(VALU_DEP_2)
	v_cndmask_b32_e32 v6, 0x7f800001, v6, vcc_lo
	v_cmp_ne_u32_e32 vcc_lo, 0, v3
	v_cndmask_b32_e32 v3, 0x400000, v6, vcc_lo
	s_delay_alu instid0(VALU_DEP_1) | instskip(NEXT) | instid1(VALU_DEP_1)
	v_add_nc_u32_e32 v6, 0x7fff, v3
	v_lshrrev_b32_e32 v6, 16, v6
	v_cmp_o_f32_e32 vcc_lo, v3, v3
	s_delay_alu instid0(VALU_DEP_2)
	v_cndmask_b32_e32 v3, 0x7fc0, v6, vcc_lo
	s_branch .LBB48_283
.LBB48_171:
	s_mov_b32 s42, -1
	s_mov_b32 s0, 0
	s_mov_b32 s40, 0
.LBB48_172:
	s_and_b32 vcc_lo, exec_lo, s42
	s_cbranch_vccz .LBB48_177
; %bb.173:
	s_cmp_eq_u32 s39, 44
	s_mov_b32 s0, -1
	s_cbranch_scc0 .LBB48_177
; %bb.174:
	s_wait_xcnt 0x0
	v_and_b32_e32 v4, 0xffff, v1
	v_mov_b32_e32 v5, 0xff
	s_mov_b32 s40, exec_lo
	s_delay_alu instid0(VALU_DEP_2) | instskip(NEXT) | instid1(VALU_DEP_1)
	v_bfe_u32 v6, v4, 7, 8
	v_cmpx_ne_u32_e32 0xff, v6
	s_cbranch_execz .LBB48_176
; %bb.175:
	v_dual_lshlrev_b32 v5, 16, v4 :: v_dual_bitop2_b32 v7, 64, v4 bitop3:0x40
	v_lshrrev_b32_e32 v4, 7, v4
	s_delay_alu instid0(VALU_DEP_2) | instskip(NEXT) | instid1(VALU_DEP_3)
	v_and_or_b32 v5, 0x3f0000, v5, v6
	v_cmp_ne_u32_e32 vcc_lo, 0, v7
	s_delay_alu instid0(VALU_DEP_2) | instskip(SKIP_1) | instid1(SALU_CYCLE_1)
	v_cmp_ne_u32_e64 s0, 0, v5
	s_and_b32 s0, vcc_lo, s0
	v_cndmask_b32_e64 v5, 0, 1, s0
	s_delay_alu instid0(VALU_DEP_1)
	v_add_nc_u32_e32 v5, v4, v5
.LBB48_176:
	s_or_b32 exec_lo, exec_lo, s40
	s_mov_b32 s40, -1
	s_mov_b32 s0, 0
	global_store_b8 v[2:3], v5, off
.LBB48_177:
	s_mov_b32 s42, 0
.LBB48_178:
	s_delay_alu instid0(SALU_CYCLE_1)
	s_and_b32 vcc_lo, exec_lo, s42
	s_cbranch_vccz .LBB48_181
; %bb.179:
	s_cmp_eq_u32 s39, 29
	s_mov_b32 s0, -1
	s_cbranch_scc0 .LBB48_181
; %bb.180:
	s_wait_xcnt 0x0
	v_lshlrev_b32_e32 v4, 16, v1
	s_mov_b32 s40, -1
	s_mov_b32 s0, 0
	s_mov_b32 s42, 0
	s_delay_alu instid0(VALU_DEP_1) | instskip(NEXT) | instid1(VALU_DEP_1)
	v_trunc_f32_e32 v4, v4
	v_mul_f32_e32 v5, 0x2f800000, v4
	s_delay_alu instid0(VALU_DEP_1) | instskip(NEXT) | instid1(VALU_DEP_1)
	v_floor_f32_e32 v5, v5
	v_fmamk_f32 v4, v5, 0xcf800000, v4
	v_cvt_u32_f32_e32 v5, v5
	s_delay_alu instid0(VALU_DEP_2)
	v_cvt_u32_f32_e32 v4, v4
	global_store_b64 v[2:3], v[4:5], off
	s_branch .LBB48_182
.LBB48_181:
	s_mov_b32 s42, 0
.LBB48_182:
	s_delay_alu instid0(SALU_CYCLE_1)
	s_and_b32 vcc_lo, exec_lo, s42
	s_cbranch_vccz .LBB48_198
; %bb.183:
	s_cmp_lt_i32 s39, 27
	s_mov_b32 s40, -1
	s_cbranch_scc1 .LBB48_189
; %bb.184:
	s_cmp_gt_i32 s39, 27
	s_cbranch_scc0 .LBB48_186
; %bb.185:
	s_wait_xcnt 0x0
	v_lshlrev_b32_e32 v4, 16, v1
	s_mov_b32 s40, 0
	s_delay_alu instid0(VALU_DEP_1)
	v_cvt_u32_f32_e32 v4, v4
	global_store_b32 v[2:3], v4, off
.LBB48_186:
	s_and_not1_b32 vcc_lo, exec_lo, s40
	s_cbranch_vccnz .LBB48_188
; %bb.187:
	s_wait_xcnt 0x0
	v_lshlrev_b32_e32 v4, 16, v1
	s_delay_alu instid0(VALU_DEP_1)
	v_cvt_u32_f32_e32 v4, v4
	global_store_b16 v[2:3], v4, off
.LBB48_188:
	s_mov_b32 s40, 0
.LBB48_189:
	s_delay_alu instid0(SALU_CYCLE_1)
	s_and_not1_b32 vcc_lo, exec_lo, s40
	s_cbranch_vccnz .LBB48_197
; %bb.190:
	v_dual_mov_b32 v7, 0x80 :: v_dual_lshlrev_b32 v6, 16, v1
	s_mov_b32 s40, exec_lo
	s_wait_xcnt 0x0
	s_delay_alu instid0(VALU_DEP_1) | instskip(NEXT) | instid1(VALU_DEP_1)
	v_and_b32_e32 v5, 0x7fffffff, v6
	v_cmpx_gt_u32_e32 0x43800000, v5
	s_cbranch_execz .LBB48_196
; %bb.191:
	v_and_b32_e32 v4, 0xffff, v1
	v_cmp_lt_u32_e32 vcc_lo, 0x3bffffff, v5
	s_mov_b32 s42, 0
                                        ; implicit-def: $vgpr5
	s_and_saveexec_b32 s43, vcc_lo
	s_delay_alu instid0(SALU_CYCLE_1)
	s_xor_b32 s43, exec_lo, s43
	s_cbranch_execz .LBB48_435
; %bb.192:
	v_bfe_u32 v5, v4, 4, 1
	s_mov_b32 s42, exec_lo
	s_delay_alu instid0(VALU_DEP_1) | instskip(NEXT) | instid1(VALU_DEP_1)
	v_add3_u32 v5, v6, v5, 0x487ffff
                                        ; implicit-def: $vgpr6
	v_lshrrev_b32_e32 v5, 20, v5
	s_and_not1_saveexec_b32 s43, s43
	s_cbranch_execnz .LBB48_436
.LBB48_193:
	s_or_b32 exec_lo, exec_lo, s43
	v_mov_b32_e32 v7, 0
	s_and_saveexec_b32 s43, s42
.LBB48_194:
	v_lshrrev_b32_e32 v4, 8, v4
	s_delay_alu instid0(VALU_DEP_1)
	v_and_or_b32 v7, 0x80, v4, v5
.LBB48_195:
	s_or_b32 exec_lo, exec_lo, s43
.LBB48_196:
	s_delay_alu instid0(SALU_CYCLE_1)
	s_or_b32 exec_lo, exec_lo, s40
	global_store_b8 v[2:3], v7, off
.LBB48_197:
	s_mov_b32 s40, -1
.LBB48_198:
	s_mov_b32 s42, 0
.LBB48_199:
	s_delay_alu instid0(SALU_CYCLE_1)
	s_and_b32 vcc_lo, exec_lo, s42
	s_cbranch_vccz .LBB48_240
; %bb.200:
	s_cmp_gt_i32 s39, 22
	s_mov_b32 s42, -1
	s_cbranch_scc0 .LBB48_232
; %bb.201:
	s_cmp_lt_i32 s39, 24
	s_mov_b32 s40, -1
	s_cbranch_scc1 .LBB48_221
; %bb.202:
	s_cmp_gt_i32 s39, 24
	s_cbranch_scc0 .LBB48_210
; %bb.203:
	s_wait_xcnt 0x0
	v_dual_mov_b32 v7, 0x80 :: v_dual_lshlrev_b32 v6, 16, v1
	s_mov_b32 s40, exec_lo
	s_delay_alu instid0(VALU_DEP_1) | instskip(NEXT) | instid1(VALU_DEP_1)
	v_and_b32_e32 v5, 0x7fffffff, v6
	v_cmpx_gt_u32_e32 0x47800000, v5
	s_cbranch_execz .LBB48_209
; %bb.204:
	v_and_b32_e32 v4, 0xffff, v1
	v_cmp_lt_u32_e32 vcc_lo, 0x37ffffff, v5
	s_mov_b32 s42, 0
                                        ; implicit-def: $vgpr5
	s_and_saveexec_b32 s43, vcc_lo
	s_delay_alu instid0(SALU_CYCLE_1)
	s_xor_b32 s43, exec_lo, s43
	s_cbranch_execz .LBB48_554
; %bb.205:
	v_bfe_u32 v5, v4, 5, 1
	s_mov_b32 s42, exec_lo
	s_delay_alu instid0(VALU_DEP_1) | instskip(NEXT) | instid1(VALU_DEP_1)
	v_add3_u32 v5, v6, v5, 0x88fffff
                                        ; implicit-def: $vgpr6
	v_lshrrev_b32_e32 v5, 21, v5
	s_and_not1_saveexec_b32 s43, s43
	s_cbranch_execnz .LBB48_555
.LBB48_206:
	s_or_b32 exec_lo, exec_lo, s43
	v_mov_b32_e32 v7, 0
	s_and_saveexec_b32 s43, s42
.LBB48_207:
	v_lshrrev_b32_e32 v4, 8, v4
	s_delay_alu instid0(VALU_DEP_1)
	v_and_or_b32 v7, 0x80, v4, v5
.LBB48_208:
	s_or_b32 exec_lo, exec_lo, s43
.LBB48_209:
	s_delay_alu instid0(SALU_CYCLE_1)
	s_or_b32 exec_lo, exec_lo, s40
	s_mov_b32 s40, 0
	global_store_b8 v[2:3], v7, off
.LBB48_210:
	s_and_b32 vcc_lo, exec_lo, s40
	s_cbranch_vccz .LBB48_220
; %bb.211:
	v_lshlrev_b32_e32 v6, 16, v1
	s_wait_xcnt 0x0
	v_and_b32_e32 v4, 0xffff, v1
	s_mov_b32 s40, exec_lo
                                        ; implicit-def: $vgpr5
	s_delay_alu instid0(VALU_DEP_2) | instskip(NEXT) | instid1(VALU_DEP_1)
	v_and_b32_e32 v7, 0x7fffffff, v6
	v_cmpx_gt_u32_e32 0x43f00000, v7
	s_xor_b32 s40, exec_lo, s40
	s_cbranch_execz .LBB48_217
; %bb.212:
	s_mov_b32 s42, exec_lo
                                        ; implicit-def: $vgpr5
	v_cmpx_lt_u32_e32 0x3c7fffff, v7
	s_xor_b32 s42, exec_lo, s42
; %bb.213:
	v_bfe_u32 v5, v4, 4, 1
	s_delay_alu instid0(VALU_DEP_1) | instskip(NEXT) | instid1(VALU_DEP_1)
	v_add3_u32 v5, v6, v5, 0x407ffff
	v_and_b32_e32 v6, 0xff00000, v5
	v_lshrrev_b32_e32 v5, 20, v5
	s_delay_alu instid0(VALU_DEP_2) | instskip(NEXT) | instid1(VALU_DEP_2)
	v_cmp_ne_u32_e32 vcc_lo, 0x7f00000, v6
                                        ; implicit-def: $vgpr6
	v_cndmask_b32_e32 v5, 0x7e, v5, vcc_lo
; %bb.214:
	s_and_not1_saveexec_b32 s42, s42
; %bb.215:
	v_add_f32_e64 v5, 0x46800000, |v6|
; %bb.216:
	s_or_b32 exec_lo, exec_lo, s42
                                        ; implicit-def: $vgpr7
.LBB48_217:
	s_and_not1_saveexec_b32 s40, s40
; %bb.218:
	v_mov_b32_e32 v5, 0x7f
	v_cmp_lt_u32_e32 vcc_lo, 0x7f800000, v7
	s_delay_alu instid0(VALU_DEP_2)
	v_cndmask_b32_e32 v5, 0x7e, v5, vcc_lo
; %bb.219:
	s_or_b32 exec_lo, exec_lo, s40
	v_lshrrev_b32_e32 v4, 8, v4
	s_delay_alu instid0(VALU_DEP_1)
	v_and_or_b32 v4, 0x80, v4, v5
	global_store_b8 v[2:3], v4, off
.LBB48_220:
	s_mov_b32 s40, 0
.LBB48_221:
	s_delay_alu instid0(SALU_CYCLE_1)
	s_and_not1_b32 vcc_lo, exec_lo, s40
	s_cbranch_vccnz .LBB48_231
; %bb.222:
	v_lshlrev_b32_e32 v6, 16, v1
	s_wait_xcnt 0x0
	v_and_b32_e32 v4, 0xffff, v1
	s_mov_b32 s40, exec_lo
                                        ; implicit-def: $vgpr5
	s_delay_alu instid0(VALU_DEP_2) | instskip(NEXT) | instid1(VALU_DEP_1)
	v_and_b32_e32 v7, 0x7fffffff, v6
	v_cmpx_gt_u32_e32 0x47800000, v7
	s_xor_b32 s40, exec_lo, s40
	s_cbranch_execz .LBB48_228
; %bb.223:
	s_mov_b32 s42, exec_lo
                                        ; implicit-def: $vgpr5
	v_cmpx_lt_u32_e32 0x387fffff, v7
	s_xor_b32 s42, exec_lo, s42
; %bb.224:
	v_bfe_u32 v5, v4, 5, 1
	s_delay_alu instid0(VALU_DEP_1) | instskip(NEXT) | instid1(VALU_DEP_1)
	v_add3_u32 v5, v6, v5, 0x80fffff
                                        ; implicit-def: $vgpr6
	v_lshrrev_b32_e32 v5, 21, v5
; %bb.225:
	s_and_not1_saveexec_b32 s42, s42
; %bb.226:
	v_add_f32_e64 v5, 0x43000000, |v6|
; %bb.227:
	s_or_b32 exec_lo, exec_lo, s42
                                        ; implicit-def: $vgpr7
.LBB48_228:
	s_and_not1_saveexec_b32 s40, s40
; %bb.229:
	v_mov_b32_e32 v5, 0x7f
	v_cmp_lt_u32_e32 vcc_lo, 0x7f800000, v7
	s_delay_alu instid0(VALU_DEP_2)
	v_cndmask_b32_e32 v5, 0x7c, v5, vcc_lo
; %bb.230:
	s_or_b32 exec_lo, exec_lo, s40
	v_lshrrev_b32_e32 v4, 8, v4
	s_delay_alu instid0(VALU_DEP_1)
	v_and_or_b32 v4, 0x80, v4, v5
	global_store_b8 v[2:3], v4, off
.LBB48_231:
	s_mov_b32 s42, 0
	s_mov_b32 s40, -1
.LBB48_232:
	s_and_not1_b32 vcc_lo, exec_lo, s42
	s_cbranch_vccnz .LBB48_240
; %bb.233:
	s_cmp_gt_i32 s39, 14
	s_mov_b32 s42, -1
	s_cbranch_scc0 .LBB48_237
; %bb.234:
	s_cmp_eq_u32 s39, 15
	s_mov_b32 s0, -1
	s_cbranch_scc0 .LBB48_236
; %bb.235:
	s_mov_b32 s40, -1
	s_mov_b32 s0, 0
	global_store_b16 v[2:3], v1, off
.LBB48_236:
	s_mov_b32 s42, 0
.LBB48_237:
	s_delay_alu instid0(SALU_CYCLE_1)
	s_and_b32 vcc_lo, exec_lo, s42
	s_cbranch_vccz .LBB48_240
; %bb.238:
	s_cmp_eq_u32 s39, 11
	s_mov_b32 s0, -1
	s_cbranch_scc0 .LBB48_240
; %bb.239:
	s_wait_xcnt 0x0
	v_and_b32_e32 v4, 0x7fff, v1
	s_mov_b32 s0, 0
	s_mov_b32 s40, -1
	s_delay_alu instid0(VALU_DEP_1)
	v_cmp_ne_u16_e32 vcc_lo, 0, v4
	v_cndmask_b32_e64 v4, 0, 1, vcc_lo
	global_store_b8 v[2:3], v4, off
.LBB48_240:
	s_mov_b32 s39, 0
.LBB48_241:
	s_delay_alu instid0(SALU_CYCLE_1)
	s_and_b32 vcc_lo, exec_lo, s39
	s_cbranch_vccz .LBB48_280
; %bb.242:
	s_and_b32 s38, 0xffff, s38
	s_mov_b32 s39, -1
	s_cmp_lt_i32 s38, 5
	s_cbranch_scc1 .LBB48_263
; %bb.243:
	s_cmp_lt_i32 s38, 8
	s_cbranch_scc1 .LBB48_253
; %bb.244:
	;; [unrolled: 3-line block ×3, first 2 shown]
	s_cmp_gt_i32 s38, 9
	s_cbranch_scc0 .LBB48_247
; %bb.246:
	s_wait_xcnt 0x0
	v_dual_lshlrev_b32 v4, 16, v1 :: v_dual_mov_b32 v6, 0
	s_mov_b32 s39, 0
	s_delay_alu instid0(VALU_DEP_1) | instskip(NEXT) | instid1(VALU_DEP_2)
	v_cvt_f64_f32_e32 v[4:5], v4
	v_mov_b32_e32 v7, v6
	global_store_b128 v[2:3], v[4:7], off
.LBB48_247:
	s_and_not1_b32 vcc_lo, exec_lo, s39
	s_cbranch_vccnz .LBB48_249
; %bb.248:
	s_wait_xcnt 0x0
	v_dual_mov_b32 v5, 0 :: v_dual_lshlrev_b32 v4, 16, v1
	global_store_b64 v[2:3], v[4:5], off
.LBB48_249:
	s_mov_b32 s39, 0
.LBB48_250:
	s_delay_alu instid0(SALU_CYCLE_1)
	s_and_not1_b32 vcc_lo, exec_lo, s39
	s_cbranch_vccnz .LBB48_252
; %bb.251:
	s_wait_xcnt 0x0
	v_lshlrev_b32_e32 v4, 16, v1
	s_delay_alu instid0(VALU_DEP_1) | instskip(NEXT) | instid1(VALU_DEP_1)
	v_cvt_f16_f32_e32 v4, v4
	v_and_b32_e32 v4, 0xffff, v4
	global_store_b32 v[2:3], v4, off
.LBB48_252:
	s_mov_b32 s39, 0
.LBB48_253:
	s_delay_alu instid0(SALU_CYCLE_1)
	s_and_not1_b32 vcc_lo, exec_lo, s39
	s_cbranch_vccnz .LBB48_262
; %bb.254:
	s_cmp_lt_i32 s38, 6
	s_mov_b32 s39, -1
	s_cbranch_scc1 .LBB48_260
; %bb.255:
	s_cmp_gt_i32 s38, 6
	s_cbranch_scc0 .LBB48_257
; %bb.256:
	s_wait_xcnt 0x0
	v_lshlrev_b32_e32 v4, 16, v1
	s_mov_b32 s39, 0
	s_delay_alu instid0(VALU_DEP_1)
	v_cvt_f64_f32_e32 v[4:5], v4
	global_store_b64 v[2:3], v[4:5], off
.LBB48_257:
	s_and_not1_b32 vcc_lo, exec_lo, s39
	s_cbranch_vccnz .LBB48_259
; %bb.258:
	s_wait_xcnt 0x0
	v_lshlrev_b32_e32 v4, 16, v1
	global_store_b32 v[2:3], v4, off
.LBB48_259:
	s_mov_b32 s39, 0
.LBB48_260:
	s_delay_alu instid0(SALU_CYCLE_1)
	s_and_not1_b32 vcc_lo, exec_lo, s39
	s_cbranch_vccnz .LBB48_262
; %bb.261:
	s_wait_xcnt 0x0
	v_lshlrev_b32_e32 v4, 16, v1
	s_delay_alu instid0(VALU_DEP_1)
	v_cvt_f16_f32_e32 v4, v4
	global_store_b16 v[2:3], v4, off
.LBB48_262:
	s_mov_b32 s39, 0
.LBB48_263:
	s_delay_alu instid0(SALU_CYCLE_1)
	s_and_not1_b32 vcc_lo, exec_lo, s39
	s_cbranch_vccnz .LBB48_279
; %bb.264:
	s_cmp_lt_i32 s38, 2
	s_mov_b32 s39, -1
	s_cbranch_scc1 .LBB48_274
; %bb.265:
	s_cmp_lt_i32 s38, 3
	s_cbranch_scc1 .LBB48_271
; %bb.266:
	s_cmp_gt_i32 s38, 3
	s_cbranch_scc0 .LBB48_268
; %bb.267:
	s_wait_xcnt 0x0
	v_lshlrev_b32_e32 v4, 16, v1
	s_mov_b32 s39, 0
	s_delay_alu instid0(VALU_DEP_1) | instskip(NEXT) | instid1(VALU_DEP_1)
	v_trunc_f32_e32 v4, v4
	v_mul_f32_e64 v5, 0x2f800000, |v4|
	s_delay_alu instid0(VALU_DEP_1) | instskip(NEXT) | instid1(VALU_DEP_1)
	v_floor_f32_e32 v5, v5
	v_fma_f32 v6, 0xcf800000, v5, |v4|
	v_ashrrev_i32_e32 v4, 31, v4
	v_cvt_u32_f32_e32 v7, v5
	s_delay_alu instid0(VALU_DEP_3) | instskip(NEXT) | instid1(VALU_DEP_2)
	v_cvt_u32_f32_e32 v6, v6
	v_dual_mov_b32 v5, v4 :: v_dual_bitop2_b32 v7, v7, v4 bitop3:0x14
	s_delay_alu instid0(VALU_DEP_2) | instskip(NEXT) | instid1(VALU_DEP_1)
	v_xor_b32_e32 v6, v6, v4
	v_sub_nc_u64_e32 v[4:5], v[6:7], v[4:5]
	global_store_b64 v[2:3], v[4:5], off
.LBB48_268:
	s_and_not1_b32 vcc_lo, exec_lo, s39
	s_cbranch_vccnz .LBB48_270
; %bb.269:
	s_wait_xcnt 0x0
	v_lshlrev_b32_e32 v4, 16, v1
	s_delay_alu instid0(VALU_DEP_1)
	v_cvt_i32_f32_e32 v4, v4
	global_store_b32 v[2:3], v4, off
.LBB48_270:
	s_mov_b32 s39, 0
.LBB48_271:
	s_delay_alu instid0(SALU_CYCLE_1)
	s_and_not1_b32 vcc_lo, exec_lo, s39
	s_cbranch_vccnz .LBB48_273
; %bb.272:
	s_wait_xcnt 0x0
	v_lshlrev_b32_e32 v4, 16, v1
	s_delay_alu instid0(VALU_DEP_1)
	v_cvt_i32_f32_e32 v4, v4
	global_store_b16 v[2:3], v4, off
.LBB48_273:
	s_mov_b32 s39, 0
.LBB48_274:
	s_delay_alu instid0(SALU_CYCLE_1)
	s_and_not1_b32 vcc_lo, exec_lo, s39
	s_cbranch_vccnz .LBB48_279
; %bb.275:
	s_cmp_gt_i32 s38, 0
	s_mov_b32 s38, -1
	s_cbranch_scc0 .LBB48_277
; %bb.276:
	s_wait_xcnt 0x0
	v_lshlrev_b32_e32 v4, 16, v1
	s_mov_b32 s38, 0
	s_delay_alu instid0(VALU_DEP_1)
	v_cvt_i32_f32_e32 v4, v4
	global_store_b8 v[2:3], v4, off
.LBB48_277:
	s_and_not1_b32 vcc_lo, exec_lo, s38
	s_cbranch_vccnz .LBB48_279
; %bb.278:
	s_wait_xcnt 0x0
	v_lshlrev_b32_e32 v1, 16, v1
	s_delay_alu instid0(VALU_DEP_1) | instskip(NEXT) | instid1(VALU_DEP_1)
	v_trunc_f32_e32 v1, v1
	v_mul_f32_e64 v4, 0x2f800000, |v1|
	s_delay_alu instid0(VALU_DEP_1) | instskip(NEXT) | instid1(VALU_DEP_1)
	v_floor_f32_e32 v4, v4
	v_fma_f32 v4, 0xcf800000, v4, |v1|
	v_ashrrev_i32_e32 v1, 31, v1
	s_delay_alu instid0(VALU_DEP_2) | instskip(NEXT) | instid1(VALU_DEP_1)
	v_cvt_u32_f32_e32 v4, v4
	v_xor_b32_e32 v4, v4, v1
	s_delay_alu instid0(VALU_DEP_1)
	v_sub_nc_u32_e32 v1, v4, v1
	global_store_b8 v[2:3], v1, off
.LBB48_279:
	s_mov_b32 s40, -1
.LBB48_280:
	s_delay_alu instid0(SALU_CYCLE_1)
	s_and_not1_b32 vcc_lo, exec_lo, s40
	s_cbranch_vccnz .LBB48_393
; %bb.281:
	v_add_nc_u32_e32 v0, 0x80, v0
	s_mov_b32 s42, -1
	s_branch .LBB48_394
.LBB48_282:
	s_mov_b32 s25, -1
                                        ; implicit-def: $vgpr3
.LBB48_283:
	s_mov_b32 s40, 0
.LBB48_284:
	s_delay_alu instid0(SALU_CYCLE_1)
	s_and_b32 vcc_lo, exec_lo, s40
	s_cbranch_vccz .LBB48_288
; %bb.285:
	s_cmp_eq_u32 s38, 29
	s_cbranch_scc0 .LBB48_287
; %bb.286:
	global_load_b64 v[6:7], v[4:5], off
	s_mov_b32 s39, -1
	s_mov_b32 s25, 0
	s_mov_b32 s40, 0
	s_wait_loadcnt 0x0
	v_clz_i32_u32_e32 v3, v7
	s_delay_alu instid0(VALU_DEP_1) | instskip(NEXT) | instid1(VALU_DEP_1)
	v_min_u32_e32 v3, 32, v3
	v_lshlrev_b64_e32 v[6:7], v3, v[6:7]
	v_sub_nc_u32_e32 v3, 32, v3
	s_delay_alu instid0(VALU_DEP_2) | instskip(NEXT) | instid1(VALU_DEP_1)
	v_min_u32_e32 v6, 1, v6
	v_or_b32_e32 v6, v7, v6
	s_delay_alu instid0(VALU_DEP_1) | instskip(NEXT) | instid1(VALU_DEP_1)
	v_cvt_f32_u32_e32 v6, v6
	v_ldexp_f32 v3, v6, v3
	s_delay_alu instid0(VALU_DEP_1) | instskip(NEXT) | instid1(VALU_DEP_1)
	v_bfe_u32 v6, v3, 16, 1
	v_add3_u32 v3, v3, v6, 0x7fff
	s_delay_alu instid0(VALU_DEP_1)
	v_lshrrev_b32_e32 v3, 16, v3
	s_branch .LBB48_289
.LBB48_287:
	s_mov_b32 s25, -1
                                        ; implicit-def: $vgpr3
.LBB48_288:
	s_mov_b32 s40, 0
.LBB48_289:
	s_delay_alu instid0(SALU_CYCLE_1)
	s_and_b32 vcc_lo, exec_lo, s40
	s_cbranch_vccz .LBB48_307
; %bb.290:
	s_cmp_lt_i32 s38, 27
	s_cbranch_scc1 .LBB48_293
; %bb.291:
	s_cmp_gt_i32 s38, 27
	s_cbranch_scc0 .LBB48_294
; %bb.292:
	s_wait_loadcnt 0x0
	global_load_b32 v3, v[4:5], off
	s_mov_b32 s39, 0
	s_wait_loadcnt 0x0
	v_cvt_f32_u32_e32 v3, v3
	s_delay_alu instid0(VALU_DEP_1) | instskip(NEXT) | instid1(VALU_DEP_1)
	v_bfe_u32 v6, v3, 16, 1
	v_add3_u32 v3, v3, v6, 0x7fff
	s_delay_alu instid0(VALU_DEP_1)
	v_lshrrev_b32_e32 v3, 16, v3
	s_branch .LBB48_295
.LBB48_293:
	s_mov_b32 s39, -1
                                        ; implicit-def: $vgpr3
	s_branch .LBB48_298
.LBB48_294:
	s_mov_b32 s39, -1
                                        ; implicit-def: $vgpr3
.LBB48_295:
	s_delay_alu instid0(SALU_CYCLE_1)
	s_and_not1_b32 vcc_lo, exec_lo, s39
	s_cbranch_vccnz .LBB48_297
; %bb.296:
	s_wait_loadcnt 0x0
	global_load_u16 v3, v[4:5], off
	s_wait_loadcnt 0x0
	v_cvt_f32_u32_e32 v3, v3
	s_delay_alu instid0(VALU_DEP_1) | instskip(NEXT) | instid1(VALU_DEP_1)
	v_bfe_u32 v6, v3, 16, 1
	v_add3_u32 v3, v3, v6, 0x7fff
	s_delay_alu instid0(VALU_DEP_1)
	v_lshrrev_b32_e32 v3, 16, v3
.LBB48_297:
	s_mov_b32 s39, 0
.LBB48_298:
	s_delay_alu instid0(SALU_CYCLE_1)
	s_and_not1_b32 vcc_lo, exec_lo, s39
	s_cbranch_vccnz .LBB48_306
; %bb.299:
	s_wait_loadcnt 0x0
	global_load_u8 v3, v[4:5], off
	s_mov_b32 s39, 0
	s_mov_b32 s40, exec_lo
	s_wait_loadcnt 0x0
	v_cmpx_lt_i16_e32 0x7f, v3
	s_xor_b32 s40, exec_lo, s40
	s_cbranch_execz .LBB48_320
; %bb.300:
	s_mov_b32 s39, -1
	s_mov_b32 s42, exec_lo
	v_cmpx_eq_u16_e32 0x80, v3
; %bb.301:
	s_xor_b32 s39, exec_lo, -1
; %bb.302:
	s_or_b32 exec_lo, exec_lo, s42
	s_delay_alu instid0(SALU_CYCLE_1)
	s_and_b32 s39, s39, exec_lo
	s_or_saveexec_b32 s40, s40
	v_mov_b32_e32 v6, 0x7f800001
	s_xor_b32 exec_lo, exec_lo, s40
	s_cbranch_execnz .LBB48_321
.LBB48_303:
	s_or_b32 exec_lo, exec_lo, s40
	s_and_saveexec_b32 s40, s39
	s_cbranch_execz .LBB48_305
.LBB48_304:
	v_and_b32_e32 v6, 0xffff, v3
	s_delay_alu instid0(VALU_DEP_1) | instskip(SKIP_1) | instid1(VALU_DEP_2)
	v_and_b32_e32 v7, 7, v6
	v_bfe_u32 v10, v6, 3, 4
	v_clz_i32_u32_e32 v8, v7
	s_delay_alu instid0(VALU_DEP_2) | instskip(NEXT) | instid1(VALU_DEP_2)
	v_cmp_eq_u32_e32 vcc_lo, 0, v10
	v_min_u32_e32 v8, 32, v8
	s_delay_alu instid0(VALU_DEP_1) | instskip(NEXT) | instid1(VALU_DEP_1)
	v_subrev_nc_u32_e32 v9, 28, v8
	v_dual_lshlrev_b32 v6, v9, v6 :: v_dual_sub_nc_u32 v8, 29, v8
	s_delay_alu instid0(VALU_DEP_1) | instskip(NEXT) | instid1(VALU_DEP_1)
	v_dual_lshlrev_b32 v3, 24, v3 :: v_dual_bitop2_b32 v6, 7, v6 bitop3:0x40
	v_dual_cndmask_b32 v8, v10, v8, vcc_lo :: v_dual_cndmask_b32 v6, v7, v6, vcc_lo
	s_delay_alu instid0(VALU_DEP_2) | instskip(NEXT) | instid1(VALU_DEP_2)
	v_and_b32_e32 v3, 0x80000000, v3
	v_lshl_add_u32 v7, v8, 23, 0x3b800000
	s_delay_alu instid0(VALU_DEP_3) | instskip(NEXT) | instid1(VALU_DEP_1)
	v_lshlrev_b32_e32 v6, 20, v6
	v_or3_b32 v6, v3, v7, v6
.LBB48_305:
	s_or_b32 exec_lo, exec_lo, s40
	s_delay_alu instid0(VALU_DEP_1) | instskip(SKIP_1) | instid1(VALU_DEP_2)
	v_bfe_u32 v3, v6, 16, 1
	v_cmp_o_f32_e32 vcc_lo, v6, v6
	v_add3_u32 v3, v6, v3, 0x7fff
	s_delay_alu instid0(VALU_DEP_1) | instskip(NEXT) | instid1(VALU_DEP_1)
	v_lshrrev_b32_e32 v3, 16, v3
	v_cndmask_b32_e32 v3, 0x7fc0, v3, vcc_lo
.LBB48_306:
	s_mov_b32 s39, -1
.LBB48_307:
	s_mov_b32 s40, 0
.LBB48_308:
	s_delay_alu instid0(SALU_CYCLE_1)
	s_and_b32 vcc_lo, exec_lo, s40
	s_cbranch_vccz .LBB48_343
; %bb.309:
	s_cmp_gt_i32 s38, 22
	s_cbranch_scc0 .LBB48_319
; %bb.310:
	s_cmp_lt_i32 s38, 24
	s_cbranch_scc1 .LBB48_322
; %bb.311:
	s_cmp_gt_i32 s38, 24
	s_cbranch_scc0 .LBB48_323
; %bb.312:
	s_wait_loadcnt 0x0
	global_load_u8 v3, v[4:5], off
	s_mov_b32 s39, 0
	s_mov_b32 s40, exec_lo
	s_wait_loadcnt 0x0
	v_cmpx_lt_i16_e32 0x7f, v3
	s_xor_b32 s40, exec_lo, s40
	s_cbranch_execz .LBB48_335
; %bb.313:
	s_mov_b32 s39, -1
	s_mov_b32 s42, exec_lo
	v_cmpx_eq_u16_e32 0x80, v3
; %bb.314:
	s_xor_b32 s39, exec_lo, -1
; %bb.315:
	s_or_b32 exec_lo, exec_lo, s42
	s_delay_alu instid0(SALU_CYCLE_1)
	s_and_b32 s39, s39, exec_lo
	s_or_saveexec_b32 s40, s40
	v_mov_b32_e32 v6, 0x7f800001
	s_xor_b32 exec_lo, exec_lo, s40
	s_cbranch_execnz .LBB48_336
.LBB48_316:
	s_or_b32 exec_lo, exec_lo, s40
	s_and_saveexec_b32 s40, s39
	s_cbranch_execz .LBB48_318
.LBB48_317:
	v_and_b32_e32 v6, 0xffff, v3
	s_delay_alu instid0(VALU_DEP_1) | instskip(SKIP_1) | instid1(VALU_DEP_2)
	v_and_b32_e32 v7, 3, v6
	v_bfe_u32 v10, v6, 2, 5
	v_clz_i32_u32_e32 v8, v7
	s_delay_alu instid0(VALU_DEP_2) | instskip(NEXT) | instid1(VALU_DEP_2)
	v_cmp_eq_u32_e32 vcc_lo, 0, v10
	v_min_u32_e32 v8, 32, v8
	s_delay_alu instid0(VALU_DEP_1) | instskip(NEXT) | instid1(VALU_DEP_1)
	v_subrev_nc_u32_e32 v9, 29, v8
	v_dual_lshlrev_b32 v6, v9, v6 :: v_dual_sub_nc_u32 v8, 30, v8
	s_delay_alu instid0(VALU_DEP_1) | instskip(NEXT) | instid1(VALU_DEP_1)
	v_dual_lshlrev_b32 v3, 24, v3 :: v_dual_bitop2_b32 v6, 3, v6 bitop3:0x40
	v_dual_cndmask_b32 v8, v10, v8, vcc_lo :: v_dual_cndmask_b32 v6, v7, v6, vcc_lo
	s_delay_alu instid0(VALU_DEP_2) | instskip(NEXT) | instid1(VALU_DEP_2)
	v_and_b32_e32 v3, 0x80000000, v3
	v_lshl_add_u32 v7, v8, 23, 0x37800000
	s_delay_alu instid0(VALU_DEP_3) | instskip(NEXT) | instid1(VALU_DEP_1)
	v_lshlrev_b32_e32 v6, 21, v6
	v_or3_b32 v6, v3, v7, v6
.LBB48_318:
	s_or_b32 exec_lo, exec_lo, s40
	s_delay_alu instid0(VALU_DEP_1) | instskip(SKIP_2) | instid1(VALU_DEP_2)
	v_bfe_u32 v3, v6, 16, 1
	v_cmp_o_f32_e32 vcc_lo, v6, v6
	s_mov_b32 s39, 0
	v_add3_u32 v3, v6, v3, 0x7fff
	s_delay_alu instid0(VALU_DEP_1) | instskip(NEXT) | instid1(VALU_DEP_1)
	v_lshrrev_b32_e32 v3, 16, v3
	v_cndmask_b32_e32 v3, 0x7fc0, v3, vcc_lo
	s_branch .LBB48_324
.LBB48_319:
	s_mov_b32 s40, -1
                                        ; implicit-def: $vgpr3
	s_branch .LBB48_330
.LBB48_320:
	s_or_saveexec_b32 s40, s40
	v_mov_b32_e32 v6, 0x7f800001
	s_xor_b32 exec_lo, exec_lo, s40
	s_cbranch_execz .LBB48_303
.LBB48_321:
	v_cmp_ne_u16_e32 vcc_lo, 0, v3
	v_mov_b32_e32 v6, 0
	s_and_not1_b32 s39, s39, exec_lo
	s_and_b32 s42, vcc_lo, exec_lo
	s_delay_alu instid0(SALU_CYCLE_1)
	s_or_b32 s39, s39, s42
	s_or_b32 exec_lo, exec_lo, s40
	s_and_saveexec_b32 s40, s39
	s_cbranch_execnz .LBB48_304
	s_branch .LBB48_305
.LBB48_322:
	s_mov_b32 s39, -1
                                        ; implicit-def: $vgpr3
	s_branch .LBB48_327
.LBB48_323:
	s_mov_b32 s39, -1
                                        ; implicit-def: $vgpr3
.LBB48_324:
	s_delay_alu instid0(SALU_CYCLE_1)
	s_and_b32 vcc_lo, exec_lo, s39
	s_cbranch_vccz .LBB48_326
; %bb.325:
	s_wait_loadcnt 0x0
	global_load_u8 v3, v[4:5], off
	s_wait_loadcnt 0x0
	v_lshlrev_b32_e32 v3, 24, v3
	s_delay_alu instid0(VALU_DEP_1) | instskip(NEXT) | instid1(VALU_DEP_1)
	v_and_b32_e32 v6, 0x7f000000, v3
	v_clz_i32_u32_e32 v7, v6
	v_cmp_ne_u32_e32 vcc_lo, 0, v6
	v_add_nc_u32_e32 v9, 0x1000000, v6
	s_delay_alu instid0(VALU_DEP_3) | instskip(NEXT) | instid1(VALU_DEP_1)
	v_min_u32_e32 v7, 32, v7
	v_sub_nc_u32_e64 v7, v7, 4 clamp
	s_delay_alu instid0(VALU_DEP_1) | instskip(NEXT) | instid1(VALU_DEP_1)
	v_dual_lshlrev_b32 v8, v7, v6 :: v_dual_lshlrev_b32 v7, 23, v7
	v_lshrrev_b32_e32 v8, 4, v8
	s_delay_alu instid0(VALU_DEP_1) | instskip(NEXT) | instid1(VALU_DEP_1)
	v_dual_sub_nc_u32 v7, v8, v7 :: v_dual_ashrrev_i32 v8, 8, v9
	v_add_nc_u32_e32 v7, 0x3c000000, v7
	s_delay_alu instid0(VALU_DEP_1) | instskip(NEXT) | instid1(VALU_DEP_1)
	v_and_or_b32 v7, 0x7f800000, v8, v7
	v_cndmask_b32_e32 v6, 0, v7, vcc_lo
	s_delay_alu instid0(VALU_DEP_1) | instskip(SKIP_1) | instid1(VALU_DEP_2)
	v_and_or_b32 v3, 0x80000000, v3, v6
	v_bfe_u32 v6, v6, 16, 1
	v_cmp_o_f32_e32 vcc_lo, v3, v3
	s_delay_alu instid0(VALU_DEP_2) | instskip(NEXT) | instid1(VALU_DEP_1)
	v_add3_u32 v6, v3, v6, 0x7fff
	v_lshrrev_b32_e32 v6, 16, v6
	s_delay_alu instid0(VALU_DEP_1)
	v_cndmask_b32_e32 v3, 0x7fc0, v6, vcc_lo
.LBB48_326:
	s_mov_b32 s39, 0
.LBB48_327:
	s_delay_alu instid0(SALU_CYCLE_1)
	s_and_not1_b32 vcc_lo, exec_lo, s39
	s_cbranch_vccnz .LBB48_329
; %bb.328:
	s_wait_loadcnt 0x0
	global_load_u8 v3, v[4:5], off
	s_wait_loadcnt 0x0
	v_lshlrev_b32_e32 v6, 25, v3
	v_lshlrev_b16 v3, 8, v3
	s_delay_alu instid0(VALU_DEP_1) | instskip(SKIP_1) | instid1(VALU_DEP_2)
	v_and_or_b32 v8, 0x7f00, v3, 0.5
	v_bfe_i32 v3, v3, 0, 16
	v_dual_add_f32 v8, -0.5, v8 :: v_dual_lshrrev_b32 v7, 4, v6
	v_cmp_gt_u32_e32 vcc_lo, 0x8000000, v6
	s_delay_alu instid0(VALU_DEP_2) | instskip(NEXT) | instid1(VALU_DEP_1)
	v_or_b32_e32 v7, 0x70000000, v7
	v_mul_f32_e32 v7, 0x7800000, v7
	s_delay_alu instid0(VALU_DEP_1) | instskip(NEXT) | instid1(VALU_DEP_1)
	v_cndmask_b32_e32 v6, v7, v8, vcc_lo
	v_and_or_b32 v3, 0x80000000, v3, v6
	v_bfe_u32 v6, v6, 16, 1
	s_delay_alu instid0(VALU_DEP_2) | instskip(NEXT) | instid1(VALU_DEP_2)
	v_cmp_o_f32_e32 vcc_lo, v3, v3
	v_add3_u32 v6, v3, v6, 0x7fff
	s_delay_alu instid0(VALU_DEP_1) | instskip(NEXT) | instid1(VALU_DEP_1)
	v_lshrrev_b32_e32 v6, 16, v6
	v_cndmask_b32_e32 v3, 0x7fc0, v6, vcc_lo
.LBB48_329:
	s_mov_b32 s40, 0
	s_mov_b32 s39, -1
.LBB48_330:
	s_and_not1_b32 vcc_lo, exec_lo, s40
	s_cbranch_vccnz .LBB48_343
; %bb.331:
	s_cmp_gt_i32 s38, 14
	s_cbranch_scc0 .LBB48_334
; %bb.332:
	s_cmp_eq_u32 s38, 15
	s_cbranch_scc0 .LBB48_337
; %bb.333:
	s_wait_loadcnt 0x0
	global_load_u16 v3, v[4:5], off
	s_mov_b32 s39, -1
	s_mov_b32 s25, 0
	s_branch .LBB48_338
.LBB48_334:
	s_mov_b32 s40, -1
                                        ; implicit-def: $vgpr3
	s_branch .LBB48_339
.LBB48_335:
	s_or_saveexec_b32 s40, s40
	v_mov_b32_e32 v6, 0x7f800001
	s_xor_b32 exec_lo, exec_lo, s40
	s_cbranch_execz .LBB48_316
.LBB48_336:
	v_cmp_ne_u16_e32 vcc_lo, 0, v3
	v_mov_b32_e32 v6, 0
	s_and_not1_b32 s39, s39, exec_lo
	s_and_b32 s42, vcc_lo, exec_lo
	s_delay_alu instid0(SALU_CYCLE_1)
	s_or_b32 s39, s39, s42
	s_or_b32 exec_lo, exec_lo, s40
	s_and_saveexec_b32 s40, s39
	s_cbranch_execnz .LBB48_317
	s_branch .LBB48_318
.LBB48_337:
	s_mov_b32 s25, -1
                                        ; implicit-def: $vgpr3
.LBB48_338:
	s_mov_b32 s40, 0
.LBB48_339:
	s_delay_alu instid0(SALU_CYCLE_1)
	s_and_b32 vcc_lo, exec_lo, s40
	s_cbranch_vccz .LBB48_343
; %bb.340:
	s_cmp_eq_u32 s38, 11
	s_cbranch_scc0 .LBB48_342
; %bb.341:
	s_wait_loadcnt 0x0
	global_load_u8 v3, v[4:5], off
	s_mov_b32 s25, 0
	s_mov_b32 s39, -1
	s_wait_loadcnt 0x0
	v_cmp_ne_u16_e32 vcc_lo, 0, v3
	v_cndmask_b32_e64 v3, 0, 1.0, vcc_lo
	s_delay_alu instid0(VALU_DEP_1)
	v_lshrrev_b32_e32 v3, 16, v3
	s_branch .LBB48_343
.LBB48_342:
	s_mov_b32 s25, -1
                                        ; implicit-def: $vgpr3
.LBB48_343:
	s_branch .LBB48_31
.LBB48_344:
	s_and_b32 s0, 0xffff, s0
	s_delay_alu instid0(SALU_CYCLE_1)
	s_cmp_lt_i32 s0, 5
	s_cbranch_scc1 .LBB48_349
; %bb.345:
	s_cmp_lt_i32 s0, 8
	s_cbranch_scc1 .LBB48_350
; %bb.346:
	;; [unrolled: 3-line block ×3, first 2 shown]
	s_cmp_gt_i32 s0, 9
	s_cbranch_scc0 .LBB48_352
; %bb.348:
	global_load_b64 v[6:7], v[4:5], off
	s_mov_b32 s38, 0
	s_wait_loadcnt 0x0
	v_cvt_f32_f64_e32 v3, v[6:7]
	s_delay_alu instid0(VALU_DEP_1) | instskip(SKIP_1) | instid1(VALU_DEP_2)
	v_bfe_u32 v6, v3, 16, 1
	v_cmp_o_f32_e32 vcc_lo, v3, v3
	v_add3_u32 v6, v3, v6, 0x7fff
	s_delay_alu instid0(VALU_DEP_1) | instskip(NEXT) | instid1(VALU_DEP_1)
	v_lshrrev_b32_e32 v6, 16, v6
	v_cndmask_b32_e32 v3, 0x7fc0, v6, vcc_lo
	s_branch .LBB48_353
.LBB48_349:
	s_mov_b32 s38, -1
                                        ; implicit-def: $vgpr3
	s_branch .LBB48_371
.LBB48_350:
	s_mov_b32 s38, -1
                                        ; implicit-def: $vgpr3
	s_branch .LBB48_359
.LBB48_351:
	s_mov_b32 s38, -1
                                        ; implicit-def: $vgpr3
	s_branch .LBB48_356
.LBB48_352:
	s_mov_b32 s38, -1
                                        ; implicit-def: $vgpr3
.LBB48_353:
	s_delay_alu instid0(SALU_CYCLE_1)
	s_and_not1_b32 vcc_lo, exec_lo, s38
	s_cbranch_vccnz .LBB48_355
; %bb.354:
	s_wait_loadcnt 0x0
	global_load_b32 v3, v[4:5], off
	s_wait_loadcnt 0x0
	v_bfe_u32 v6, v3, 16, 1
	v_cmp_o_f32_e32 vcc_lo, v3, v3
	s_delay_alu instid0(VALU_DEP_2) | instskip(NEXT) | instid1(VALU_DEP_1)
	v_add3_u32 v6, v3, v6, 0x7fff
	v_lshrrev_b32_e32 v6, 16, v6
	s_delay_alu instid0(VALU_DEP_1)
	v_cndmask_b32_e32 v3, 0x7fc0, v6, vcc_lo
.LBB48_355:
	s_mov_b32 s38, 0
.LBB48_356:
	s_delay_alu instid0(SALU_CYCLE_1)
	s_and_not1_b32 vcc_lo, exec_lo, s38
	s_cbranch_vccnz .LBB48_358
; %bb.357:
	s_wait_loadcnt 0x0
	global_load_b32 v3, v[4:5], off
	s_wait_loadcnt 0x0
	v_cvt_f32_f16_e32 v6, v3
	v_cmp_o_f16_e32 vcc_lo, v3, v3
	s_delay_alu instid0(VALU_DEP_2) | instskip(NEXT) | instid1(VALU_DEP_1)
	v_bfe_u32 v7, v6, 16, 1
	v_add3_u32 v6, v6, v7, 0x7fff
	s_delay_alu instid0(VALU_DEP_1) | instskip(NEXT) | instid1(VALU_DEP_1)
	v_lshrrev_b32_e32 v6, 16, v6
	v_cndmask_b32_e32 v3, 0x7fc0, v6, vcc_lo
.LBB48_358:
	s_mov_b32 s38, 0
.LBB48_359:
	s_delay_alu instid0(SALU_CYCLE_1)
	s_and_not1_b32 vcc_lo, exec_lo, s38
	s_cbranch_vccnz .LBB48_370
; %bb.360:
	s_cmp_lt_i32 s0, 6
	s_cbranch_scc1 .LBB48_363
; %bb.361:
	s_cmp_gt_i32 s0, 6
	s_cbranch_scc0 .LBB48_364
; %bb.362:
	global_load_b64 v[6:7], v[4:5], off
	s_mov_b32 s38, 0
	s_wait_loadcnt 0x0
	v_cvt_f32_f64_e32 v3, v[6:7]
	s_delay_alu instid0(VALU_DEP_1) | instskip(SKIP_1) | instid1(VALU_DEP_2)
	v_bfe_u32 v6, v3, 16, 1
	v_cmp_o_f32_e32 vcc_lo, v3, v3
	v_add3_u32 v6, v3, v6, 0x7fff
	s_delay_alu instid0(VALU_DEP_1) | instskip(NEXT) | instid1(VALU_DEP_1)
	v_lshrrev_b32_e32 v6, 16, v6
	v_cndmask_b32_e32 v3, 0x7fc0, v6, vcc_lo
	s_branch .LBB48_365
.LBB48_363:
	s_mov_b32 s38, -1
                                        ; implicit-def: $vgpr3
	s_branch .LBB48_368
.LBB48_364:
	s_mov_b32 s38, -1
                                        ; implicit-def: $vgpr3
.LBB48_365:
	s_delay_alu instid0(SALU_CYCLE_1)
	s_and_not1_b32 vcc_lo, exec_lo, s38
	s_cbranch_vccnz .LBB48_367
; %bb.366:
	s_wait_loadcnt 0x0
	global_load_b32 v3, v[4:5], off
	s_wait_loadcnt 0x0
	v_bfe_u32 v6, v3, 16, 1
	v_cmp_o_f32_e32 vcc_lo, v3, v3
	s_delay_alu instid0(VALU_DEP_2) | instskip(NEXT) | instid1(VALU_DEP_1)
	v_add3_u32 v6, v3, v6, 0x7fff
	v_lshrrev_b32_e32 v6, 16, v6
	s_delay_alu instid0(VALU_DEP_1)
	v_cndmask_b32_e32 v3, 0x7fc0, v6, vcc_lo
.LBB48_367:
	s_mov_b32 s38, 0
.LBB48_368:
	s_delay_alu instid0(SALU_CYCLE_1)
	s_and_not1_b32 vcc_lo, exec_lo, s38
	s_cbranch_vccnz .LBB48_370
; %bb.369:
	s_wait_loadcnt 0x0
	global_load_u16 v3, v[4:5], off
	s_wait_loadcnt 0x0
	v_cvt_f32_f16_e32 v6, v3
	v_cmp_o_f16_e32 vcc_lo, v3, v3
	s_delay_alu instid0(VALU_DEP_2) | instskip(NEXT) | instid1(VALU_DEP_1)
	v_bfe_u32 v7, v6, 16, 1
	v_add3_u32 v6, v6, v7, 0x7fff
	s_delay_alu instid0(VALU_DEP_1) | instskip(NEXT) | instid1(VALU_DEP_1)
	v_lshrrev_b32_e32 v6, 16, v6
	v_cndmask_b32_e32 v3, 0x7fc0, v6, vcc_lo
.LBB48_370:
	s_mov_b32 s38, 0
.LBB48_371:
	s_delay_alu instid0(SALU_CYCLE_1)
	s_and_not1_b32 vcc_lo, exec_lo, s38
	s_cbranch_vccnz .LBB48_391
; %bb.372:
	s_cmp_lt_i32 s0, 2
	s_cbranch_scc1 .LBB48_376
; %bb.373:
	s_cmp_lt_i32 s0, 3
	s_cbranch_scc1 .LBB48_377
; %bb.374:
	s_cmp_gt_i32 s0, 3
	s_cbranch_scc0 .LBB48_378
; %bb.375:
	global_load_b64 v[6:7], v[4:5], off
	s_mov_b32 s38, 0
	s_wait_loadcnt 0x0
	v_xor_b32_e32 v3, v6, v7
	v_cls_i32_e32 v8, v7
	s_delay_alu instid0(VALU_DEP_2) | instskip(NEXT) | instid1(VALU_DEP_1)
	v_ashrrev_i32_e32 v3, 31, v3
	v_add_nc_u32_e32 v3, 32, v3
	s_delay_alu instid0(VALU_DEP_1) | instskip(NEXT) | instid1(VALU_DEP_1)
	v_add_min_u32_e64 v3, v8, -1, v3
	v_lshlrev_b64_e32 v[6:7], v3, v[6:7]
	v_sub_nc_u32_e32 v3, 32, v3
	s_delay_alu instid0(VALU_DEP_2) | instskip(NEXT) | instid1(VALU_DEP_1)
	v_min_u32_e32 v6, 1, v6
	v_or_b32_e32 v6, v7, v6
	s_delay_alu instid0(VALU_DEP_1) | instskip(NEXT) | instid1(VALU_DEP_1)
	v_cvt_f32_i32_e32 v6, v6
	v_ldexp_f32 v3, v6, v3
	s_delay_alu instid0(VALU_DEP_1) | instskip(NEXT) | instid1(VALU_DEP_1)
	v_bfe_u32 v6, v3, 16, 1
	v_add3_u32 v3, v3, v6, 0x7fff
	s_delay_alu instid0(VALU_DEP_1)
	v_lshrrev_b32_e32 v3, 16, v3
	s_branch .LBB48_379
.LBB48_376:
	s_mov_b32 s38, -1
                                        ; implicit-def: $vgpr3
	s_branch .LBB48_385
.LBB48_377:
	s_mov_b32 s38, -1
                                        ; implicit-def: $vgpr3
	s_branch .LBB48_382
.LBB48_378:
	s_mov_b32 s38, -1
                                        ; implicit-def: $vgpr3
.LBB48_379:
	s_delay_alu instid0(SALU_CYCLE_1)
	s_and_not1_b32 vcc_lo, exec_lo, s38
	s_cbranch_vccnz .LBB48_381
; %bb.380:
	s_wait_loadcnt 0x0
	global_load_b32 v3, v[4:5], off
	s_wait_loadcnt 0x0
	v_cvt_f32_i32_e32 v3, v3
	s_delay_alu instid0(VALU_DEP_1) | instskip(NEXT) | instid1(VALU_DEP_1)
	v_bfe_u32 v6, v3, 16, 1
	v_add3_u32 v3, v3, v6, 0x7fff
	s_delay_alu instid0(VALU_DEP_1)
	v_lshrrev_b32_e32 v3, 16, v3
.LBB48_381:
	s_mov_b32 s38, 0
.LBB48_382:
	s_delay_alu instid0(SALU_CYCLE_1)
	s_and_not1_b32 vcc_lo, exec_lo, s38
	s_cbranch_vccnz .LBB48_384
; %bb.383:
	s_wait_loadcnt 0x0
	global_load_i16 v3, v[4:5], off
	s_wait_loadcnt 0x0
	v_cvt_f32_i32_e32 v3, v3
	s_delay_alu instid0(VALU_DEP_1) | instskip(NEXT) | instid1(VALU_DEP_1)
	v_bfe_u32 v6, v3, 16, 1
	v_add3_u32 v3, v3, v6, 0x7fff
	s_delay_alu instid0(VALU_DEP_1)
	v_lshrrev_b32_e32 v3, 16, v3
.LBB48_384:
	s_mov_b32 s38, 0
.LBB48_385:
	s_delay_alu instid0(SALU_CYCLE_1)
	s_and_not1_b32 vcc_lo, exec_lo, s38
	s_cbranch_vccnz .LBB48_391
; %bb.386:
	s_cmp_gt_i32 s0, 0
	s_mov_b32 s0, 0
	s_cbranch_scc0 .LBB48_388
; %bb.387:
	s_wait_loadcnt 0x0
	global_load_i8 v3, v[4:5], off
	s_wait_loadcnt 0x0
	v_cvt_f32_i32_e32 v3, v3
	s_delay_alu instid0(VALU_DEP_1) | instskip(NEXT) | instid1(VALU_DEP_1)
	v_bfe_u32 v6, v3, 16, 1
	v_add3_u32 v3, v3, v6, 0x7fff
	s_delay_alu instid0(VALU_DEP_1)
	v_lshrrev_b32_e32 v3, 16, v3
	s_branch .LBB48_389
.LBB48_388:
	s_mov_b32 s0, -1
                                        ; implicit-def: $vgpr3
.LBB48_389:
	s_delay_alu instid0(SALU_CYCLE_1)
	s_and_not1_b32 vcc_lo, exec_lo, s0
	s_cbranch_vccnz .LBB48_391
; %bb.390:
	s_wait_loadcnt 0x0
	global_load_u8 v3, v[4:5], off
	s_wait_loadcnt 0x0
	v_cvt_f32_ubyte0_e32 v3, v3
	s_delay_alu instid0(VALU_DEP_1) | instskip(NEXT) | instid1(VALU_DEP_1)
	v_bfe_u32 v4, v3, 16, 1
	v_add3_u32 v3, v3, v4, 0x7fff
	s_delay_alu instid0(VALU_DEP_1)
	v_lshrrev_b32_e32 v3, 16, v3
.LBB48_391:
	s_branch .LBB48_32
.LBB48_392:
	s_mov_b32 s0, 0
.LBB48_393:
	s_mov_b32 s42, 0
                                        ; implicit-def: $vgpr0
.LBB48_394:
	s_and_b32 s38, s0, exec_lo
	s_and_b32 s39, s25, exec_lo
	;; [unrolled: 1-line block ×3, first 2 shown]
	s_or_not1_b32 s25, s42, exec_lo
.LBB48_395:
	s_wait_xcnt 0x0
	s_or_b32 exec_lo, exec_lo, s41
	s_mov_b32 s43, 0
	s_mov_b32 s24, 0
                                        ; implicit-def: $sgpr0
                                        ; implicit-def: $vgpr6_vgpr7
                                        ; implicit-def: $vgpr4
                                        ; implicit-def: $vgpr2
                                        ; implicit-def: $vgpr8
	s_and_saveexec_b32 s41, s25
	s_cbranch_execz .LBB48_403
; %bb.396:
	s_mov_b32 s47, -1
	s_mov_b32 s42, s40
	s_mov_b32 s44, s39
	;; [unrolled: 1-line block ×3, first 2 shown]
	s_mov_b32 s45, exec_lo
	v_cmpx_gt_i32_e64 s36, v0
	s_cbranch_execz .LBB48_801
; %bb.397:
	s_and_not1_b32 vcc_lo, exec_lo, s29
	s_cbranch_vccnz .LBB48_406
; %bb.398:
	s_and_not1_b32 vcc_lo, exec_lo, s37
	s_cbranch_vccnz .LBB48_407
; %bb.399:
	s_wait_loadcnt 0x0
	v_dual_mov_b32 v2, 0 :: v_dual_mov_b32 v1, v0
	v_dual_mov_b32 v6, 0 :: v_dual_mov_b32 v4, 0
	s_add_co_i32 s0, s35, 1
	s_mov_b64 s[24:25], 0xffffffffffffffe8
	s_and_b32 s0, s0, 30
	s_add_nc_u64 s[24:25], s[2:3], s[24:25]
.LBB48_400:                             ; =>This Inner Loop Header: Depth=1
	s_clause 0x3
	s_load_b128 s[48:51], s[24:25], 0x1c
	s_load_b64 s[42:43], s[24:25], 0x2c
	s_load_b128 s[52:55], s[24:25], 0xdc
	s_load_b64 s[46:47], s[24:25], 0xec
	s_add_co_i32 s0, s0, -2
	s_wait_xcnt 0x0
	s_add_nc_u64 s[24:25], s[24:25], 24
	s_cmp_eq_u32 s0, 0
	s_wait_kmcnt 0x0
	v_mul_hi_u32 v3, s49, v1
	s_delay_alu instid0(VALU_DEP_1) | instskip(NEXT) | instid1(VALU_DEP_1)
	v_add_nc_u32_e32 v3, v1, v3
	v_lshrrev_b32_e32 v3, s50, v3
	s_delay_alu instid0(VALU_DEP_1) | instskip(SKIP_1) | instid1(VALU_DEP_1)
	v_mul_hi_u32 v5, s42, v3
	v_mul_lo_u32 v7, v3, s48
	v_dual_add_nc_u32 v5, v3, v5 :: v_dual_sub_nc_u32 v7, v1, v7
	s_delay_alu instid0(VALU_DEP_1) | instskip(NEXT) | instid1(VALU_DEP_2)
	v_lshrrev_b32_e32 v1, s43, v5
	v_mad_u32 v2, v7, s52, v2
	v_mad_u32 v4, v7, s54, v4
	;; [unrolled: 1-line block ×3, first 2 shown]
	s_delay_alu instid0(VALU_DEP_4) | instskip(NEXT) | instid1(VALU_DEP_1)
	v_mul_lo_u32 v5, v1, s51
	v_sub_nc_u32_e32 v3, v3, v5
	s_delay_alu instid0(VALU_DEP_1)
	v_mad_u32 v2, v3, s55, v2
	v_mad_u32 v4, v3, s47, v4
	;; [unrolled: 1-line block ×3, first 2 shown]
	s_cbranch_scc0 .LBB48_400
; %bb.401:
	s_bitcmp1_b32 s35, 0
	s_cselect_b32 s0, -1, 0
	s_delay_alu instid0(SALU_CYCLE_1)
	s_and_b32 vcc_lo, exec_lo, s0
	s_cbranch_vccnz .LBB48_408
; %bb.402:
	s_clause 0x1
	s_load_b96 s[48:50], s[24:25], 0x1c
	s_load_b96 s[52:54], s[24:25], 0xdc
	s_wait_kmcnt 0x0
	v_mul_hi_u32 v3, s49, v1
	s_delay_alu instid0(VALU_DEP_1) | instskip(NEXT) | instid1(VALU_DEP_1)
	v_add_nc_u32_e32 v3, v1, v3
	v_lshrrev_b32_e32 v3, s50, v3
	s_delay_alu instid0(VALU_DEP_1) | instskip(NEXT) | instid1(VALU_DEP_1)
	v_mul_lo_u32 v3, v3, s48
	v_sub_nc_u32_e32 v1, v1, v3
	s_delay_alu instid0(VALU_DEP_1)
	v_mad_u32 v2, v1, s52, v2
	v_mad_u32 v6, v1, s53, v6
	;; [unrolled: 1-line block ×3, first 2 shown]
	s_branch .LBB48_408
.LBB48_403:
	s_or_b32 exec_lo, exec_lo, s41
	s_mov_b32 s1, 0
	s_and_saveexec_b32 s6, s40
	s_cbranch_execnz .LBB48_1303
.LBB48_404:
	s_or_b32 exec_lo, exec_lo, s6
	s_and_saveexec_b32 s6, s19
	s_delay_alu instid0(SALU_CYCLE_1)
	s_xor_b32 s6, exec_lo, s6
	s_cbranch_execz .LBB48_1304
.LBB48_405:
	global_load_u8 v0, v[6:7], off
	s_or_b32 s24, s24, exec_lo
	s_wait_loadcnt 0x0
	v_cmp_ne_u16_e32 vcc_lo, 0, v0
	v_cndmask_b32_e64 v0, 0, 1.0, vcc_lo
	s_delay_alu instid0(VALU_DEP_1)
	v_lshrrev_b32_e32 v8, 16, v0
	s_wait_xcnt 0x0
	s_or_b32 exec_lo, exec_lo, s6
	s_and_saveexec_b32 s6, s43
	s_cbranch_execz .LBB48_1350
	s_branch .LBB48_1305
.LBB48_406:
                                        ; implicit-def: $vgpr4
                                        ; implicit-def: $vgpr6
                                        ; implicit-def: $vgpr2
	s_branch .LBB48_409
.LBB48_407:
	v_dual_mov_b32 v4, 0 :: v_dual_mov_b32 v6, 0
	v_mov_b32_e32 v2, 0
.LBB48_408:
	s_cbranch_execnz .LBB48_411
.LBB48_409:
	s_wait_loadcnt 0x0
	v_mov_b32_e32 v1, 0
	s_and_not1_b32 vcc_lo, exec_lo, s34
	s_delay_alu instid0(VALU_DEP_1) | instskip(NEXT) | instid1(VALU_DEP_1)
	v_mul_u64_e32 v[2:3], s[18:19], v[0:1]
	v_add_nc_u32_e32 v2, v0, v3
	s_delay_alu instid0(VALU_DEP_1) | instskip(NEXT) | instid1(VALU_DEP_1)
	v_lshrrev_b32_e32 v8, s10, v2
	v_mul_lo_u32 v2, v8, s8
	s_delay_alu instid0(VALU_DEP_1) | instskip(NEXT) | instid1(VALU_DEP_1)
	v_sub_nc_u32_e32 v3, v0, v2
	v_mul_lo_u32 v2, v3, s12
	v_mul_lo_u32 v4, v3, s14
	v_mul_lo_u32 v6, v3, s13
	s_cbranch_vccnz .LBB48_411
; %bb.410:
	v_mov_b32_e32 v9, v1
	s_delay_alu instid0(VALU_DEP_1) | instskip(NEXT) | instid1(VALU_DEP_1)
	v_mul_u64_e32 v[10:11], s[22:23], v[8:9]
	v_add_nc_u32_e32 v1, v8, v11
	s_delay_alu instid0(VALU_DEP_1) | instskip(NEXT) | instid1(VALU_DEP_1)
	v_lshrrev_b32_e32 v1, s1, v1
	v_mul_lo_u32 v1, v1, s11
	s_delay_alu instid0(VALU_DEP_1) | instskip(NEXT) | instid1(VALU_DEP_1)
	v_sub_nc_u32_e32 v1, v8, v1
	v_mad_u32 v2, v1, s15, v2
	v_mad_u32 v6, v1, s20, v6
	v_mad_u32 v4, v1, s21, v4
.LBB48_411:
	v_mov_b32_e32 v7, 0
	s_and_b32 s0, s33, 0xff
	s_delay_alu instid0(SALU_CYCLE_1) | instskip(NEXT) | instid1(VALU_DEP_1)
	s_cmp_lt_i32 s0, 11
	v_add_nc_u64_e32 v[6:7], s[6:7], v[6:7]
	s_cbranch_scc1 .LBB48_418
; %bb.412:
	s_and_b32 s25, 0xffff, s0
	s_delay_alu instid0(SALU_CYCLE_1)
	s_cmp_gt_i32 s25, 25
	s_cbranch_scc0 .LBB48_427
; %bb.413:
	s_cmp_gt_i32 s25, 28
	s_cbranch_scc0 .LBB48_429
; %bb.414:
	;; [unrolled: 3-line block ×4, first 2 shown]
	s_cmp_eq_u32 s25, 46
	s_mov_b32 s43, 0
	s_cbranch_scc0 .LBB48_437
; %bb.417:
	s_wait_loadcnt 0x0
	global_load_b32 v1, v[6:7], off
	s_mov_b32 s42, -1
	s_mov_b32 s24, 0
	s_branch .LBB48_439
.LBB48_418:
	s_mov_b32 s42, 0
	s_mov_b32 s24, s40
                                        ; implicit-def: $vgpr1
	s_cbranch_execnz .LBB48_505
.LBB48_419:
	s_and_not1_b32 vcc_lo, exec_lo, s42
	s_cbranch_vccnz .LBB48_553
.LBB48_420:
	v_mov_b32_e32 v5, 0
	s_and_b32 s0, s9, 0xff
	s_delay_alu instid0(SALU_CYCLE_1) | instskip(NEXT) | instid1(VALU_DEP_1)
	s_cmp_lt_i32 s0, 11
	v_add_nc_u64_e32 v[4:5], s[16:17], v[4:5]
	s_cbranch_scc1 .LBB48_428
; %bb.421:
	s_and_b32 s42, 0xffff, s0
	s_delay_alu instid0(SALU_CYCLE_1)
	s_cmp_gt_i32 s42, 25
	s_cbranch_scc0 .LBB48_430
; %bb.422:
	s_cmp_gt_i32 s42, 28
	s_cbranch_scc0 .LBB48_432
; %bb.423:
	;; [unrolled: 3-line block ×4, first 2 shown]
	s_cmp_eq_u32 s42, 46
	s_mov_b32 s44, 0
	s_cbranch_scc0 .LBB48_556
; %bb.426:
	s_wait_loadcnt 0x0
	global_load_b32 v3, v[4:5], off
	s_mov_b32 s43, -1
	s_mov_b32 s25, 0
	s_branch .LBB48_558
.LBB48_427:
	s_mov_b32 s43, -1
	s_mov_b32 s42, 0
	s_mov_b32 s24, s40
                                        ; implicit-def: $vgpr1
	s_branch .LBB48_469
.LBB48_428:
	s_mov_b32 s42, -1
	s_mov_b32 s43, 0
	s_mov_b32 s25, s39
                                        ; implicit-def: $vgpr3
	s_branch .LBB48_623
.LBB48_429:
	s_mov_b32 s43, -1
	s_mov_b32 s42, 0
	s_mov_b32 s24, s40
                                        ; implicit-def: $vgpr1
	s_branch .LBB48_450
.LBB48_430:
	s_mov_b32 s44, -1
	s_mov_b32 s43, 0
	s_mov_b32 s25, s39
                                        ; implicit-def: $vgpr3
	s_branch .LBB48_587
.LBB48_431:
	s_mov_b32 s43, -1
	s_mov_b32 s42, 0
	s_mov_b32 s24, s40
                                        ; implicit-def: $vgpr1
	s_branch .LBB48_445
.LBB48_432:
	s_mov_b32 s44, -1
	s_mov_b32 s43, 0
	s_mov_b32 s25, s39
                                        ; implicit-def: $vgpr3
	s_branch .LBB48_568
.LBB48_433:
	s_mov_b32 s43, -1
	s_mov_b32 s42, 0
	s_mov_b32 s24, s40
	s_branch .LBB48_438
.LBB48_434:
	s_mov_b32 s44, -1
	s_mov_b32 s43, 0
	s_mov_b32 s25, s39
                                        ; implicit-def: $vgpr3
	s_branch .LBB48_563
.LBB48_435:
	s_and_not1_saveexec_b32 s43, s43
	s_cbranch_execz .LBB48_193
.LBB48_436:
	v_add_f32_e64 v5, 0x46000000, |v6|
	s_and_not1_b32 s42, s42, exec_lo
	s_delay_alu instid0(VALU_DEP_1) | instskip(NEXT) | instid1(VALU_DEP_1)
	v_and_b32_e32 v5, 0xff, v5
	v_cmp_ne_u32_e32 vcc_lo, 0, v5
	s_and_b32 s44, vcc_lo, exec_lo
	s_delay_alu instid0(SALU_CYCLE_1)
	s_or_b32 s42, s42, s44
	s_or_b32 exec_lo, exec_lo, s43
	v_mov_b32_e32 v7, 0
	s_and_saveexec_b32 s43, s42
	s_cbranch_execnz .LBB48_194
	s_branch .LBB48_195
.LBB48_437:
	s_mov_b32 s24, -1
	s_mov_b32 s42, 0
.LBB48_438:
                                        ; implicit-def: $vgpr1
.LBB48_439:
	s_and_b32 vcc_lo, exec_lo, s43
	s_cbranch_vccz .LBB48_444
; %bb.440:
	s_cmp_eq_u32 s25, 44
	s_cbranch_scc0 .LBB48_443
; %bb.441:
	s_wait_loadcnt 0x0
	global_load_u8 v1, v[6:7], off
	s_mov_b32 s24, 0
	s_mov_b32 s42, -1
	s_wait_loadcnt 0x0
	v_lshlrev_b32_e32 v3, 23, v1
	v_cmp_ne_u32_e32 vcc_lo, 0xff, v1
	s_delay_alu instid0(VALU_DEP_2) | instskip(SKIP_1) | instid1(VALU_DEP_2)
	v_cndmask_b32_e32 v3, 0x7f800001, v3, vcc_lo
	v_cmp_ne_u32_e32 vcc_lo, 0, v1
	v_cndmask_b32_e32 v1, 0x400000, v3, vcc_lo
	s_delay_alu instid0(VALU_DEP_1) | instskip(SKIP_1) | instid1(VALU_DEP_2)
	v_add_nc_u32_e32 v3, 0x7fff, v1
	v_cmp_o_f32_e32 vcc_lo, v1, v1
	v_lshrrev_b32_e32 v3, 16, v3
	s_delay_alu instid0(VALU_DEP_1)
	v_cndmask_b32_e32 v1, 0x7fc0, v3, vcc_lo
	s_branch .LBB48_444
.LBB48_442:
	s_mov_b32 s44, -1
	s_mov_b32 s43, 0
	s_mov_b32 s25, s39
	s_branch .LBB48_557
.LBB48_443:
	s_mov_b32 s24, -1
                                        ; implicit-def: $vgpr1
.LBB48_444:
	s_mov_b32 s43, 0
.LBB48_445:
	s_delay_alu instid0(SALU_CYCLE_1)
	s_and_b32 vcc_lo, exec_lo, s43
	s_cbranch_vccz .LBB48_449
; %bb.446:
	s_cmp_eq_u32 s25, 29
	s_cbranch_scc0 .LBB48_448
; %bb.447:
	global_load_b64 v[8:9], v[6:7], off
	s_mov_b32 s42, -1
	s_mov_b32 s24, 0
	s_mov_b32 s43, 0
	s_wait_loadcnt 0x0
	v_clz_i32_u32_e32 v1, v9
	s_delay_alu instid0(VALU_DEP_1) | instskip(NEXT) | instid1(VALU_DEP_1)
	v_min_u32_e32 v1, 32, v1
	v_lshlrev_b64_e32 v[8:9], v1, v[8:9]
	v_sub_nc_u32_e32 v1, 32, v1
	s_delay_alu instid0(VALU_DEP_2) | instskip(NEXT) | instid1(VALU_DEP_1)
	v_min_u32_e32 v3, 1, v8
	v_or_b32_e32 v3, v9, v3
	s_delay_alu instid0(VALU_DEP_1) | instskip(NEXT) | instid1(VALU_DEP_1)
	v_cvt_f32_u32_e32 v3, v3
	v_ldexp_f32 v1, v3, v1
	s_delay_alu instid0(VALU_DEP_1) | instskip(NEXT) | instid1(VALU_DEP_1)
	v_bfe_u32 v3, v1, 16, 1
	v_add3_u32 v1, v1, v3, 0x7fff
	s_delay_alu instid0(VALU_DEP_1)
	v_lshrrev_b32_e32 v1, 16, v1
	s_branch .LBB48_450
.LBB48_448:
	s_mov_b32 s24, -1
                                        ; implicit-def: $vgpr1
.LBB48_449:
	s_mov_b32 s43, 0
.LBB48_450:
	s_delay_alu instid0(SALU_CYCLE_1)
	s_and_b32 vcc_lo, exec_lo, s43
	s_cbranch_vccz .LBB48_468
; %bb.451:
	s_cmp_lt_i32 s25, 27
	s_cbranch_scc1 .LBB48_454
; %bb.452:
	s_cmp_gt_i32 s25, 27
	s_cbranch_scc0 .LBB48_455
; %bb.453:
	s_wait_loadcnt 0x0
	global_load_b32 v1, v[6:7], off
	s_mov_b32 s42, 0
	s_wait_loadcnt 0x0
	v_cvt_f32_u32_e32 v1, v1
	s_delay_alu instid0(VALU_DEP_1) | instskip(NEXT) | instid1(VALU_DEP_1)
	v_bfe_u32 v3, v1, 16, 1
	v_add3_u32 v1, v1, v3, 0x7fff
	s_delay_alu instid0(VALU_DEP_1)
	v_lshrrev_b32_e32 v1, 16, v1
	s_branch .LBB48_456
.LBB48_454:
	s_mov_b32 s42, -1
                                        ; implicit-def: $vgpr1
	s_branch .LBB48_459
.LBB48_455:
	s_mov_b32 s42, -1
                                        ; implicit-def: $vgpr1
.LBB48_456:
	s_delay_alu instid0(SALU_CYCLE_1)
	s_and_not1_b32 vcc_lo, exec_lo, s42
	s_cbranch_vccnz .LBB48_458
; %bb.457:
	s_wait_loadcnt 0x0
	global_load_u16 v1, v[6:7], off
	s_wait_loadcnt 0x0
	v_cvt_f32_u32_e32 v1, v1
	s_delay_alu instid0(VALU_DEP_1) | instskip(NEXT) | instid1(VALU_DEP_1)
	v_bfe_u32 v3, v1, 16, 1
	v_add3_u32 v1, v1, v3, 0x7fff
	s_delay_alu instid0(VALU_DEP_1)
	v_lshrrev_b32_e32 v1, 16, v1
.LBB48_458:
	s_mov_b32 s42, 0
.LBB48_459:
	s_delay_alu instid0(SALU_CYCLE_1)
	s_and_not1_b32 vcc_lo, exec_lo, s42
	s_cbranch_vccnz .LBB48_467
; %bb.460:
	s_wait_loadcnt 0x0
	global_load_u8 v1, v[6:7], off
	s_mov_b32 s42, 0
	s_mov_b32 s43, exec_lo
	s_wait_loadcnt 0x0
	v_cmpx_lt_i16_e32 0x7f, v1
	s_xor_b32 s43, exec_lo, s43
	s_cbranch_execz .LBB48_481
; %bb.461:
	s_mov_b32 s42, -1
	s_mov_b32 s44, exec_lo
	v_cmpx_eq_u16_e32 0x80, v1
; %bb.462:
	s_xor_b32 s42, exec_lo, -1
; %bb.463:
	s_or_b32 exec_lo, exec_lo, s44
	s_delay_alu instid0(SALU_CYCLE_1)
	s_and_b32 s42, s42, exec_lo
	s_or_saveexec_b32 s43, s43
	v_mov_b32_e32 v3, 0x7f800001
	s_xor_b32 exec_lo, exec_lo, s43
	s_cbranch_execnz .LBB48_482
.LBB48_464:
	s_or_b32 exec_lo, exec_lo, s43
	s_and_saveexec_b32 s43, s42
	s_cbranch_execz .LBB48_466
.LBB48_465:
	v_and_b32_e32 v3, 0xffff, v1
	s_delay_alu instid0(VALU_DEP_1) | instskip(SKIP_1) | instid1(VALU_DEP_2)
	v_and_b32_e32 v5, 7, v3
	v_bfe_u32 v10, v3, 3, 4
	v_clz_i32_u32_e32 v8, v5
	s_delay_alu instid0(VALU_DEP_2) | instskip(NEXT) | instid1(VALU_DEP_2)
	v_cmp_eq_u32_e32 vcc_lo, 0, v10
	v_min_u32_e32 v8, 32, v8
	s_delay_alu instid0(VALU_DEP_1) | instskip(NEXT) | instid1(VALU_DEP_1)
	v_subrev_nc_u32_e32 v9, 28, v8
	v_dual_lshlrev_b32 v3, v9, v3 :: v_dual_sub_nc_u32 v8, 29, v8
	s_delay_alu instid0(VALU_DEP_1) | instskip(NEXT) | instid1(VALU_DEP_1)
	v_dual_lshlrev_b32 v1, 24, v1 :: v_dual_bitop2_b32 v3, 7, v3 bitop3:0x40
	v_dual_cndmask_b32 v8, v10, v8 :: v_dual_cndmask_b32 v3, v5, v3
	s_delay_alu instid0(VALU_DEP_2) | instskip(NEXT) | instid1(VALU_DEP_2)
	v_and_b32_e32 v1, 0x80000000, v1
	v_lshl_add_u32 v5, v8, 23, 0x3b800000
	s_delay_alu instid0(VALU_DEP_3) | instskip(NEXT) | instid1(VALU_DEP_1)
	v_lshlrev_b32_e32 v3, 20, v3
	v_or3_b32 v3, v1, v5, v3
.LBB48_466:
	s_or_b32 exec_lo, exec_lo, s43
	s_delay_alu instid0(VALU_DEP_1) | instskip(SKIP_1) | instid1(VALU_DEP_2)
	v_bfe_u32 v1, v3, 16, 1
	v_cmp_o_f32_e32 vcc_lo, v3, v3
	v_add3_u32 v1, v3, v1, 0x7fff
	s_delay_alu instid0(VALU_DEP_1) | instskip(NEXT) | instid1(VALU_DEP_1)
	v_lshrrev_b32_e32 v1, 16, v1
	v_cndmask_b32_e32 v1, 0x7fc0, v1, vcc_lo
.LBB48_467:
	s_mov_b32 s42, -1
.LBB48_468:
	s_mov_b32 s43, 0
.LBB48_469:
	s_delay_alu instid0(SALU_CYCLE_1)
	s_and_b32 vcc_lo, exec_lo, s43
	s_cbranch_vccz .LBB48_504
; %bb.470:
	s_cmp_gt_i32 s25, 22
	s_cbranch_scc0 .LBB48_480
; %bb.471:
	s_cmp_lt_i32 s25, 24
	s_cbranch_scc1 .LBB48_483
; %bb.472:
	s_cmp_gt_i32 s25, 24
	s_cbranch_scc0 .LBB48_484
; %bb.473:
	s_wait_loadcnt 0x0
	global_load_u8 v1, v[6:7], off
	s_mov_b32 s42, 0
	s_mov_b32 s43, exec_lo
	s_wait_loadcnt 0x0
	v_cmpx_lt_i16_e32 0x7f, v1
	s_xor_b32 s43, exec_lo, s43
	s_cbranch_execz .LBB48_496
; %bb.474:
	s_mov_b32 s42, -1
	s_mov_b32 s44, exec_lo
	v_cmpx_eq_u16_e32 0x80, v1
; %bb.475:
	s_xor_b32 s42, exec_lo, -1
; %bb.476:
	s_or_b32 exec_lo, exec_lo, s44
	s_delay_alu instid0(SALU_CYCLE_1)
	s_and_b32 s42, s42, exec_lo
	s_or_saveexec_b32 s43, s43
	v_mov_b32_e32 v3, 0x7f800001
	s_xor_b32 exec_lo, exec_lo, s43
	s_cbranch_execnz .LBB48_497
.LBB48_477:
	s_or_b32 exec_lo, exec_lo, s43
	s_and_saveexec_b32 s43, s42
	s_cbranch_execz .LBB48_479
.LBB48_478:
	v_and_b32_e32 v3, 0xffff, v1
	s_delay_alu instid0(VALU_DEP_1) | instskip(SKIP_1) | instid1(VALU_DEP_2)
	v_and_b32_e32 v5, 3, v3
	v_bfe_u32 v10, v3, 2, 5
	v_clz_i32_u32_e32 v8, v5
	s_delay_alu instid0(VALU_DEP_2) | instskip(NEXT) | instid1(VALU_DEP_2)
	v_cmp_eq_u32_e32 vcc_lo, 0, v10
	v_min_u32_e32 v8, 32, v8
	s_delay_alu instid0(VALU_DEP_1) | instskip(NEXT) | instid1(VALU_DEP_1)
	v_subrev_nc_u32_e32 v9, 29, v8
	v_dual_lshlrev_b32 v3, v9, v3 :: v_dual_sub_nc_u32 v8, 30, v8
	s_delay_alu instid0(VALU_DEP_1) | instskip(NEXT) | instid1(VALU_DEP_1)
	v_dual_lshlrev_b32 v1, 24, v1 :: v_dual_bitop2_b32 v3, 3, v3 bitop3:0x40
	v_dual_cndmask_b32 v8, v10, v8 :: v_dual_cndmask_b32 v3, v5, v3
	s_delay_alu instid0(VALU_DEP_2) | instskip(NEXT) | instid1(VALU_DEP_2)
	v_and_b32_e32 v1, 0x80000000, v1
	v_lshl_add_u32 v5, v8, 23, 0x37800000
	s_delay_alu instid0(VALU_DEP_3) | instskip(NEXT) | instid1(VALU_DEP_1)
	v_lshlrev_b32_e32 v3, 21, v3
	v_or3_b32 v3, v1, v5, v3
.LBB48_479:
	s_or_b32 exec_lo, exec_lo, s43
	s_delay_alu instid0(VALU_DEP_1) | instskip(SKIP_2) | instid1(VALU_DEP_2)
	v_bfe_u32 v1, v3, 16, 1
	v_cmp_o_f32_e32 vcc_lo, v3, v3
	s_mov_b32 s42, 0
	v_add3_u32 v1, v3, v1, 0x7fff
	s_delay_alu instid0(VALU_DEP_1) | instskip(NEXT) | instid1(VALU_DEP_1)
	v_lshrrev_b32_e32 v1, 16, v1
	v_cndmask_b32_e32 v1, 0x7fc0, v1, vcc_lo
	s_branch .LBB48_485
.LBB48_480:
	s_mov_b32 s43, -1
                                        ; implicit-def: $vgpr1
	s_branch .LBB48_491
.LBB48_481:
	s_or_saveexec_b32 s43, s43
	v_mov_b32_e32 v3, 0x7f800001
	s_xor_b32 exec_lo, exec_lo, s43
	s_cbranch_execz .LBB48_464
.LBB48_482:
	v_cmp_ne_u16_e32 vcc_lo, 0, v1
	v_mov_b32_e32 v3, 0
	s_and_not1_b32 s42, s42, exec_lo
	s_and_b32 s44, vcc_lo, exec_lo
	s_delay_alu instid0(SALU_CYCLE_1)
	s_or_b32 s42, s42, s44
	s_or_b32 exec_lo, exec_lo, s43
	s_and_saveexec_b32 s43, s42
	s_cbranch_execnz .LBB48_465
	s_branch .LBB48_466
.LBB48_483:
	s_mov_b32 s42, -1
                                        ; implicit-def: $vgpr1
	s_branch .LBB48_488
.LBB48_484:
	s_mov_b32 s42, -1
                                        ; implicit-def: $vgpr1
.LBB48_485:
	s_delay_alu instid0(SALU_CYCLE_1)
	s_and_b32 vcc_lo, exec_lo, s42
	s_cbranch_vccz .LBB48_487
; %bb.486:
	s_wait_loadcnt 0x0
	global_load_u8 v1, v[6:7], off
	s_wait_loadcnt 0x0
	v_lshlrev_b32_e32 v1, 24, v1
	s_delay_alu instid0(VALU_DEP_1) | instskip(NEXT) | instid1(VALU_DEP_1)
	v_and_b32_e32 v3, 0x7f000000, v1
	v_clz_i32_u32_e32 v5, v3
	v_add_nc_u32_e32 v9, 0x1000000, v3
	v_cmp_ne_u32_e32 vcc_lo, 0, v3
	s_delay_alu instid0(VALU_DEP_3) | instskip(NEXT) | instid1(VALU_DEP_1)
	v_min_u32_e32 v5, 32, v5
	v_sub_nc_u32_e64 v5, v5, 4 clamp
	s_delay_alu instid0(VALU_DEP_1) | instskip(NEXT) | instid1(VALU_DEP_1)
	v_dual_lshlrev_b32 v8, v5, v3 :: v_dual_lshlrev_b32 v5, 23, v5
	v_lshrrev_b32_e32 v8, 4, v8
	s_delay_alu instid0(VALU_DEP_1) | instskip(SKIP_1) | instid1(VALU_DEP_2)
	v_sub_nc_u32_e32 v5, v8, v5
	v_ashrrev_i32_e32 v8, 8, v9
	v_add_nc_u32_e32 v5, 0x3c000000, v5
	s_delay_alu instid0(VALU_DEP_1) | instskip(NEXT) | instid1(VALU_DEP_1)
	v_and_or_b32 v5, 0x7f800000, v8, v5
	v_cndmask_b32_e32 v3, 0, v5, vcc_lo
	s_delay_alu instid0(VALU_DEP_1) | instskip(SKIP_1) | instid1(VALU_DEP_2)
	v_and_or_b32 v1, 0x80000000, v1, v3
	v_bfe_u32 v3, v3, 16, 1
	v_cmp_o_f32_e32 vcc_lo, v1, v1
	s_delay_alu instid0(VALU_DEP_2) | instskip(NEXT) | instid1(VALU_DEP_1)
	v_add3_u32 v3, v1, v3, 0x7fff
	v_lshrrev_b32_e32 v3, 16, v3
	s_delay_alu instid0(VALU_DEP_1)
	v_cndmask_b32_e32 v1, 0x7fc0, v3, vcc_lo
.LBB48_487:
	s_mov_b32 s42, 0
.LBB48_488:
	s_delay_alu instid0(SALU_CYCLE_1)
	s_and_not1_b32 vcc_lo, exec_lo, s42
	s_cbranch_vccnz .LBB48_490
; %bb.489:
	s_wait_loadcnt 0x0
	global_load_u8 v1, v[6:7], off
	s_wait_loadcnt 0x0
	v_lshlrev_b32_e32 v3, 25, v1
	v_lshlrev_b16 v1, 8, v1
	s_delay_alu instid0(VALU_DEP_1) | instskip(SKIP_1) | instid1(VALU_DEP_2)
	v_and_or_b32 v8, 0x7f00, v1, 0.5
	v_bfe_i32 v1, v1, 0, 16
	v_dual_add_f32 v8, -0.5, v8 :: v_dual_lshrrev_b32 v5, 4, v3
	v_cmp_gt_u32_e32 vcc_lo, 0x8000000, v3
	s_delay_alu instid0(VALU_DEP_2) | instskip(NEXT) | instid1(VALU_DEP_1)
	v_or_b32_e32 v5, 0x70000000, v5
	v_mul_f32_e32 v5, 0x7800000, v5
	s_delay_alu instid0(VALU_DEP_1) | instskip(NEXT) | instid1(VALU_DEP_1)
	v_cndmask_b32_e32 v3, v5, v8, vcc_lo
	v_and_or_b32 v1, 0x80000000, v1, v3
	v_bfe_u32 v3, v3, 16, 1
	s_delay_alu instid0(VALU_DEP_2) | instskip(NEXT) | instid1(VALU_DEP_2)
	v_cmp_o_f32_e32 vcc_lo, v1, v1
	v_add3_u32 v3, v1, v3, 0x7fff
	s_delay_alu instid0(VALU_DEP_1) | instskip(NEXT) | instid1(VALU_DEP_1)
	v_lshrrev_b32_e32 v3, 16, v3
	v_cndmask_b32_e32 v1, 0x7fc0, v3, vcc_lo
.LBB48_490:
	s_mov_b32 s43, 0
	s_mov_b32 s42, -1
.LBB48_491:
	s_and_not1_b32 vcc_lo, exec_lo, s43
	s_cbranch_vccnz .LBB48_504
; %bb.492:
	s_cmp_gt_i32 s25, 14
	s_cbranch_scc0 .LBB48_495
; %bb.493:
	s_cmp_eq_u32 s25, 15
	s_cbranch_scc0 .LBB48_498
; %bb.494:
	s_wait_loadcnt 0x0
	global_load_u16 v1, v[6:7], off
	s_mov_b32 s42, -1
	s_mov_b32 s24, 0
	s_branch .LBB48_499
.LBB48_495:
	s_mov_b32 s43, -1
                                        ; implicit-def: $vgpr1
	s_branch .LBB48_500
.LBB48_496:
	s_or_saveexec_b32 s43, s43
	v_mov_b32_e32 v3, 0x7f800001
	s_xor_b32 exec_lo, exec_lo, s43
	s_cbranch_execz .LBB48_477
.LBB48_497:
	v_cmp_ne_u16_e32 vcc_lo, 0, v1
	v_mov_b32_e32 v3, 0
	s_and_not1_b32 s42, s42, exec_lo
	s_and_b32 s44, vcc_lo, exec_lo
	s_delay_alu instid0(SALU_CYCLE_1)
	s_or_b32 s42, s42, s44
	s_or_b32 exec_lo, exec_lo, s43
	s_and_saveexec_b32 s43, s42
	s_cbranch_execnz .LBB48_478
	s_branch .LBB48_479
.LBB48_498:
	s_mov_b32 s24, -1
                                        ; implicit-def: $vgpr1
.LBB48_499:
	s_mov_b32 s43, 0
.LBB48_500:
	s_delay_alu instid0(SALU_CYCLE_1)
	s_and_b32 vcc_lo, exec_lo, s43
	s_cbranch_vccz .LBB48_504
; %bb.501:
	s_cmp_eq_u32 s25, 11
	s_cbranch_scc0 .LBB48_503
; %bb.502:
	s_wait_loadcnt 0x0
	global_load_u8 v1, v[6:7], off
	s_mov_b32 s24, 0
	s_mov_b32 s42, -1
	s_wait_loadcnt 0x0
	v_cmp_ne_u16_e32 vcc_lo, 0, v1
	v_cndmask_b32_e64 v1, 0, 1.0, vcc_lo
	s_delay_alu instid0(VALU_DEP_1)
	v_lshrrev_b32_e32 v1, 16, v1
	s_branch .LBB48_504
.LBB48_503:
	s_mov_b32 s24, -1
                                        ; implicit-def: $vgpr1
.LBB48_504:
	s_branch .LBB48_419
.LBB48_505:
	s_and_b32 s0, 0xffff, s0
	s_delay_alu instid0(SALU_CYCLE_1)
	s_cmp_lt_i32 s0, 5
	s_cbranch_scc1 .LBB48_510
; %bb.506:
	s_cmp_lt_i32 s0, 8
	s_cbranch_scc1 .LBB48_511
; %bb.507:
	;; [unrolled: 3-line block ×3, first 2 shown]
	s_cmp_gt_i32 s0, 9
	s_cbranch_scc0 .LBB48_513
; %bb.509:
	global_load_b64 v[8:9], v[6:7], off
	s_mov_b32 s25, 0
	s_wait_loadcnt 0x0
	v_cvt_f32_f64_e32 v1, v[8:9]
	s_delay_alu instid0(VALU_DEP_1) | instskip(SKIP_1) | instid1(VALU_DEP_2)
	v_bfe_u32 v3, v1, 16, 1
	v_cmp_o_f32_e32 vcc_lo, v1, v1
	v_add3_u32 v3, v1, v3, 0x7fff
	s_delay_alu instid0(VALU_DEP_1) | instskip(NEXT) | instid1(VALU_DEP_1)
	v_lshrrev_b32_e32 v3, 16, v3
	v_cndmask_b32_e32 v1, 0x7fc0, v3, vcc_lo
	s_branch .LBB48_514
.LBB48_510:
	s_mov_b32 s25, -1
                                        ; implicit-def: $vgpr1
	s_branch .LBB48_532
.LBB48_511:
	s_mov_b32 s25, -1
                                        ; implicit-def: $vgpr1
	s_branch .LBB48_520
.LBB48_512:
	s_mov_b32 s25, -1
                                        ; implicit-def: $vgpr1
	s_branch .LBB48_517
.LBB48_513:
	s_mov_b32 s25, -1
                                        ; implicit-def: $vgpr1
.LBB48_514:
	s_delay_alu instid0(SALU_CYCLE_1)
	s_and_not1_b32 vcc_lo, exec_lo, s25
	s_cbranch_vccnz .LBB48_516
; %bb.515:
	s_wait_loadcnt 0x0
	global_load_b32 v1, v[6:7], off
	s_wait_loadcnt 0x0
	v_bfe_u32 v3, v1, 16, 1
	v_cmp_o_f32_e32 vcc_lo, v1, v1
	s_delay_alu instid0(VALU_DEP_2) | instskip(NEXT) | instid1(VALU_DEP_1)
	v_add3_u32 v3, v1, v3, 0x7fff
	v_lshrrev_b32_e32 v3, 16, v3
	s_delay_alu instid0(VALU_DEP_1)
	v_cndmask_b32_e32 v1, 0x7fc0, v3, vcc_lo
.LBB48_516:
	s_mov_b32 s25, 0
.LBB48_517:
	s_delay_alu instid0(SALU_CYCLE_1)
	s_and_not1_b32 vcc_lo, exec_lo, s25
	s_cbranch_vccnz .LBB48_519
; %bb.518:
	s_wait_loadcnt 0x0
	global_load_b32 v1, v[6:7], off
	s_wait_loadcnt 0x0
	v_cvt_f32_f16_e32 v3, v1
	v_cmp_o_f16_e32 vcc_lo, v1, v1
	s_delay_alu instid0(VALU_DEP_2) | instskip(NEXT) | instid1(VALU_DEP_1)
	v_bfe_u32 v5, v3, 16, 1
	v_add3_u32 v3, v3, v5, 0x7fff
	s_delay_alu instid0(VALU_DEP_1) | instskip(NEXT) | instid1(VALU_DEP_1)
	v_lshrrev_b32_e32 v3, 16, v3
	v_cndmask_b32_e32 v1, 0x7fc0, v3, vcc_lo
.LBB48_519:
	s_mov_b32 s25, 0
.LBB48_520:
	s_delay_alu instid0(SALU_CYCLE_1)
	s_and_not1_b32 vcc_lo, exec_lo, s25
	s_cbranch_vccnz .LBB48_531
; %bb.521:
	s_cmp_lt_i32 s0, 6
	s_cbranch_scc1 .LBB48_524
; %bb.522:
	s_cmp_gt_i32 s0, 6
	s_cbranch_scc0 .LBB48_525
; %bb.523:
	global_load_b64 v[8:9], v[6:7], off
	s_mov_b32 s25, 0
	s_wait_loadcnt 0x0
	v_cvt_f32_f64_e32 v1, v[8:9]
	s_delay_alu instid0(VALU_DEP_1) | instskip(SKIP_1) | instid1(VALU_DEP_2)
	v_bfe_u32 v3, v1, 16, 1
	v_cmp_o_f32_e32 vcc_lo, v1, v1
	v_add3_u32 v3, v1, v3, 0x7fff
	s_delay_alu instid0(VALU_DEP_1) | instskip(NEXT) | instid1(VALU_DEP_1)
	v_lshrrev_b32_e32 v3, 16, v3
	v_cndmask_b32_e32 v1, 0x7fc0, v3, vcc_lo
	s_branch .LBB48_526
.LBB48_524:
	s_mov_b32 s25, -1
                                        ; implicit-def: $vgpr1
	s_branch .LBB48_529
.LBB48_525:
	s_mov_b32 s25, -1
                                        ; implicit-def: $vgpr1
.LBB48_526:
	s_delay_alu instid0(SALU_CYCLE_1)
	s_and_not1_b32 vcc_lo, exec_lo, s25
	s_cbranch_vccnz .LBB48_528
; %bb.527:
	s_wait_loadcnt 0x0
	global_load_b32 v1, v[6:7], off
	s_wait_loadcnt 0x0
	v_bfe_u32 v3, v1, 16, 1
	v_cmp_o_f32_e32 vcc_lo, v1, v1
	s_delay_alu instid0(VALU_DEP_2) | instskip(NEXT) | instid1(VALU_DEP_1)
	v_add3_u32 v3, v1, v3, 0x7fff
	v_lshrrev_b32_e32 v3, 16, v3
	s_delay_alu instid0(VALU_DEP_1)
	v_cndmask_b32_e32 v1, 0x7fc0, v3, vcc_lo
.LBB48_528:
	s_mov_b32 s25, 0
.LBB48_529:
	s_delay_alu instid0(SALU_CYCLE_1)
	s_and_not1_b32 vcc_lo, exec_lo, s25
	s_cbranch_vccnz .LBB48_531
; %bb.530:
	s_wait_loadcnt 0x0
	global_load_u16 v1, v[6:7], off
	s_wait_loadcnt 0x0
	v_cvt_f32_f16_e32 v3, v1
	v_cmp_o_f16_e32 vcc_lo, v1, v1
	s_delay_alu instid0(VALU_DEP_2) | instskip(NEXT) | instid1(VALU_DEP_1)
	v_bfe_u32 v5, v3, 16, 1
	v_add3_u32 v3, v3, v5, 0x7fff
	s_delay_alu instid0(VALU_DEP_1) | instskip(NEXT) | instid1(VALU_DEP_1)
	v_lshrrev_b32_e32 v3, 16, v3
	v_cndmask_b32_e32 v1, 0x7fc0, v3, vcc_lo
.LBB48_531:
	s_mov_b32 s25, 0
.LBB48_532:
	s_delay_alu instid0(SALU_CYCLE_1)
	s_and_not1_b32 vcc_lo, exec_lo, s25
	s_cbranch_vccnz .LBB48_552
; %bb.533:
	s_cmp_lt_i32 s0, 2
	s_cbranch_scc1 .LBB48_537
; %bb.534:
	s_cmp_lt_i32 s0, 3
	s_cbranch_scc1 .LBB48_538
; %bb.535:
	s_cmp_gt_i32 s0, 3
	s_cbranch_scc0 .LBB48_539
; %bb.536:
	global_load_b64 v[8:9], v[6:7], off
	s_mov_b32 s25, 0
	s_wait_loadcnt 0x0
	v_xor_b32_e32 v1, v8, v9
	v_cls_i32_e32 v3, v9
	s_delay_alu instid0(VALU_DEP_2) | instskip(NEXT) | instid1(VALU_DEP_1)
	v_ashrrev_i32_e32 v1, 31, v1
	v_add_nc_u32_e32 v1, 32, v1
	s_delay_alu instid0(VALU_DEP_1) | instskip(NEXT) | instid1(VALU_DEP_1)
	v_add_min_u32_e64 v1, v3, -1, v1
	v_lshlrev_b64_e32 v[8:9], v1, v[8:9]
	v_sub_nc_u32_e32 v1, 32, v1
	s_delay_alu instid0(VALU_DEP_2) | instskip(NEXT) | instid1(VALU_DEP_1)
	v_min_u32_e32 v3, 1, v8
	v_or_b32_e32 v3, v9, v3
	s_delay_alu instid0(VALU_DEP_1) | instskip(NEXT) | instid1(VALU_DEP_1)
	v_cvt_f32_i32_e32 v3, v3
	v_ldexp_f32 v1, v3, v1
	s_delay_alu instid0(VALU_DEP_1) | instskip(NEXT) | instid1(VALU_DEP_1)
	v_bfe_u32 v3, v1, 16, 1
	v_add3_u32 v1, v1, v3, 0x7fff
	s_delay_alu instid0(VALU_DEP_1)
	v_lshrrev_b32_e32 v1, 16, v1
	s_branch .LBB48_540
.LBB48_537:
	s_mov_b32 s25, -1
                                        ; implicit-def: $vgpr1
	s_branch .LBB48_546
.LBB48_538:
	s_mov_b32 s25, -1
                                        ; implicit-def: $vgpr1
	s_branch .LBB48_543
.LBB48_539:
	s_mov_b32 s25, -1
                                        ; implicit-def: $vgpr1
.LBB48_540:
	s_delay_alu instid0(SALU_CYCLE_1)
	s_and_not1_b32 vcc_lo, exec_lo, s25
	s_cbranch_vccnz .LBB48_542
; %bb.541:
	s_wait_loadcnt 0x0
	global_load_b32 v1, v[6:7], off
	s_wait_loadcnt 0x0
	v_cvt_f32_i32_e32 v1, v1
	s_delay_alu instid0(VALU_DEP_1) | instskip(NEXT) | instid1(VALU_DEP_1)
	v_bfe_u32 v3, v1, 16, 1
	v_add3_u32 v1, v1, v3, 0x7fff
	s_delay_alu instid0(VALU_DEP_1)
	v_lshrrev_b32_e32 v1, 16, v1
.LBB48_542:
	s_mov_b32 s25, 0
.LBB48_543:
	s_delay_alu instid0(SALU_CYCLE_1)
	s_and_not1_b32 vcc_lo, exec_lo, s25
	s_cbranch_vccnz .LBB48_545
; %bb.544:
	s_wait_loadcnt 0x0
	global_load_i16 v1, v[6:7], off
	s_wait_loadcnt 0x0
	v_cvt_f32_i32_e32 v1, v1
	s_delay_alu instid0(VALU_DEP_1) | instskip(NEXT) | instid1(VALU_DEP_1)
	v_bfe_u32 v3, v1, 16, 1
	v_add3_u32 v1, v1, v3, 0x7fff
	s_delay_alu instid0(VALU_DEP_1)
	v_lshrrev_b32_e32 v1, 16, v1
.LBB48_545:
	s_mov_b32 s25, 0
.LBB48_546:
	s_delay_alu instid0(SALU_CYCLE_1)
	s_and_not1_b32 vcc_lo, exec_lo, s25
	s_cbranch_vccnz .LBB48_552
; %bb.547:
	s_cmp_gt_i32 s0, 0
	s_mov_b32 s0, 0
	s_cbranch_scc0 .LBB48_549
; %bb.548:
	s_wait_loadcnt 0x0
	global_load_i8 v1, v[6:7], off
	s_wait_loadcnt 0x0
	v_cvt_f32_i32_e32 v1, v1
	s_delay_alu instid0(VALU_DEP_1) | instskip(NEXT) | instid1(VALU_DEP_1)
	v_bfe_u32 v3, v1, 16, 1
	v_add3_u32 v1, v1, v3, 0x7fff
	s_delay_alu instid0(VALU_DEP_1)
	v_lshrrev_b32_e32 v1, 16, v1
	s_branch .LBB48_550
.LBB48_549:
	s_mov_b32 s0, -1
                                        ; implicit-def: $vgpr1
.LBB48_550:
	s_delay_alu instid0(SALU_CYCLE_1)
	s_and_not1_b32 vcc_lo, exec_lo, s0
	s_cbranch_vccnz .LBB48_552
; %bb.551:
	s_wait_loadcnt 0x0
	global_load_u8 v1, v[6:7], off
	s_wait_loadcnt 0x0
	v_cvt_f32_ubyte0_e32 v1, v1
	s_delay_alu instid0(VALU_DEP_1) | instskip(NEXT) | instid1(VALU_DEP_1)
	v_bfe_u32 v3, v1, 16, 1
	v_add3_u32 v1, v1, v3, 0x7fff
	s_delay_alu instid0(VALU_DEP_1)
	v_lshrrev_b32_e32 v1, 16, v1
.LBB48_552:
	s_branch .LBB48_420
.LBB48_553:
	s_mov_b32 s46, 0
	s_mov_b32 s0, s38
	;; [unrolled: 1-line block ×3, first 2 shown]
	s_branch .LBB48_799
.LBB48_554:
	s_and_not1_saveexec_b32 s43, s43
	s_cbranch_execz .LBB48_206
.LBB48_555:
	v_add_f32_e64 v5, 0x42800000, |v6|
	s_and_not1_b32 s42, s42, exec_lo
	s_delay_alu instid0(VALU_DEP_1) | instskip(NEXT) | instid1(VALU_DEP_1)
	v_and_b32_e32 v5, 0xff, v5
	v_cmp_ne_u32_e32 vcc_lo, 0, v5
	s_and_b32 s44, vcc_lo, exec_lo
	s_delay_alu instid0(SALU_CYCLE_1)
	s_or_b32 s42, s42, s44
	s_or_b32 exec_lo, exec_lo, s43
	v_mov_b32_e32 v7, 0
	s_and_saveexec_b32 s43, s42
	s_cbranch_execnz .LBB48_207
	s_branch .LBB48_208
.LBB48_556:
	s_mov_b32 s25, -1
	s_mov_b32 s43, 0
.LBB48_557:
                                        ; implicit-def: $vgpr3
.LBB48_558:
	s_and_b32 vcc_lo, exec_lo, s44
	s_cbranch_vccz .LBB48_562
; %bb.559:
	s_cmp_eq_u32 s42, 44
	s_cbranch_scc0 .LBB48_561
; %bb.560:
	s_wait_loadcnt 0x0
	global_load_u8 v3, v[4:5], off
	s_mov_b32 s25, 0
	s_mov_b32 s43, -1
	s_wait_loadcnt 0x0
	s_wait_xcnt 0x1
	v_lshlrev_b32_e32 v6, 23, v3
	v_cmp_ne_u32_e32 vcc_lo, 0xff, v3
	s_delay_alu instid0(VALU_DEP_2) | instskip(SKIP_1) | instid1(VALU_DEP_2)
	v_cndmask_b32_e32 v6, 0x7f800001, v6, vcc_lo
	v_cmp_ne_u32_e32 vcc_lo, 0, v3
	v_cndmask_b32_e32 v3, 0x400000, v6, vcc_lo
	s_delay_alu instid0(VALU_DEP_1) | instskip(NEXT) | instid1(VALU_DEP_1)
	v_add_nc_u32_e32 v6, 0x7fff, v3
	v_lshrrev_b32_e32 v6, 16, v6
	v_cmp_o_f32_e32 vcc_lo, v3, v3
	s_delay_alu instid0(VALU_DEP_2)
	v_cndmask_b32_e32 v3, 0x7fc0, v6, vcc_lo
	s_branch .LBB48_562
.LBB48_561:
	s_mov_b32 s25, -1
                                        ; implicit-def: $vgpr3
.LBB48_562:
	s_mov_b32 s44, 0
.LBB48_563:
	s_delay_alu instid0(SALU_CYCLE_1)
	s_and_b32 vcc_lo, exec_lo, s44
	s_cbranch_vccz .LBB48_567
; %bb.564:
	s_cmp_eq_u32 s42, 29
	s_cbranch_scc0 .LBB48_566
; %bb.565:
	global_load_b64 v[6:7], v[4:5], off
	s_mov_b32 s43, -1
	s_mov_b32 s25, 0
	s_mov_b32 s44, 0
	s_wait_loadcnt 0x0
	v_clz_i32_u32_e32 v3, v7
	s_delay_alu instid0(VALU_DEP_1) | instskip(NEXT) | instid1(VALU_DEP_1)
	v_min_u32_e32 v3, 32, v3
	v_lshlrev_b64_e32 v[6:7], v3, v[6:7]
	v_sub_nc_u32_e32 v3, 32, v3
	s_delay_alu instid0(VALU_DEP_2) | instskip(NEXT) | instid1(VALU_DEP_1)
	v_min_u32_e32 v6, 1, v6
	v_or_b32_e32 v6, v7, v6
	s_delay_alu instid0(VALU_DEP_1) | instskip(NEXT) | instid1(VALU_DEP_1)
	v_cvt_f32_u32_e32 v6, v6
	v_ldexp_f32 v3, v6, v3
	s_delay_alu instid0(VALU_DEP_1) | instskip(NEXT) | instid1(VALU_DEP_1)
	v_bfe_u32 v6, v3, 16, 1
	v_add3_u32 v3, v3, v6, 0x7fff
	s_delay_alu instid0(VALU_DEP_1)
	v_lshrrev_b32_e32 v3, 16, v3
	s_branch .LBB48_568
.LBB48_566:
	s_mov_b32 s25, -1
                                        ; implicit-def: $vgpr3
.LBB48_567:
	s_mov_b32 s44, 0
.LBB48_568:
	s_delay_alu instid0(SALU_CYCLE_1)
	s_and_b32 vcc_lo, exec_lo, s44
	s_cbranch_vccz .LBB48_586
; %bb.569:
	s_cmp_lt_i32 s42, 27
	s_cbranch_scc1 .LBB48_572
; %bb.570:
	s_cmp_gt_i32 s42, 27
	s_cbranch_scc0 .LBB48_573
; %bb.571:
	s_wait_loadcnt 0x0
	global_load_b32 v3, v[4:5], off
	s_mov_b32 s43, 0
	s_wait_loadcnt 0x0
	v_cvt_f32_u32_e32 v3, v3
	s_wait_xcnt 0x1
	s_delay_alu instid0(VALU_DEP_1) | instskip(NEXT) | instid1(VALU_DEP_1)
	v_bfe_u32 v6, v3, 16, 1
	v_add3_u32 v3, v3, v6, 0x7fff
	s_delay_alu instid0(VALU_DEP_1)
	v_lshrrev_b32_e32 v3, 16, v3
	s_branch .LBB48_574
.LBB48_572:
	s_mov_b32 s43, -1
                                        ; implicit-def: $vgpr3
	s_branch .LBB48_577
.LBB48_573:
	s_mov_b32 s43, -1
                                        ; implicit-def: $vgpr3
.LBB48_574:
	s_delay_alu instid0(SALU_CYCLE_1)
	s_and_not1_b32 vcc_lo, exec_lo, s43
	s_cbranch_vccnz .LBB48_576
; %bb.575:
	s_wait_loadcnt 0x0
	global_load_u16 v3, v[4:5], off
	s_wait_loadcnt 0x0
	v_cvt_f32_u32_e32 v3, v3
	s_wait_xcnt 0x1
	s_delay_alu instid0(VALU_DEP_1) | instskip(NEXT) | instid1(VALU_DEP_1)
	v_bfe_u32 v6, v3, 16, 1
	v_add3_u32 v3, v3, v6, 0x7fff
	s_delay_alu instid0(VALU_DEP_1)
	v_lshrrev_b32_e32 v3, 16, v3
.LBB48_576:
	s_mov_b32 s43, 0
.LBB48_577:
	s_delay_alu instid0(SALU_CYCLE_1)
	s_and_not1_b32 vcc_lo, exec_lo, s43
	s_cbranch_vccnz .LBB48_585
; %bb.578:
	s_wait_loadcnt 0x0
	global_load_u8 v3, v[4:5], off
	s_mov_b32 s43, 0
	s_mov_b32 s44, exec_lo
	s_wait_loadcnt 0x0
	v_cmpx_lt_i16_e32 0x7f, v3
	s_xor_b32 s44, exec_lo, s44
	s_cbranch_execz .LBB48_599
; %bb.579:
	s_mov_b32 s43, -1
	s_mov_b32 s46, exec_lo
	v_cmpx_eq_u16_e32 0x80, v3
; %bb.580:
	s_xor_b32 s43, exec_lo, -1
; %bb.581:
	s_or_b32 exec_lo, exec_lo, s46
	s_delay_alu instid0(SALU_CYCLE_1)
	s_and_b32 s43, s43, exec_lo
	s_or_saveexec_b32 s44, s44
	v_mov_b32_e32 v6, 0x7f800001
	s_xor_b32 exec_lo, exec_lo, s44
	s_cbranch_execnz .LBB48_600
.LBB48_582:
	s_or_b32 exec_lo, exec_lo, s44
	s_and_saveexec_b32 s44, s43
	s_cbranch_execz .LBB48_584
.LBB48_583:
	v_and_b32_e32 v6, 0xffff, v3
	s_delay_alu instid0(VALU_DEP_1) | instskip(SKIP_1) | instid1(VALU_DEP_2)
	v_and_b32_e32 v7, 7, v6
	v_bfe_u32 v10, v6, 3, 4
	v_clz_i32_u32_e32 v8, v7
	s_delay_alu instid0(VALU_DEP_2) | instskip(NEXT) | instid1(VALU_DEP_2)
	v_cmp_eq_u32_e32 vcc_lo, 0, v10
	v_min_u32_e32 v8, 32, v8
	s_delay_alu instid0(VALU_DEP_1) | instskip(NEXT) | instid1(VALU_DEP_1)
	v_subrev_nc_u32_e32 v9, 28, v8
	v_dual_lshlrev_b32 v6, v9, v6 :: v_dual_sub_nc_u32 v8, 29, v8
	s_delay_alu instid0(VALU_DEP_1) | instskip(NEXT) | instid1(VALU_DEP_1)
	v_dual_lshlrev_b32 v3, 24, v3 :: v_dual_bitop2_b32 v6, 7, v6 bitop3:0x40
	v_dual_cndmask_b32 v8, v10, v8, vcc_lo :: v_dual_cndmask_b32 v6, v7, v6, vcc_lo
	s_delay_alu instid0(VALU_DEP_2) | instskip(NEXT) | instid1(VALU_DEP_2)
	v_and_b32_e32 v3, 0x80000000, v3
	v_lshl_add_u32 v7, v8, 23, 0x3b800000
	s_delay_alu instid0(VALU_DEP_3) | instskip(NEXT) | instid1(VALU_DEP_1)
	v_lshlrev_b32_e32 v6, 20, v6
	v_or3_b32 v6, v3, v7, v6
.LBB48_584:
	s_or_b32 exec_lo, exec_lo, s44
	s_delay_alu instid0(VALU_DEP_1) | instskip(SKIP_1) | instid1(VALU_DEP_2)
	v_bfe_u32 v3, v6, 16, 1
	v_cmp_o_f32_e32 vcc_lo, v6, v6
	v_add3_u32 v3, v6, v3, 0x7fff
	s_delay_alu instid0(VALU_DEP_1) | instskip(NEXT) | instid1(VALU_DEP_1)
	v_lshrrev_b32_e32 v3, 16, v3
	v_cndmask_b32_e32 v3, 0x7fc0, v3, vcc_lo
.LBB48_585:
	s_mov_b32 s43, -1
.LBB48_586:
	s_mov_b32 s44, 0
.LBB48_587:
	s_delay_alu instid0(SALU_CYCLE_1)
	s_and_b32 vcc_lo, exec_lo, s44
	s_cbranch_vccz .LBB48_622
; %bb.588:
	s_cmp_gt_i32 s42, 22
	s_cbranch_scc0 .LBB48_598
; %bb.589:
	s_cmp_lt_i32 s42, 24
	s_cbranch_scc1 .LBB48_601
; %bb.590:
	s_cmp_gt_i32 s42, 24
	s_cbranch_scc0 .LBB48_602
; %bb.591:
	s_wait_loadcnt 0x0
	global_load_u8 v3, v[4:5], off
	s_mov_b32 s43, 0
	s_mov_b32 s44, exec_lo
	s_wait_loadcnt 0x0
	v_cmpx_lt_i16_e32 0x7f, v3
	s_xor_b32 s44, exec_lo, s44
	s_cbranch_execz .LBB48_614
; %bb.592:
	s_mov_b32 s43, -1
	s_mov_b32 s46, exec_lo
	v_cmpx_eq_u16_e32 0x80, v3
; %bb.593:
	s_xor_b32 s43, exec_lo, -1
; %bb.594:
	s_or_b32 exec_lo, exec_lo, s46
	s_delay_alu instid0(SALU_CYCLE_1)
	s_and_b32 s43, s43, exec_lo
	s_or_saveexec_b32 s44, s44
	v_mov_b32_e32 v6, 0x7f800001
	s_xor_b32 exec_lo, exec_lo, s44
	s_cbranch_execnz .LBB48_615
.LBB48_595:
	s_or_b32 exec_lo, exec_lo, s44
	s_and_saveexec_b32 s44, s43
	s_cbranch_execz .LBB48_597
.LBB48_596:
	v_and_b32_e32 v6, 0xffff, v3
	s_delay_alu instid0(VALU_DEP_1) | instskip(SKIP_1) | instid1(VALU_DEP_2)
	v_and_b32_e32 v7, 3, v6
	v_bfe_u32 v10, v6, 2, 5
	v_clz_i32_u32_e32 v8, v7
	s_delay_alu instid0(VALU_DEP_2) | instskip(NEXT) | instid1(VALU_DEP_2)
	v_cmp_eq_u32_e32 vcc_lo, 0, v10
	v_min_u32_e32 v8, 32, v8
	s_delay_alu instid0(VALU_DEP_1) | instskip(NEXT) | instid1(VALU_DEP_1)
	v_subrev_nc_u32_e32 v9, 29, v8
	v_dual_lshlrev_b32 v6, v9, v6 :: v_dual_sub_nc_u32 v8, 30, v8
	s_delay_alu instid0(VALU_DEP_1) | instskip(NEXT) | instid1(VALU_DEP_1)
	v_dual_lshlrev_b32 v3, 24, v3 :: v_dual_bitop2_b32 v6, 3, v6 bitop3:0x40
	v_dual_cndmask_b32 v8, v10, v8, vcc_lo :: v_dual_cndmask_b32 v6, v7, v6, vcc_lo
	s_delay_alu instid0(VALU_DEP_2) | instskip(NEXT) | instid1(VALU_DEP_2)
	v_and_b32_e32 v3, 0x80000000, v3
	v_lshl_add_u32 v7, v8, 23, 0x37800000
	s_delay_alu instid0(VALU_DEP_3) | instskip(NEXT) | instid1(VALU_DEP_1)
	v_lshlrev_b32_e32 v6, 21, v6
	v_or3_b32 v6, v3, v7, v6
.LBB48_597:
	s_or_b32 exec_lo, exec_lo, s44
	s_delay_alu instid0(VALU_DEP_1) | instskip(SKIP_2) | instid1(VALU_DEP_2)
	v_bfe_u32 v3, v6, 16, 1
	v_cmp_o_f32_e32 vcc_lo, v6, v6
	s_mov_b32 s43, 0
	v_add3_u32 v3, v6, v3, 0x7fff
	s_delay_alu instid0(VALU_DEP_1) | instskip(NEXT) | instid1(VALU_DEP_1)
	v_lshrrev_b32_e32 v3, 16, v3
	v_cndmask_b32_e32 v3, 0x7fc0, v3, vcc_lo
	s_branch .LBB48_603
.LBB48_598:
	s_mov_b32 s44, -1
                                        ; implicit-def: $vgpr3
	s_branch .LBB48_609
.LBB48_599:
	s_or_saveexec_b32 s44, s44
	v_mov_b32_e32 v6, 0x7f800001
	s_xor_b32 exec_lo, exec_lo, s44
	s_cbranch_execz .LBB48_582
.LBB48_600:
	v_cmp_ne_u16_e32 vcc_lo, 0, v3
	v_mov_b32_e32 v6, 0
	s_and_not1_b32 s43, s43, exec_lo
	s_and_b32 s46, vcc_lo, exec_lo
	s_delay_alu instid0(SALU_CYCLE_1)
	s_or_b32 s43, s43, s46
	s_or_b32 exec_lo, exec_lo, s44
	s_and_saveexec_b32 s44, s43
	s_cbranch_execnz .LBB48_583
	s_branch .LBB48_584
.LBB48_601:
	s_mov_b32 s43, -1
                                        ; implicit-def: $vgpr3
	s_branch .LBB48_606
.LBB48_602:
	s_mov_b32 s43, -1
                                        ; implicit-def: $vgpr3
.LBB48_603:
	s_delay_alu instid0(SALU_CYCLE_1)
	s_and_b32 vcc_lo, exec_lo, s43
	s_cbranch_vccz .LBB48_605
; %bb.604:
	s_wait_loadcnt 0x0
	global_load_u8 v3, v[4:5], off
	s_wait_loadcnt 0x0
	v_lshlrev_b32_e32 v3, 24, v3
	s_wait_xcnt 0x1
	s_delay_alu instid0(VALU_DEP_1) | instskip(NEXT) | instid1(VALU_DEP_1)
	v_and_b32_e32 v6, 0x7f000000, v3
	v_clz_i32_u32_e32 v7, v6
	v_cmp_ne_u32_e32 vcc_lo, 0, v6
	v_add_nc_u32_e32 v9, 0x1000000, v6
	s_delay_alu instid0(VALU_DEP_3) | instskip(NEXT) | instid1(VALU_DEP_1)
	v_min_u32_e32 v7, 32, v7
	v_sub_nc_u32_e64 v7, v7, 4 clamp
	s_delay_alu instid0(VALU_DEP_1) | instskip(NEXT) | instid1(VALU_DEP_1)
	v_dual_lshlrev_b32 v8, v7, v6 :: v_dual_lshlrev_b32 v7, 23, v7
	v_lshrrev_b32_e32 v8, 4, v8
	s_delay_alu instid0(VALU_DEP_1) | instskip(NEXT) | instid1(VALU_DEP_1)
	v_dual_sub_nc_u32 v7, v8, v7 :: v_dual_ashrrev_i32 v8, 8, v9
	v_add_nc_u32_e32 v7, 0x3c000000, v7
	s_delay_alu instid0(VALU_DEP_1) | instskip(NEXT) | instid1(VALU_DEP_1)
	v_and_or_b32 v7, 0x7f800000, v8, v7
	v_cndmask_b32_e32 v6, 0, v7, vcc_lo
	s_delay_alu instid0(VALU_DEP_1) | instskip(SKIP_1) | instid1(VALU_DEP_2)
	v_and_or_b32 v3, 0x80000000, v3, v6
	v_bfe_u32 v6, v6, 16, 1
	v_cmp_o_f32_e32 vcc_lo, v3, v3
	s_delay_alu instid0(VALU_DEP_2) | instskip(NEXT) | instid1(VALU_DEP_1)
	v_add3_u32 v6, v3, v6, 0x7fff
	v_lshrrev_b32_e32 v6, 16, v6
	s_delay_alu instid0(VALU_DEP_1)
	v_cndmask_b32_e32 v3, 0x7fc0, v6, vcc_lo
.LBB48_605:
	s_mov_b32 s43, 0
.LBB48_606:
	s_delay_alu instid0(SALU_CYCLE_1)
	s_and_not1_b32 vcc_lo, exec_lo, s43
	s_cbranch_vccnz .LBB48_608
; %bb.607:
	s_wait_loadcnt 0x0
	global_load_u8 v3, v[4:5], off
	s_wait_loadcnt 0x0
	s_wait_xcnt 0x1
	v_lshlrev_b32_e32 v6, 25, v3
	v_lshlrev_b16 v3, 8, v3
	s_delay_alu instid0(VALU_DEP_1) | instskip(SKIP_1) | instid1(VALU_DEP_2)
	v_and_or_b32 v8, 0x7f00, v3, 0.5
	v_bfe_i32 v3, v3, 0, 16
	v_dual_add_f32 v8, -0.5, v8 :: v_dual_lshrrev_b32 v7, 4, v6
	v_cmp_gt_u32_e32 vcc_lo, 0x8000000, v6
	s_delay_alu instid0(VALU_DEP_2) | instskip(NEXT) | instid1(VALU_DEP_1)
	v_or_b32_e32 v7, 0x70000000, v7
	v_mul_f32_e32 v7, 0x7800000, v7
	s_delay_alu instid0(VALU_DEP_1) | instskip(NEXT) | instid1(VALU_DEP_1)
	v_cndmask_b32_e32 v6, v7, v8, vcc_lo
	v_and_or_b32 v3, 0x80000000, v3, v6
	v_bfe_u32 v6, v6, 16, 1
	s_delay_alu instid0(VALU_DEP_2) | instskip(NEXT) | instid1(VALU_DEP_2)
	v_cmp_o_f32_e32 vcc_lo, v3, v3
	v_add3_u32 v6, v3, v6, 0x7fff
	s_delay_alu instid0(VALU_DEP_1) | instskip(NEXT) | instid1(VALU_DEP_1)
	v_lshrrev_b32_e32 v6, 16, v6
	v_cndmask_b32_e32 v3, 0x7fc0, v6, vcc_lo
.LBB48_608:
	s_mov_b32 s44, 0
	s_mov_b32 s43, -1
.LBB48_609:
	s_and_not1_b32 vcc_lo, exec_lo, s44
	s_cbranch_vccnz .LBB48_622
; %bb.610:
	s_cmp_gt_i32 s42, 14
	s_cbranch_scc0 .LBB48_613
; %bb.611:
	s_cmp_eq_u32 s42, 15
	s_cbranch_scc0 .LBB48_616
; %bb.612:
	s_wait_loadcnt 0x0
	global_load_u16 v3, v[4:5], off
	s_mov_b32 s43, -1
	s_mov_b32 s25, 0
	s_branch .LBB48_617
.LBB48_613:
	s_mov_b32 s44, -1
                                        ; implicit-def: $vgpr3
	s_branch .LBB48_618
.LBB48_614:
	s_or_saveexec_b32 s44, s44
	v_mov_b32_e32 v6, 0x7f800001
	s_xor_b32 exec_lo, exec_lo, s44
	s_cbranch_execz .LBB48_595
.LBB48_615:
	v_cmp_ne_u16_e32 vcc_lo, 0, v3
	v_mov_b32_e32 v6, 0
	s_and_not1_b32 s43, s43, exec_lo
	s_and_b32 s46, vcc_lo, exec_lo
	s_delay_alu instid0(SALU_CYCLE_1)
	s_or_b32 s43, s43, s46
	s_or_b32 exec_lo, exec_lo, s44
	s_and_saveexec_b32 s44, s43
	s_cbranch_execnz .LBB48_596
	s_branch .LBB48_597
.LBB48_616:
	s_mov_b32 s25, -1
                                        ; implicit-def: $vgpr3
.LBB48_617:
	s_mov_b32 s44, 0
.LBB48_618:
	s_delay_alu instid0(SALU_CYCLE_1)
	s_and_b32 vcc_lo, exec_lo, s44
	s_cbranch_vccz .LBB48_622
; %bb.619:
	s_cmp_eq_u32 s42, 11
	s_cbranch_scc0 .LBB48_621
; %bb.620:
	s_wait_loadcnt 0x0
	global_load_u8 v3, v[4:5], off
	s_mov_b32 s25, 0
	s_mov_b32 s43, -1
	s_wait_loadcnt 0x0
	v_cmp_ne_u16_e32 vcc_lo, 0, v3
	v_cndmask_b32_e64 v3, 0, 1.0, vcc_lo
	s_delay_alu instid0(VALU_DEP_1)
	v_lshrrev_b32_e32 v3, 16, v3
	s_branch .LBB48_622
.LBB48_621:
	s_mov_b32 s25, -1
                                        ; implicit-def: $vgpr3
.LBB48_622:
	s_mov_b32 s42, 0
.LBB48_623:
	s_delay_alu instid0(SALU_CYCLE_1)
	s_and_b32 vcc_lo, exec_lo, s42
	s_cbranch_vccz .LBB48_672
; %bb.624:
	s_and_b32 s0, 0xffff, s0
	s_delay_alu instid0(SALU_CYCLE_1)
	s_cmp_lt_i32 s0, 5
	s_cbranch_scc1 .LBB48_629
; %bb.625:
	s_cmp_lt_i32 s0, 8
	s_cbranch_scc1 .LBB48_630
; %bb.626:
	;; [unrolled: 3-line block ×3, first 2 shown]
	s_cmp_gt_i32 s0, 9
	s_cbranch_scc0 .LBB48_632
; %bb.628:
	global_load_b64 v[6:7], v[4:5], off
	s_mov_b32 s42, 0
	s_wait_loadcnt 0x0
	v_cvt_f32_f64_e32 v3, v[6:7]
	s_delay_alu instid0(VALU_DEP_1) | instskip(SKIP_1) | instid1(VALU_DEP_2)
	v_bfe_u32 v6, v3, 16, 1
	v_cmp_o_f32_e32 vcc_lo, v3, v3
	v_add3_u32 v6, v3, v6, 0x7fff
	s_delay_alu instid0(VALU_DEP_1) | instskip(NEXT) | instid1(VALU_DEP_1)
	v_lshrrev_b32_e32 v6, 16, v6
	v_cndmask_b32_e32 v3, 0x7fc0, v6, vcc_lo
	s_branch .LBB48_633
.LBB48_629:
	s_mov_b32 s42, -1
                                        ; implicit-def: $vgpr3
	s_branch .LBB48_651
.LBB48_630:
	s_mov_b32 s42, -1
                                        ; implicit-def: $vgpr3
	s_branch .LBB48_639
.LBB48_631:
	s_mov_b32 s42, -1
                                        ; implicit-def: $vgpr3
	s_branch .LBB48_636
.LBB48_632:
	s_mov_b32 s42, -1
                                        ; implicit-def: $vgpr3
.LBB48_633:
	s_delay_alu instid0(SALU_CYCLE_1)
	s_and_not1_b32 vcc_lo, exec_lo, s42
	s_cbranch_vccnz .LBB48_635
; %bb.634:
	s_wait_loadcnt 0x0
	global_load_b32 v3, v[4:5], off
	s_wait_loadcnt 0x0
	s_wait_xcnt 0x1
	v_bfe_u32 v6, v3, 16, 1
	v_cmp_o_f32_e32 vcc_lo, v3, v3
	s_delay_alu instid0(VALU_DEP_2) | instskip(NEXT) | instid1(VALU_DEP_1)
	v_add3_u32 v6, v3, v6, 0x7fff
	v_lshrrev_b32_e32 v6, 16, v6
	s_delay_alu instid0(VALU_DEP_1)
	v_cndmask_b32_e32 v3, 0x7fc0, v6, vcc_lo
.LBB48_635:
	s_mov_b32 s42, 0
.LBB48_636:
	s_delay_alu instid0(SALU_CYCLE_1)
	s_and_not1_b32 vcc_lo, exec_lo, s42
	s_cbranch_vccnz .LBB48_638
; %bb.637:
	s_wait_loadcnt 0x0
	global_load_b32 v3, v[4:5], off
	s_wait_loadcnt 0x0
	s_wait_xcnt 0x1
	v_cvt_f32_f16_e32 v6, v3
	v_cmp_o_f16_e32 vcc_lo, v3, v3
	s_delay_alu instid0(VALU_DEP_2) | instskip(NEXT) | instid1(VALU_DEP_1)
	v_bfe_u32 v7, v6, 16, 1
	v_add3_u32 v6, v6, v7, 0x7fff
	s_delay_alu instid0(VALU_DEP_1) | instskip(NEXT) | instid1(VALU_DEP_1)
	v_lshrrev_b32_e32 v6, 16, v6
	v_cndmask_b32_e32 v3, 0x7fc0, v6, vcc_lo
.LBB48_638:
	s_mov_b32 s42, 0
.LBB48_639:
	s_delay_alu instid0(SALU_CYCLE_1)
	s_and_not1_b32 vcc_lo, exec_lo, s42
	s_cbranch_vccnz .LBB48_650
; %bb.640:
	s_cmp_lt_i32 s0, 6
	s_cbranch_scc1 .LBB48_643
; %bb.641:
	s_cmp_gt_i32 s0, 6
	s_cbranch_scc0 .LBB48_644
; %bb.642:
	global_load_b64 v[6:7], v[4:5], off
	s_mov_b32 s42, 0
	s_wait_loadcnt 0x0
	v_cvt_f32_f64_e32 v3, v[6:7]
	s_delay_alu instid0(VALU_DEP_1) | instskip(SKIP_1) | instid1(VALU_DEP_2)
	v_bfe_u32 v6, v3, 16, 1
	v_cmp_o_f32_e32 vcc_lo, v3, v3
	v_add3_u32 v6, v3, v6, 0x7fff
	s_delay_alu instid0(VALU_DEP_1) | instskip(NEXT) | instid1(VALU_DEP_1)
	v_lshrrev_b32_e32 v6, 16, v6
	v_cndmask_b32_e32 v3, 0x7fc0, v6, vcc_lo
	s_branch .LBB48_645
.LBB48_643:
	s_mov_b32 s42, -1
                                        ; implicit-def: $vgpr3
	s_branch .LBB48_648
.LBB48_644:
	s_mov_b32 s42, -1
                                        ; implicit-def: $vgpr3
.LBB48_645:
	s_delay_alu instid0(SALU_CYCLE_1)
	s_and_not1_b32 vcc_lo, exec_lo, s42
	s_cbranch_vccnz .LBB48_647
; %bb.646:
	s_wait_loadcnt 0x0
	global_load_b32 v3, v[4:5], off
	s_wait_loadcnt 0x0
	s_wait_xcnt 0x1
	v_bfe_u32 v6, v3, 16, 1
	v_cmp_o_f32_e32 vcc_lo, v3, v3
	s_delay_alu instid0(VALU_DEP_2) | instskip(NEXT) | instid1(VALU_DEP_1)
	v_add3_u32 v6, v3, v6, 0x7fff
	v_lshrrev_b32_e32 v6, 16, v6
	s_delay_alu instid0(VALU_DEP_1)
	v_cndmask_b32_e32 v3, 0x7fc0, v6, vcc_lo
.LBB48_647:
	s_mov_b32 s42, 0
.LBB48_648:
	s_delay_alu instid0(SALU_CYCLE_1)
	s_and_not1_b32 vcc_lo, exec_lo, s42
	s_cbranch_vccnz .LBB48_650
; %bb.649:
	s_wait_loadcnt 0x0
	global_load_u16 v3, v[4:5], off
	s_wait_loadcnt 0x0
	s_wait_xcnt 0x1
	v_cvt_f32_f16_e32 v6, v3
	v_cmp_o_f16_e32 vcc_lo, v3, v3
	s_delay_alu instid0(VALU_DEP_2) | instskip(NEXT) | instid1(VALU_DEP_1)
	v_bfe_u32 v7, v6, 16, 1
	v_add3_u32 v6, v6, v7, 0x7fff
	s_delay_alu instid0(VALU_DEP_1) | instskip(NEXT) | instid1(VALU_DEP_1)
	v_lshrrev_b32_e32 v6, 16, v6
	v_cndmask_b32_e32 v3, 0x7fc0, v6, vcc_lo
.LBB48_650:
	s_mov_b32 s42, 0
.LBB48_651:
	s_delay_alu instid0(SALU_CYCLE_1)
	s_and_not1_b32 vcc_lo, exec_lo, s42
	s_cbranch_vccnz .LBB48_671
; %bb.652:
	s_cmp_lt_i32 s0, 2
	s_cbranch_scc1 .LBB48_656
; %bb.653:
	s_cmp_lt_i32 s0, 3
	s_cbranch_scc1 .LBB48_657
; %bb.654:
	s_cmp_gt_i32 s0, 3
	s_cbranch_scc0 .LBB48_658
; %bb.655:
	global_load_b64 v[6:7], v[4:5], off
	s_mov_b32 s42, 0
	s_wait_loadcnt 0x0
	v_xor_b32_e32 v3, v6, v7
	v_cls_i32_e32 v8, v7
	s_delay_alu instid0(VALU_DEP_2) | instskip(NEXT) | instid1(VALU_DEP_1)
	v_ashrrev_i32_e32 v3, 31, v3
	v_add_nc_u32_e32 v3, 32, v3
	s_delay_alu instid0(VALU_DEP_1) | instskip(NEXT) | instid1(VALU_DEP_1)
	v_add_min_u32_e64 v3, v8, -1, v3
	v_lshlrev_b64_e32 v[6:7], v3, v[6:7]
	v_sub_nc_u32_e32 v3, 32, v3
	s_delay_alu instid0(VALU_DEP_2) | instskip(NEXT) | instid1(VALU_DEP_1)
	v_min_u32_e32 v6, 1, v6
	v_or_b32_e32 v6, v7, v6
	s_delay_alu instid0(VALU_DEP_1) | instskip(NEXT) | instid1(VALU_DEP_1)
	v_cvt_f32_i32_e32 v6, v6
	v_ldexp_f32 v3, v6, v3
	s_delay_alu instid0(VALU_DEP_1) | instskip(NEXT) | instid1(VALU_DEP_1)
	v_bfe_u32 v6, v3, 16, 1
	v_add3_u32 v3, v3, v6, 0x7fff
	s_delay_alu instid0(VALU_DEP_1)
	v_lshrrev_b32_e32 v3, 16, v3
	s_branch .LBB48_659
.LBB48_656:
	s_mov_b32 s42, -1
                                        ; implicit-def: $vgpr3
	s_branch .LBB48_665
.LBB48_657:
	s_mov_b32 s42, -1
                                        ; implicit-def: $vgpr3
	s_branch .LBB48_662
.LBB48_658:
	s_mov_b32 s42, -1
                                        ; implicit-def: $vgpr3
.LBB48_659:
	s_delay_alu instid0(SALU_CYCLE_1)
	s_and_not1_b32 vcc_lo, exec_lo, s42
	s_cbranch_vccnz .LBB48_661
; %bb.660:
	s_wait_loadcnt 0x0
	global_load_b32 v3, v[4:5], off
	s_wait_loadcnt 0x0
	v_cvt_f32_i32_e32 v3, v3
	s_wait_xcnt 0x1
	s_delay_alu instid0(VALU_DEP_1) | instskip(NEXT) | instid1(VALU_DEP_1)
	v_bfe_u32 v6, v3, 16, 1
	v_add3_u32 v3, v3, v6, 0x7fff
	s_delay_alu instid0(VALU_DEP_1)
	v_lshrrev_b32_e32 v3, 16, v3
.LBB48_661:
	s_mov_b32 s42, 0
.LBB48_662:
	s_delay_alu instid0(SALU_CYCLE_1)
	s_and_not1_b32 vcc_lo, exec_lo, s42
	s_cbranch_vccnz .LBB48_664
; %bb.663:
	s_wait_loadcnt 0x0
	global_load_i16 v3, v[4:5], off
	s_wait_loadcnt 0x0
	v_cvt_f32_i32_e32 v3, v3
	s_wait_xcnt 0x1
	s_delay_alu instid0(VALU_DEP_1) | instskip(NEXT) | instid1(VALU_DEP_1)
	v_bfe_u32 v6, v3, 16, 1
	v_add3_u32 v3, v3, v6, 0x7fff
	s_delay_alu instid0(VALU_DEP_1)
	v_lshrrev_b32_e32 v3, 16, v3
.LBB48_664:
	s_mov_b32 s42, 0
.LBB48_665:
	s_delay_alu instid0(SALU_CYCLE_1)
	s_and_not1_b32 vcc_lo, exec_lo, s42
	s_cbranch_vccnz .LBB48_671
; %bb.666:
	s_cmp_gt_i32 s0, 0
	s_mov_b32 s0, 0
	s_cbranch_scc0 .LBB48_668
; %bb.667:
	s_wait_loadcnt 0x0
	global_load_i8 v3, v[4:5], off
	s_wait_loadcnt 0x0
	v_cvt_f32_i32_e32 v3, v3
	s_wait_xcnt 0x1
	s_delay_alu instid0(VALU_DEP_1) | instskip(NEXT) | instid1(VALU_DEP_1)
	v_bfe_u32 v6, v3, 16, 1
	v_add3_u32 v3, v3, v6, 0x7fff
	s_delay_alu instid0(VALU_DEP_1)
	v_lshrrev_b32_e32 v3, 16, v3
	s_branch .LBB48_669
.LBB48_668:
	s_mov_b32 s0, -1
                                        ; implicit-def: $vgpr3
.LBB48_669:
	s_delay_alu instid0(SALU_CYCLE_1)
	s_and_not1_b32 vcc_lo, exec_lo, s0
	s_cbranch_vccnz .LBB48_671
; %bb.670:
	s_wait_loadcnt 0x0
	global_load_u8 v3, v[4:5], off
	s_wait_loadcnt 0x0
	v_cvt_f32_ubyte0_e32 v3, v3
	s_wait_xcnt 0x0
	s_delay_alu instid0(VALU_DEP_1) | instskip(NEXT) | instid1(VALU_DEP_1)
	v_bfe_u32 v4, v3, 16, 1
	v_add3_u32 v3, v3, v4, 0x7fff
	s_delay_alu instid0(VALU_DEP_1)
	v_lshrrev_b32_e32 v3, 16, v3
.LBB48_671:
	s_mov_b32 s43, -1
.LBB48_672:
	s_delay_alu instid0(SALU_CYCLE_1)
	s_and_not1_b32 vcc_lo, exec_lo, s43
	s_cbranch_vccnz .LBB48_682
; %bb.673:
	s_wait_loadcnt 0x0
	v_lshlrev_b32_e32 v4, 16, v1
	s_mov_b32 s0, exec_lo
	s_delay_alu instid0(VALU_DEP_1)
	v_cmpx_nlt_f32_e32 0, v4
	s_cbranch_execz .LBB48_675
; %bb.674:
	v_lshlrev_b32_e32 v1, 16, v3
	s_delay_alu instid0(VALU_DEP_1) | instskip(NEXT) | instid1(VALU_DEP_1)
	v_mul_f32_e32 v1, v4, v1
	v_bfe_u32 v3, v1, 16, 1
	v_cmp_o_f32_e32 vcc_lo, v1, v1
	s_delay_alu instid0(VALU_DEP_2) | instskip(NEXT) | instid1(VALU_DEP_1)
	v_add3_u32 v3, v1, v3, 0x7fff
	v_lshrrev_b32_e32 v3, 16, v3
	s_delay_alu instid0(VALU_DEP_1)
	v_cndmask_b32_e32 v1, 0x7fc0, v3, vcc_lo
.LBB48_675:
	s_or_b32 exec_lo, exec_lo, s0
	v_mov_b32_e32 v3, 0
	s_and_b32 s42, s31, 0xff
	s_delay_alu instid0(SALU_CYCLE_1) | instskip(NEXT) | instid1(VALU_DEP_1)
	s_cmp_lt_i32 s42, 11
	v_add_nc_u64_e32 v[2:3], s[4:5], v[2:3]
	s_cbranch_scc1 .LBB48_683
; %bb.676:
	s_and_b32 s43, 0xffff, s42
	s_delay_alu instid0(SALU_CYCLE_1)
	s_cmp_gt_i32 s43, 25
	s_cbranch_scc0 .LBB48_684
; %bb.677:
	s_cmp_gt_i32 s43, 28
	s_cbranch_scc0 .LBB48_685
; %bb.678:
	;; [unrolled: 3-line block ×4, first 2 shown]
	s_mov_b32 s46, 0
	s_mov_b32 s0, -1
	s_cmp_eq_u32 s43, 46
	s_mov_b32 s44, 0
	s_cbranch_scc0 .LBB48_688
; %bb.681:
	v_and_b32_e32 v4, 0xffff, v1
	s_mov_b32 s44, -1
	s_mov_b32 s0, 0
	global_store_b32 v[2:3], v4, off
	s_branch .LBB48_688
.LBB48_682:
	s_mov_b32 s46, 0
	s_mov_b32 s0, s38
	s_branch .LBB48_799
.LBB48_683:
	s_mov_b32 s43, -1
	s_mov_b32 s44, 0
	s_mov_b32 s0, s38
	s_branch .LBB48_757
.LBB48_684:
	s_mov_b32 s46, -1
	s_mov_b32 s44, 0
	s_mov_b32 s0, s38
	s_branch .LBB48_715
.LBB48_685:
	s_mov_b32 s46, -1
	s_mov_b32 s44, 0
	s_mov_b32 s0, s38
	s_branch .LBB48_698
.LBB48_686:
	s_mov_b32 s46, -1
	s_mov_b32 s44, 0
	s_mov_b32 s0, s38
	s_branch .LBB48_694
.LBB48_687:
	s_mov_b32 s46, -1
	s_mov_b32 s44, 0
	s_mov_b32 s0, s38
.LBB48_688:
	s_and_b32 vcc_lo, exec_lo, s46
	s_cbranch_vccz .LBB48_693
; %bb.689:
	s_cmp_eq_u32 s43, 44
	s_mov_b32 s0, -1
	s_cbranch_scc0 .LBB48_693
; %bb.690:
	s_wait_xcnt 0x0
	v_and_b32_e32 v4, 0xffff, v1
	v_mov_b32_e32 v5, 0xff
	s_mov_b32 s44, exec_lo
	s_delay_alu instid0(VALU_DEP_2) | instskip(NEXT) | instid1(VALU_DEP_1)
	v_bfe_u32 v6, v4, 7, 8
	v_cmpx_ne_u32_e32 0xff, v6
	s_cbranch_execz .LBB48_692
; %bb.691:
	v_dual_lshlrev_b32 v5, 16, v4 :: v_dual_bitop2_b32 v7, 64, v4 bitop3:0x40
	v_lshrrev_b32_e32 v4, 7, v4
	s_delay_alu instid0(VALU_DEP_2) | instskip(NEXT) | instid1(VALU_DEP_3)
	v_and_or_b32 v5, 0x3f0000, v5, v6
	v_cmp_ne_u32_e32 vcc_lo, 0, v7
	s_delay_alu instid0(VALU_DEP_2) | instskip(SKIP_1) | instid1(SALU_CYCLE_1)
	v_cmp_ne_u32_e64 s0, 0, v5
	s_and_b32 s0, vcc_lo, s0
	v_cndmask_b32_e64 v5, 0, 1, s0
	s_delay_alu instid0(VALU_DEP_1)
	v_add_nc_u32_e32 v5, v4, v5
.LBB48_692:
	s_or_b32 exec_lo, exec_lo, s44
	s_mov_b32 s44, -1
	s_mov_b32 s0, 0
	global_store_b8 v[2:3], v5, off
.LBB48_693:
	s_mov_b32 s46, 0
.LBB48_694:
	s_delay_alu instid0(SALU_CYCLE_1)
	s_and_b32 vcc_lo, exec_lo, s46
	s_cbranch_vccz .LBB48_697
; %bb.695:
	s_cmp_eq_u32 s43, 29
	s_mov_b32 s0, -1
	s_cbranch_scc0 .LBB48_697
; %bb.696:
	s_wait_xcnt 0x0
	v_lshlrev_b32_e32 v4, 16, v1
	s_mov_b32 s44, -1
	s_mov_b32 s0, 0
	s_mov_b32 s46, 0
	s_delay_alu instid0(VALU_DEP_1) | instskip(NEXT) | instid1(VALU_DEP_1)
	v_trunc_f32_e32 v4, v4
	v_mul_f32_e32 v5, 0x2f800000, v4
	s_delay_alu instid0(VALU_DEP_1) | instskip(NEXT) | instid1(VALU_DEP_1)
	v_floor_f32_e32 v5, v5
	v_fmamk_f32 v4, v5, 0xcf800000, v4
	v_cvt_u32_f32_e32 v5, v5
	s_delay_alu instid0(VALU_DEP_2)
	v_cvt_u32_f32_e32 v4, v4
	global_store_b64 v[2:3], v[4:5], off
	s_branch .LBB48_698
.LBB48_697:
	s_mov_b32 s46, 0
.LBB48_698:
	s_delay_alu instid0(SALU_CYCLE_1)
	s_and_b32 vcc_lo, exec_lo, s46
	s_cbranch_vccz .LBB48_714
; %bb.699:
	s_cmp_lt_i32 s43, 27
	s_mov_b32 s44, -1
	s_cbranch_scc1 .LBB48_705
; %bb.700:
	s_cmp_gt_i32 s43, 27
	s_cbranch_scc0 .LBB48_702
; %bb.701:
	s_wait_xcnt 0x0
	v_lshlrev_b32_e32 v4, 16, v1
	s_mov_b32 s44, 0
	s_delay_alu instid0(VALU_DEP_1)
	v_cvt_u32_f32_e32 v4, v4
	global_store_b32 v[2:3], v4, off
.LBB48_702:
	s_and_not1_b32 vcc_lo, exec_lo, s44
	s_cbranch_vccnz .LBB48_704
; %bb.703:
	s_wait_xcnt 0x0
	v_lshlrev_b32_e32 v4, 16, v1
	s_delay_alu instid0(VALU_DEP_1)
	v_cvt_u32_f32_e32 v4, v4
	global_store_b16 v[2:3], v4, off
.LBB48_704:
	s_mov_b32 s44, 0
.LBB48_705:
	s_delay_alu instid0(SALU_CYCLE_1)
	s_and_not1_b32 vcc_lo, exec_lo, s44
	s_cbranch_vccnz .LBB48_713
; %bb.706:
	v_dual_mov_b32 v7, 0x80 :: v_dual_lshlrev_b32 v6, 16, v1
	s_mov_b32 s44, exec_lo
	s_wait_xcnt 0x0
	s_delay_alu instid0(VALU_DEP_1) | instskip(NEXT) | instid1(VALU_DEP_1)
	v_and_b32_e32 v5, 0x7fffffff, v6
	v_cmpx_gt_u32_e32 0x43800000, v5
	s_cbranch_execz .LBB48_712
; %bb.707:
	v_and_b32_e32 v4, 0xffff, v1
	v_cmp_lt_u32_e32 vcc_lo, 0x3bffffff, v5
	s_mov_b32 s46, 0
                                        ; implicit-def: $vgpr5
	s_and_saveexec_b32 s47, vcc_lo
	s_delay_alu instid0(SALU_CYCLE_1)
	s_xor_b32 s47, exec_lo, s47
	s_cbranch_execz .LBB48_827
; %bb.708:
	v_bfe_u32 v5, v4, 4, 1
	s_mov_b32 s46, exec_lo
	s_delay_alu instid0(VALU_DEP_1) | instskip(NEXT) | instid1(VALU_DEP_1)
	v_add3_u32 v5, v6, v5, 0x487ffff
                                        ; implicit-def: $vgpr6
	v_lshrrev_b32_e32 v5, 20, v5
	s_and_not1_saveexec_b32 s47, s47
	s_cbranch_execnz .LBB48_828
.LBB48_709:
	s_or_b32 exec_lo, exec_lo, s47
	v_mov_b32_e32 v7, 0
	s_and_saveexec_b32 s47, s46
.LBB48_710:
	v_lshrrev_b32_e32 v4, 8, v4
	s_delay_alu instid0(VALU_DEP_1)
	v_and_or_b32 v7, 0x80, v4, v5
.LBB48_711:
	s_or_b32 exec_lo, exec_lo, s47
.LBB48_712:
	s_delay_alu instid0(SALU_CYCLE_1)
	s_or_b32 exec_lo, exec_lo, s44
	global_store_b8 v[2:3], v7, off
.LBB48_713:
	s_mov_b32 s44, -1
.LBB48_714:
	s_mov_b32 s46, 0
.LBB48_715:
	s_delay_alu instid0(SALU_CYCLE_1)
	s_and_b32 vcc_lo, exec_lo, s46
	s_cbranch_vccz .LBB48_756
; %bb.716:
	s_cmp_gt_i32 s43, 22
	s_mov_b32 s46, -1
	s_cbranch_scc0 .LBB48_748
; %bb.717:
	s_cmp_lt_i32 s43, 24
	s_mov_b32 s44, -1
	s_cbranch_scc1 .LBB48_737
; %bb.718:
	s_cmp_gt_i32 s43, 24
	s_cbranch_scc0 .LBB48_726
; %bb.719:
	s_wait_xcnt 0x0
	v_dual_mov_b32 v7, 0x80 :: v_dual_lshlrev_b32 v6, 16, v1
	s_mov_b32 s44, exec_lo
	s_delay_alu instid0(VALU_DEP_1) | instskip(NEXT) | instid1(VALU_DEP_1)
	v_and_b32_e32 v5, 0x7fffffff, v6
	v_cmpx_gt_u32_e32 0x47800000, v5
	s_cbranch_execz .LBB48_725
; %bb.720:
	v_and_b32_e32 v4, 0xffff, v1
	v_cmp_lt_u32_e32 vcc_lo, 0x37ffffff, v5
	s_mov_b32 s46, 0
                                        ; implicit-def: $vgpr5
	s_and_saveexec_b32 s47, vcc_lo
	s_delay_alu instid0(SALU_CYCLE_1)
	s_xor_b32 s47, exec_lo, s47
	s_cbranch_execz .LBB48_959
; %bb.721:
	v_bfe_u32 v5, v4, 5, 1
	s_mov_b32 s46, exec_lo
	s_delay_alu instid0(VALU_DEP_1) | instskip(NEXT) | instid1(VALU_DEP_1)
	v_add3_u32 v5, v6, v5, 0x88fffff
                                        ; implicit-def: $vgpr6
	v_lshrrev_b32_e32 v5, 21, v5
	s_and_not1_saveexec_b32 s47, s47
	s_cbranch_execnz .LBB48_960
.LBB48_722:
	s_or_b32 exec_lo, exec_lo, s47
	v_mov_b32_e32 v7, 0
	s_and_saveexec_b32 s47, s46
.LBB48_723:
	v_lshrrev_b32_e32 v4, 8, v4
	s_delay_alu instid0(VALU_DEP_1)
	v_and_or_b32 v7, 0x80, v4, v5
.LBB48_724:
	s_or_b32 exec_lo, exec_lo, s47
.LBB48_725:
	s_delay_alu instid0(SALU_CYCLE_1)
	s_or_b32 exec_lo, exec_lo, s44
	s_mov_b32 s44, 0
	global_store_b8 v[2:3], v7, off
.LBB48_726:
	s_and_b32 vcc_lo, exec_lo, s44
	s_cbranch_vccz .LBB48_736
; %bb.727:
	v_lshlrev_b32_e32 v6, 16, v1
	s_wait_xcnt 0x0
	v_and_b32_e32 v4, 0xffff, v1
	s_mov_b32 s44, exec_lo
                                        ; implicit-def: $vgpr5
	s_delay_alu instid0(VALU_DEP_2) | instskip(NEXT) | instid1(VALU_DEP_1)
	v_and_b32_e32 v7, 0x7fffffff, v6
	v_cmpx_gt_u32_e32 0x43f00000, v7
	s_xor_b32 s44, exec_lo, s44
	s_cbranch_execz .LBB48_733
; %bb.728:
	s_mov_b32 s46, exec_lo
                                        ; implicit-def: $vgpr5
	v_cmpx_lt_u32_e32 0x3c7fffff, v7
	s_xor_b32 s46, exec_lo, s46
; %bb.729:
	v_bfe_u32 v5, v4, 4, 1
	s_delay_alu instid0(VALU_DEP_1) | instskip(NEXT) | instid1(VALU_DEP_1)
	v_add3_u32 v5, v6, v5, 0x407ffff
	v_and_b32_e32 v6, 0xff00000, v5
	v_lshrrev_b32_e32 v5, 20, v5
	s_delay_alu instid0(VALU_DEP_2) | instskip(NEXT) | instid1(VALU_DEP_2)
	v_cmp_ne_u32_e32 vcc_lo, 0x7f00000, v6
                                        ; implicit-def: $vgpr6
	v_cndmask_b32_e32 v5, 0x7e, v5, vcc_lo
; %bb.730:
	s_and_not1_saveexec_b32 s46, s46
; %bb.731:
	v_add_f32_e64 v5, 0x46800000, |v6|
; %bb.732:
	s_or_b32 exec_lo, exec_lo, s46
                                        ; implicit-def: $vgpr7
.LBB48_733:
	s_and_not1_saveexec_b32 s44, s44
; %bb.734:
	v_mov_b32_e32 v5, 0x7f
	v_cmp_lt_u32_e32 vcc_lo, 0x7f800000, v7
	s_delay_alu instid0(VALU_DEP_2)
	v_cndmask_b32_e32 v5, 0x7e, v5, vcc_lo
; %bb.735:
	s_or_b32 exec_lo, exec_lo, s44
	v_lshrrev_b32_e32 v4, 8, v4
	s_delay_alu instid0(VALU_DEP_1)
	v_and_or_b32 v4, 0x80, v4, v5
	global_store_b8 v[2:3], v4, off
.LBB48_736:
	s_mov_b32 s44, 0
.LBB48_737:
	s_delay_alu instid0(SALU_CYCLE_1)
	s_and_not1_b32 vcc_lo, exec_lo, s44
	s_cbranch_vccnz .LBB48_747
; %bb.738:
	v_lshlrev_b32_e32 v6, 16, v1
	s_wait_xcnt 0x0
	v_and_b32_e32 v4, 0xffff, v1
	s_mov_b32 s44, exec_lo
                                        ; implicit-def: $vgpr5
	s_delay_alu instid0(VALU_DEP_2) | instskip(NEXT) | instid1(VALU_DEP_1)
	v_and_b32_e32 v7, 0x7fffffff, v6
	v_cmpx_gt_u32_e32 0x47800000, v7
	s_xor_b32 s44, exec_lo, s44
	s_cbranch_execz .LBB48_744
; %bb.739:
	s_mov_b32 s46, exec_lo
                                        ; implicit-def: $vgpr5
	v_cmpx_lt_u32_e32 0x387fffff, v7
	s_xor_b32 s46, exec_lo, s46
; %bb.740:
	v_bfe_u32 v5, v4, 5, 1
	s_delay_alu instid0(VALU_DEP_1) | instskip(NEXT) | instid1(VALU_DEP_1)
	v_add3_u32 v5, v6, v5, 0x80fffff
                                        ; implicit-def: $vgpr6
	v_lshrrev_b32_e32 v5, 21, v5
; %bb.741:
	s_and_not1_saveexec_b32 s46, s46
; %bb.742:
	v_add_f32_e64 v5, 0x43000000, |v6|
; %bb.743:
	s_or_b32 exec_lo, exec_lo, s46
                                        ; implicit-def: $vgpr7
.LBB48_744:
	s_and_not1_saveexec_b32 s44, s44
; %bb.745:
	v_mov_b32_e32 v5, 0x7f
	v_cmp_lt_u32_e32 vcc_lo, 0x7f800000, v7
	s_delay_alu instid0(VALU_DEP_2)
	v_cndmask_b32_e32 v5, 0x7c, v5, vcc_lo
; %bb.746:
	s_or_b32 exec_lo, exec_lo, s44
	v_lshrrev_b32_e32 v4, 8, v4
	s_delay_alu instid0(VALU_DEP_1)
	v_and_or_b32 v4, 0x80, v4, v5
	global_store_b8 v[2:3], v4, off
.LBB48_747:
	s_mov_b32 s46, 0
	s_mov_b32 s44, -1
.LBB48_748:
	s_and_not1_b32 vcc_lo, exec_lo, s46
	s_cbranch_vccnz .LBB48_756
; %bb.749:
	s_cmp_gt_i32 s43, 14
	s_mov_b32 s46, -1
	s_cbranch_scc0 .LBB48_753
; %bb.750:
	s_cmp_eq_u32 s43, 15
	s_mov_b32 s0, -1
	s_cbranch_scc0 .LBB48_752
; %bb.751:
	s_mov_b32 s44, -1
	s_mov_b32 s0, 0
	global_store_b16 v[2:3], v1, off
.LBB48_752:
	s_mov_b32 s46, 0
.LBB48_753:
	s_delay_alu instid0(SALU_CYCLE_1)
	s_and_b32 vcc_lo, exec_lo, s46
	s_cbranch_vccz .LBB48_756
; %bb.754:
	s_cmp_eq_u32 s43, 11
	s_mov_b32 s0, -1
	s_cbranch_scc0 .LBB48_756
; %bb.755:
	s_wait_xcnt 0x0
	v_and_b32_e32 v4, 0x7fff, v1
	s_mov_b32 s0, 0
	s_mov_b32 s44, -1
	s_delay_alu instid0(VALU_DEP_1)
	v_cmp_ne_u16_e32 vcc_lo, 0, v4
	v_cndmask_b32_e64 v4, 0, 1, vcc_lo
	global_store_b8 v[2:3], v4, off
.LBB48_756:
	s_mov_b32 s43, 0
.LBB48_757:
	s_delay_alu instid0(SALU_CYCLE_1)
	s_and_b32 vcc_lo, exec_lo, s43
	s_cbranch_vccz .LBB48_796
; %bb.758:
	s_and_b32 s42, 0xffff, s42
	s_mov_b32 s43, -1
	s_cmp_lt_i32 s42, 5
	s_cbranch_scc1 .LBB48_779
; %bb.759:
	s_cmp_lt_i32 s42, 8
	s_cbranch_scc1 .LBB48_769
; %bb.760:
	;; [unrolled: 3-line block ×3, first 2 shown]
	s_cmp_gt_i32 s42, 9
	s_cbranch_scc0 .LBB48_763
; %bb.762:
	s_wait_xcnt 0x0
	v_dual_lshlrev_b32 v4, 16, v1 :: v_dual_mov_b32 v6, 0
	s_mov_b32 s43, 0
	s_delay_alu instid0(VALU_DEP_1) | instskip(NEXT) | instid1(VALU_DEP_2)
	v_cvt_f64_f32_e32 v[4:5], v4
	v_mov_b32_e32 v7, v6
	global_store_b128 v[2:3], v[4:7], off
.LBB48_763:
	s_and_not1_b32 vcc_lo, exec_lo, s43
	s_cbranch_vccnz .LBB48_765
; %bb.764:
	s_wait_xcnt 0x0
	v_dual_mov_b32 v5, 0 :: v_dual_lshlrev_b32 v4, 16, v1
	global_store_b64 v[2:3], v[4:5], off
.LBB48_765:
	s_mov_b32 s43, 0
.LBB48_766:
	s_delay_alu instid0(SALU_CYCLE_1)
	s_and_not1_b32 vcc_lo, exec_lo, s43
	s_cbranch_vccnz .LBB48_768
; %bb.767:
	s_wait_xcnt 0x0
	v_lshlrev_b32_e32 v4, 16, v1
	s_delay_alu instid0(VALU_DEP_1) | instskip(NEXT) | instid1(VALU_DEP_1)
	v_cvt_f16_f32_e32 v4, v4
	v_and_b32_e32 v4, 0xffff, v4
	global_store_b32 v[2:3], v4, off
.LBB48_768:
	s_mov_b32 s43, 0
.LBB48_769:
	s_delay_alu instid0(SALU_CYCLE_1)
	s_and_not1_b32 vcc_lo, exec_lo, s43
	s_cbranch_vccnz .LBB48_778
; %bb.770:
	s_cmp_lt_i32 s42, 6
	s_mov_b32 s43, -1
	s_cbranch_scc1 .LBB48_776
; %bb.771:
	s_cmp_gt_i32 s42, 6
	s_cbranch_scc0 .LBB48_773
; %bb.772:
	s_wait_xcnt 0x0
	v_lshlrev_b32_e32 v4, 16, v1
	s_mov_b32 s43, 0
	s_delay_alu instid0(VALU_DEP_1)
	v_cvt_f64_f32_e32 v[4:5], v4
	global_store_b64 v[2:3], v[4:5], off
.LBB48_773:
	s_and_not1_b32 vcc_lo, exec_lo, s43
	s_cbranch_vccnz .LBB48_775
; %bb.774:
	s_wait_xcnt 0x0
	v_lshlrev_b32_e32 v4, 16, v1
	global_store_b32 v[2:3], v4, off
.LBB48_775:
	s_mov_b32 s43, 0
.LBB48_776:
	s_delay_alu instid0(SALU_CYCLE_1)
	s_and_not1_b32 vcc_lo, exec_lo, s43
	s_cbranch_vccnz .LBB48_778
; %bb.777:
	s_wait_xcnt 0x0
	v_lshlrev_b32_e32 v4, 16, v1
	s_delay_alu instid0(VALU_DEP_1)
	v_cvt_f16_f32_e32 v4, v4
	global_store_b16 v[2:3], v4, off
.LBB48_778:
	s_mov_b32 s43, 0
.LBB48_779:
	s_delay_alu instid0(SALU_CYCLE_1)
	s_and_not1_b32 vcc_lo, exec_lo, s43
	s_cbranch_vccnz .LBB48_795
; %bb.780:
	s_cmp_lt_i32 s42, 2
	s_mov_b32 s43, -1
	s_cbranch_scc1 .LBB48_790
; %bb.781:
	s_cmp_lt_i32 s42, 3
	s_cbranch_scc1 .LBB48_787
; %bb.782:
	s_cmp_gt_i32 s42, 3
	s_cbranch_scc0 .LBB48_784
; %bb.783:
	s_wait_xcnt 0x0
	v_lshlrev_b32_e32 v4, 16, v1
	s_mov_b32 s43, 0
	s_delay_alu instid0(VALU_DEP_1) | instskip(NEXT) | instid1(VALU_DEP_1)
	v_trunc_f32_e32 v4, v4
	v_mul_f32_e64 v5, 0x2f800000, |v4|
	s_delay_alu instid0(VALU_DEP_1) | instskip(NEXT) | instid1(VALU_DEP_1)
	v_floor_f32_e32 v5, v5
	v_fma_f32 v6, 0xcf800000, v5, |v4|
	v_ashrrev_i32_e32 v4, 31, v4
	v_cvt_u32_f32_e32 v7, v5
	s_delay_alu instid0(VALU_DEP_3) | instskip(NEXT) | instid1(VALU_DEP_2)
	v_cvt_u32_f32_e32 v6, v6
	v_dual_mov_b32 v5, v4 :: v_dual_bitop2_b32 v7, v7, v4 bitop3:0x14
	s_delay_alu instid0(VALU_DEP_2) | instskip(NEXT) | instid1(VALU_DEP_1)
	v_xor_b32_e32 v6, v6, v4
	v_sub_nc_u64_e32 v[4:5], v[6:7], v[4:5]
	global_store_b64 v[2:3], v[4:5], off
.LBB48_784:
	s_and_not1_b32 vcc_lo, exec_lo, s43
	s_cbranch_vccnz .LBB48_786
; %bb.785:
	s_wait_xcnt 0x0
	v_lshlrev_b32_e32 v4, 16, v1
	s_delay_alu instid0(VALU_DEP_1)
	v_cvt_i32_f32_e32 v4, v4
	global_store_b32 v[2:3], v4, off
.LBB48_786:
	s_mov_b32 s43, 0
.LBB48_787:
	s_delay_alu instid0(SALU_CYCLE_1)
	s_and_not1_b32 vcc_lo, exec_lo, s43
	s_cbranch_vccnz .LBB48_789
; %bb.788:
	s_wait_xcnt 0x0
	v_lshlrev_b32_e32 v4, 16, v1
	s_delay_alu instid0(VALU_DEP_1)
	v_cvt_i32_f32_e32 v4, v4
	global_store_b16 v[2:3], v4, off
.LBB48_789:
	s_mov_b32 s43, 0
.LBB48_790:
	s_delay_alu instid0(SALU_CYCLE_1)
	s_and_not1_b32 vcc_lo, exec_lo, s43
	s_cbranch_vccnz .LBB48_795
; %bb.791:
	s_wait_xcnt 0x0
	v_lshlrev_b32_e32 v1, 16, v1
	s_cmp_gt_i32 s42, 0
	s_mov_b32 s42, -1
	s_cbranch_scc0 .LBB48_793
; %bb.792:
	s_delay_alu instid0(VALU_DEP_1)
	v_cvt_i32_f32_e32 v4, v1
	s_mov_b32 s42, 0
	global_store_b8 v[2:3], v4, off
.LBB48_793:
	s_and_not1_b32 vcc_lo, exec_lo, s42
	s_cbranch_vccnz .LBB48_795
; %bb.794:
	v_trunc_f32_e32 v1, v1
	s_wait_xcnt 0x0
	s_delay_alu instid0(VALU_DEP_1) | instskip(NEXT) | instid1(VALU_DEP_1)
	v_mul_f32_e64 v4, 0x2f800000, |v1|
	v_floor_f32_e32 v4, v4
	s_delay_alu instid0(VALU_DEP_1) | instskip(SKIP_1) | instid1(VALU_DEP_2)
	v_fma_f32 v4, 0xcf800000, v4, |v1|
	v_ashrrev_i32_e32 v1, 31, v1
	v_cvt_u32_f32_e32 v4, v4
	s_delay_alu instid0(VALU_DEP_1) | instskip(NEXT) | instid1(VALU_DEP_1)
	v_xor_b32_e32 v4, v4, v1
	v_sub_nc_u32_e32 v1, v4, v1
	global_store_b8 v[2:3], v1, off
.LBB48_795:
	s_mov_b32 s44, -1
.LBB48_796:
	s_delay_alu instid0(SALU_CYCLE_1)
	s_and_not1_b32 vcc_lo, exec_lo, s44
	s_cbranch_vccnz .LBB48_798
; %bb.797:
	v_add_nc_u32_e32 v0, 0x80, v0
	s_mov_b32 s46, -1
	s_branch .LBB48_800
.LBB48_798:
	s_mov_b32 s46, 0
.LBB48_799:
                                        ; implicit-def: $vgpr0
.LBB48_800:
	s_and_not1_b32 s42, s38, exec_lo
	s_and_b32 s0, s0, exec_lo
	s_and_b32 s25, s25, exec_lo
	s_or_b32 s43, s42, s0
	s_and_not1_b32 s0, s39, exec_lo
	s_and_not1_b32 s42, s40, exec_lo
	s_and_b32 s24, s24, exec_lo
	s_or_b32 s44, s0, s25
	s_or_b32 s42, s42, s24
	s_or_not1_b32 s47, s46, exec_lo
.LBB48_801:
	s_wait_xcnt 0x0
	s_or_b32 exec_lo, exec_lo, s45
	s_mov_b32 s25, 0
	s_mov_b32 s46, 0
	;; [unrolled: 1-line block ×3, first 2 shown]
                                        ; implicit-def: $sgpr0
                                        ; implicit-def: $vgpr6_vgpr7
                                        ; implicit-def: $vgpr4
                                        ; implicit-def: $vgpr2
                                        ; implicit-def: $vgpr8
	s_and_saveexec_b32 s45, s47
	s_cbranch_execz .LBB48_1302
; %bb.802:
	s_mov_b32 s51, -1
	s_mov_b32 s47, s42
	s_mov_b32 s49, s44
	;; [unrolled: 1-line block ×3, first 2 shown]
	s_mov_b32 s46, exec_lo
	v_cmpx_gt_i32_e64 s36, v0
	s_cbranch_execz .LBB48_1206
; %bb.803:
	s_and_not1_b32 vcc_lo, exec_lo, s29
	s_cbranch_vccnz .LBB48_809
; %bb.804:
	s_and_not1_b32 vcc_lo, exec_lo, s37
	s_cbranch_vccnz .LBB48_810
; %bb.805:
	s_wait_loadcnt 0x0
	v_dual_mov_b32 v2, 0 :: v_dual_mov_b32 v1, v0
	v_dual_mov_b32 v6, 0 :: v_dual_mov_b32 v4, 0
	s_add_co_i32 s0, s35, 1
	s_mov_b64 s[24:25], 0xffffffffffffffe8
	s_and_b32 s0, s0, 30
	s_add_nc_u64 s[24:25], s[2:3], s[24:25]
.LBB48_806:                             ; =>This Inner Loop Header: Depth=1
	s_clause 0x1
	s_load_b128 s[48:51], s[24:25], 0x1c
	s_load_b64 s[56:57], s[24:25], 0x2c
	s_add_co_i32 s0, s0, -2
	s_delay_alu instid0(SALU_CYCLE_1) | instskip(SKIP_2) | instid1(VALU_DEP_1)
	s_cmp_eq_u32 s0, 0
	s_wait_kmcnt 0x0
	v_mul_hi_u32 v3, s49, v1
	v_add_nc_u32_e32 v3, v1, v3
	s_delay_alu instid0(VALU_DEP_1) | instskip(NEXT) | instid1(VALU_DEP_1)
	v_lshrrev_b32_e32 v3, s50, v3
	v_mul_hi_u32 v5, s56, v3
	v_mul_lo_u32 v7, v3, s48
	s_clause 0x1
	s_load_b128 s[52:55], s[24:25], 0xdc
	s_load_b64 s[48:49], s[24:25], 0xec
	s_wait_xcnt 0x0
	s_add_nc_u64 s[24:25], s[24:25], 24
	s_delay_alu instid0(VALU_DEP_1) | instskip(NEXT) | instid1(VALU_DEP_1)
	v_dual_add_nc_u32 v5, v3, v5 :: v_dual_sub_nc_u32 v7, v1, v7
	v_lshrrev_b32_e32 v1, s57, v5
	s_wait_kmcnt 0x0
	s_delay_alu instid0(VALU_DEP_2) | instskip(NEXT) | instid1(VALU_DEP_2)
	v_mad_u32 v2, v7, s52, v2
	v_mul_lo_u32 v5, v1, s51
	v_mad_u32 v4, v7, s54, v4
	v_mad_u32 v6, v7, s53, v6
	s_delay_alu instid0(VALU_DEP_3) | instskip(NEXT) | instid1(VALU_DEP_1)
	v_sub_nc_u32_e32 v3, v3, v5
	v_mad_u32 v2, v3, s55, v2
	s_delay_alu instid0(VALU_DEP_4) | instskip(NEXT) | instid1(VALU_DEP_4)
	v_mad_u32 v4, v3, s49, v4
	v_mad_u32 v6, v3, s48, v6
	s_cbranch_scc0 .LBB48_806
; %bb.807:
	s_bitcmp1_b32 s35, 0
	s_cselect_b32 s0, -1, 0
	s_delay_alu instid0(SALU_CYCLE_1)
	s_and_b32 vcc_lo, exec_lo, s0
	s_cbranch_vccnz .LBB48_811
; %bb.808:
	s_clause 0x1
	s_load_b96 s[48:50], s[24:25], 0x1c
	s_load_b96 s[52:54], s[24:25], 0xdc
	s_wait_kmcnt 0x0
	v_mul_hi_u32 v3, s49, v1
	s_delay_alu instid0(VALU_DEP_1) | instskip(NEXT) | instid1(VALU_DEP_1)
	v_add_nc_u32_e32 v3, v1, v3
	v_lshrrev_b32_e32 v3, s50, v3
	s_delay_alu instid0(VALU_DEP_1) | instskip(NEXT) | instid1(VALU_DEP_1)
	v_mul_lo_u32 v3, v3, s48
	v_sub_nc_u32_e32 v1, v1, v3
	s_delay_alu instid0(VALU_DEP_1)
	v_mad_u32 v2, v1, s52, v2
	v_mad_u32 v6, v1, s53, v6
	;; [unrolled: 1-line block ×3, first 2 shown]
	s_branch .LBB48_811
.LBB48_809:
	s_mov_b32 s0, -1
                                        ; implicit-def: $vgpr4
                                        ; implicit-def: $vgpr6
                                        ; implicit-def: $vgpr2
	s_branch .LBB48_812
.LBB48_810:
	v_dual_mov_b32 v4, 0 :: v_dual_mov_b32 v6, 0
	v_mov_b32_e32 v2, 0
.LBB48_811:
	s_mov_b32 s0, 0
.LBB48_812:
	s_delay_alu instid0(SALU_CYCLE_1)
	s_and_not1_b32 vcc_lo, exec_lo, s0
	s_cbranch_vccnz .LBB48_815
; %bb.813:
	s_wait_loadcnt 0x0
	v_mov_b32_e32 v1, 0
	s_and_not1_b32 vcc_lo, exec_lo, s34
	s_delay_alu instid0(VALU_DEP_1) | instskip(NEXT) | instid1(VALU_DEP_1)
	v_mul_u64_e32 v[2:3], s[18:19], v[0:1]
	v_add_nc_u32_e32 v2, v0, v3
	s_delay_alu instid0(VALU_DEP_1) | instskip(NEXT) | instid1(VALU_DEP_1)
	v_lshrrev_b32_e32 v8, s10, v2
	v_mul_lo_u32 v2, v8, s8
	s_delay_alu instid0(VALU_DEP_1) | instskip(NEXT) | instid1(VALU_DEP_1)
	v_sub_nc_u32_e32 v3, v0, v2
	v_mul_lo_u32 v2, v3, s12
	v_mul_lo_u32 v4, v3, s14
	;; [unrolled: 1-line block ×3, first 2 shown]
	s_cbranch_vccnz .LBB48_815
; %bb.814:
	v_mov_b32_e32 v9, v1
	s_delay_alu instid0(VALU_DEP_1) | instskip(NEXT) | instid1(VALU_DEP_1)
	v_mul_u64_e32 v[10:11], s[22:23], v[8:9]
	v_add_nc_u32_e32 v1, v8, v11
	s_delay_alu instid0(VALU_DEP_1) | instskip(NEXT) | instid1(VALU_DEP_1)
	v_lshrrev_b32_e32 v1, s1, v1
	v_mul_lo_u32 v1, v1, s11
	s_delay_alu instid0(VALU_DEP_1) | instskip(NEXT) | instid1(VALU_DEP_1)
	v_sub_nc_u32_e32 v1, v8, v1
	v_mad_u32 v2, v1, s15, v2
	v_mad_u32 v6, v1, s20, v6
	;; [unrolled: 1-line block ×3, first 2 shown]
.LBB48_815:
	v_mov_b32_e32 v7, 0
	s_and_b32 s0, s33, 0xff
	s_delay_alu instid0(SALU_CYCLE_1) | instskip(NEXT) | instid1(VALU_DEP_1)
	s_cmp_lt_i32 s0, 11
	v_add_nc_u64_e32 v[6:7], s[6:7], v[6:7]
	s_cbranch_scc1 .LBB48_822
; %bb.816:
	s_and_b32 s25, 0xffff, s0
	s_delay_alu instid0(SALU_CYCLE_1)
	s_cmp_gt_i32 s25, 25
	s_cbranch_scc0 .LBB48_823
; %bb.817:
	s_cmp_gt_i32 s25, 28
	s_cbranch_scc0 .LBB48_824
; %bb.818:
	;; [unrolled: 3-line block ×4, first 2 shown]
	s_cmp_eq_u32 s25, 46
	s_mov_b32 s48, 0
	s_cbranch_scc0 .LBB48_829
; %bb.821:
	s_wait_loadcnt 0x0
	global_load_b32 v1, v[6:7], off
	s_mov_b32 s47, -1
	s_mov_b32 s24, 0
	s_branch .LBB48_831
.LBB48_822:
	s_mov_b32 s25, -1
	s_mov_b32 s47, 0
	s_mov_b32 s24, s42
                                        ; implicit-def: $vgpr1
	s_branch .LBB48_896
.LBB48_823:
	s_mov_b32 s48, -1
	s_mov_b32 s47, 0
	s_mov_b32 s24, s42
                                        ; implicit-def: $vgpr1
	s_branch .LBB48_860
.LBB48_824:
	s_mov_b32 s48, -1
	s_mov_b32 s47, 0
	s_mov_b32 s24, s42
                                        ; implicit-def: $vgpr1
	s_branch .LBB48_841
.LBB48_825:
	s_mov_b32 s48, -1
	s_mov_b32 s47, 0
	s_mov_b32 s24, s42
                                        ; implicit-def: $vgpr1
	s_branch .LBB48_836
.LBB48_826:
	s_mov_b32 s48, -1
	s_mov_b32 s47, 0
	s_mov_b32 s24, s42
	s_branch .LBB48_830
.LBB48_827:
	s_and_not1_saveexec_b32 s47, s47
	s_cbranch_execz .LBB48_709
.LBB48_828:
	v_add_f32_e64 v5, 0x46000000, |v6|
	s_and_not1_b32 s46, s46, exec_lo
	s_delay_alu instid0(VALU_DEP_1) | instskip(NEXT) | instid1(VALU_DEP_1)
	v_and_b32_e32 v5, 0xff, v5
	v_cmp_ne_u32_e32 vcc_lo, 0, v5
	s_and_b32 s48, vcc_lo, exec_lo
	s_delay_alu instid0(SALU_CYCLE_1)
	s_or_b32 s46, s46, s48
	s_or_b32 exec_lo, exec_lo, s47
	v_mov_b32_e32 v7, 0
	s_and_saveexec_b32 s47, s46
	s_cbranch_execnz .LBB48_710
	s_branch .LBB48_711
.LBB48_829:
	s_mov_b32 s24, -1
	s_mov_b32 s47, 0
.LBB48_830:
                                        ; implicit-def: $vgpr1
.LBB48_831:
	s_and_b32 vcc_lo, exec_lo, s48
	s_cbranch_vccz .LBB48_835
; %bb.832:
	s_cmp_eq_u32 s25, 44
	s_cbranch_scc0 .LBB48_834
; %bb.833:
	s_wait_loadcnt 0x0
	global_load_u8 v1, v[6:7], off
	s_mov_b32 s24, 0
	s_mov_b32 s47, -1
	s_wait_loadcnt 0x0
	v_lshlrev_b32_e32 v3, 23, v1
	v_cmp_ne_u32_e32 vcc_lo, 0xff, v1
	s_delay_alu instid0(VALU_DEP_2) | instskip(SKIP_1) | instid1(VALU_DEP_2)
	v_cndmask_b32_e32 v3, 0x7f800001, v3, vcc_lo
	v_cmp_ne_u32_e32 vcc_lo, 0, v1
	v_cndmask_b32_e32 v1, 0x400000, v3, vcc_lo
	s_delay_alu instid0(VALU_DEP_1) | instskip(SKIP_1) | instid1(VALU_DEP_2)
	v_add_nc_u32_e32 v3, 0x7fff, v1
	v_cmp_o_f32_e32 vcc_lo, v1, v1
	v_lshrrev_b32_e32 v3, 16, v3
	s_delay_alu instid0(VALU_DEP_1)
	v_cndmask_b32_e32 v1, 0x7fc0, v3, vcc_lo
	s_branch .LBB48_835
.LBB48_834:
	s_mov_b32 s24, -1
                                        ; implicit-def: $vgpr1
.LBB48_835:
	s_mov_b32 s48, 0
.LBB48_836:
	s_delay_alu instid0(SALU_CYCLE_1)
	s_and_b32 vcc_lo, exec_lo, s48
	s_cbranch_vccz .LBB48_840
; %bb.837:
	s_cmp_eq_u32 s25, 29
	s_cbranch_scc0 .LBB48_839
; %bb.838:
	global_load_b64 v[8:9], v[6:7], off
	s_mov_b32 s47, -1
	s_mov_b32 s24, 0
	s_mov_b32 s48, 0
	s_wait_loadcnt 0x0
	v_clz_i32_u32_e32 v1, v9
	s_delay_alu instid0(VALU_DEP_1) | instskip(NEXT) | instid1(VALU_DEP_1)
	v_min_u32_e32 v1, 32, v1
	v_lshlrev_b64_e32 v[8:9], v1, v[8:9]
	v_sub_nc_u32_e32 v1, 32, v1
	s_delay_alu instid0(VALU_DEP_2) | instskip(NEXT) | instid1(VALU_DEP_1)
	v_min_u32_e32 v3, 1, v8
	v_or_b32_e32 v3, v9, v3
	s_delay_alu instid0(VALU_DEP_1) | instskip(NEXT) | instid1(VALU_DEP_1)
	v_cvt_f32_u32_e32 v3, v3
	v_ldexp_f32 v1, v3, v1
	s_delay_alu instid0(VALU_DEP_1) | instskip(NEXT) | instid1(VALU_DEP_1)
	v_bfe_u32 v3, v1, 16, 1
	v_add3_u32 v1, v1, v3, 0x7fff
	s_delay_alu instid0(VALU_DEP_1)
	v_lshrrev_b32_e32 v1, 16, v1
	s_branch .LBB48_841
.LBB48_839:
	s_mov_b32 s24, -1
                                        ; implicit-def: $vgpr1
.LBB48_840:
	s_mov_b32 s48, 0
.LBB48_841:
	s_delay_alu instid0(SALU_CYCLE_1)
	s_and_b32 vcc_lo, exec_lo, s48
	s_cbranch_vccz .LBB48_859
; %bb.842:
	s_cmp_lt_i32 s25, 27
	s_cbranch_scc1 .LBB48_845
; %bb.843:
	s_cmp_gt_i32 s25, 27
	s_cbranch_scc0 .LBB48_846
; %bb.844:
	s_wait_loadcnt 0x0
	global_load_b32 v1, v[6:7], off
	s_mov_b32 s47, 0
	s_wait_loadcnt 0x0
	v_cvt_f32_u32_e32 v1, v1
	s_delay_alu instid0(VALU_DEP_1) | instskip(NEXT) | instid1(VALU_DEP_1)
	v_bfe_u32 v3, v1, 16, 1
	v_add3_u32 v1, v1, v3, 0x7fff
	s_delay_alu instid0(VALU_DEP_1)
	v_lshrrev_b32_e32 v1, 16, v1
	s_branch .LBB48_847
.LBB48_845:
	s_mov_b32 s47, -1
                                        ; implicit-def: $vgpr1
	s_branch .LBB48_850
.LBB48_846:
	s_mov_b32 s47, -1
                                        ; implicit-def: $vgpr1
.LBB48_847:
	s_delay_alu instid0(SALU_CYCLE_1)
	s_and_not1_b32 vcc_lo, exec_lo, s47
	s_cbranch_vccnz .LBB48_849
; %bb.848:
	s_wait_loadcnt 0x0
	global_load_u16 v1, v[6:7], off
	s_wait_loadcnt 0x0
	v_cvt_f32_u32_e32 v1, v1
	s_delay_alu instid0(VALU_DEP_1) | instskip(NEXT) | instid1(VALU_DEP_1)
	v_bfe_u32 v3, v1, 16, 1
	v_add3_u32 v1, v1, v3, 0x7fff
	s_delay_alu instid0(VALU_DEP_1)
	v_lshrrev_b32_e32 v1, 16, v1
.LBB48_849:
	s_mov_b32 s47, 0
.LBB48_850:
	s_delay_alu instid0(SALU_CYCLE_1)
	s_and_not1_b32 vcc_lo, exec_lo, s47
	s_cbranch_vccnz .LBB48_858
; %bb.851:
	s_wait_loadcnt 0x0
	global_load_u8 v1, v[6:7], off
	s_mov_b32 s47, 0
	s_mov_b32 s48, exec_lo
	s_wait_loadcnt 0x0
	v_cmpx_lt_i16_e32 0x7f, v1
	s_xor_b32 s48, exec_lo, s48
	s_cbranch_execz .LBB48_872
; %bb.852:
	s_mov_b32 s47, -1
	s_mov_b32 s49, exec_lo
	v_cmpx_eq_u16_e32 0x80, v1
; %bb.853:
	s_xor_b32 s47, exec_lo, -1
; %bb.854:
	s_or_b32 exec_lo, exec_lo, s49
	s_delay_alu instid0(SALU_CYCLE_1)
	s_and_b32 s47, s47, exec_lo
	s_or_saveexec_b32 s48, s48
	v_mov_b32_e32 v3, 0x7f800001
	s_xor_b32 exec_lo, exec_lo, s48
	s_cbranch_execnz .LBB48_873
.LBB48_855:
	s_or_b32 exec_lo, exec_lo, s48
	s_and_saveexec_b32 s48, s47
	s_cbranch_execz .LBB48_857
.LBB48_856:
	v_and_b32_e32 v3, 0xffff, v1
	s_delay_alu instid0(VALU_DEP_1) | instskip(SKIP_1) | instid1(VALU_DEP_2)
	v_and_b32_e32 v5, 7, v3
	v_bfe_u32 v10, v3, 3, 4
	v_clz_i32_u32_e32 v8, v5
	s_delay_alu instid0(VALU_DEP_2) | instskip(NEXT) | instid1(VALU_DEP_2)
	v_cmp_eq_u32_e32 vcc_lo, 0, v10
	v_min_u32_e32 v8, 32, v8
	s_delay_alu instid0(VALU_DEP_1) | instskip(NEXT) | instid1(VALU_DEP_1)
	v_subrev_nc_u32_e32 v9, 28, v8
	v_dual_lshlrev_b32 v3, v9, v3 :: v_dual_sub_nc_u32 v8, 29, v8
	s_delay_alu instid0(VALU_DEP_1) | instskip(NEXT) | instid1(VALU_DEP_1)
	v_dual_lshlrev_b32 v1, 24, v1 :: v_dual_bitop2_b32 v3, 7, v3 bitop3:0x40
	v_dual_cndmask_b32 v8, v10, v8 :: v_dual_cndmask_b32 v3, v5, v3
	s_delay_alu instid0(VALU_DEP_2) | instskip(NEXT) | instid1(VALU_DEP_2)
	v_and_b32_e32 v1, 0x80000000, v1
	v_lshl_add_u32 v5, v8, 23, 0x3b800000
	s_delay_alu instid0(VALU_DEP_3) | instskip(NEXT) | instid1(VALU_DEP_1)
	v_lshlrev_b32_e32 v3, 20, v3
	v_or3_b32 v3, v1, v5, v3
.LBB48_857:
	s_or_b32 exec_lo, exec_lo, s48
	s_delay_alu instid0(VALU_DEP_1) | instskip(SKIP_1) | instid1(VALU_DEP_2)
	v_bfe_u32 v1, v3, 16, 1
	v_cmp_o_f32_e32 vcc_lo, v3, v3
	v_add3_u32 v1, v3, v1, 0x7fff
	s_delay_alu instid0(VALU_DEP_1) | instskip(NEXT) | instid1(VALU_DEP_1)
	v_lshrrev_b32_e32 v1, 16, v1
	v_cndmask_b32_e32 v1, 0x7fc0, v1, vcc_lo
.LBB48_858:
	s_mov_b32 s47, -1
.LBB48_859:
	s_mov_b32 s48, 0
.LBB48_860:
	s_delay_alu instid0(SALU_CYCLE_1)
	s_and_b32 vcc_lo, exec_lo, s48
	s_cbranch_vccz .LBB48_895
; %bb.861:
	s_cmp_gt_i32 s25, 22
	s_cbranch_scc0 .LBB48_871
; %bb.862:
	s_cmp_lt_i32 s25, 24
	s_cbranch_scc1 .LBB48_874
; %bb.863:
	s_cmp_gt_i32 s25, 24
	s_cbranch_scc0 .LBB48_875
; %bb.864:
	s_wait_loadcnt 0x0
	global_load_u8 v1, v[6:7], off
	s_mov_b32 s47, 0
	s_mov_b32 s48, exec_lo
	s_wait_loadcnt 0x0
	v_cmpx_lt_i16_e32 0x7f, v1
	s_xor_b32 s48, exec_lo, s48
	s_cbranch_execz .LBB48_887
; %bb.865:
	s_mov_b32 s47, -1
	s_mov_b32 s49, exec_lo
	v_cmpx_eq_u16_e32 0x80, v1
; %bb.866:
	s_xor_b32 s47, exec_lo, -1
; %bb.867:
	s_or_b32 exec_lo, exec_lo, s49
	s_delay_alu instid0(SALU_CYCLE_1)
	s_and_b32 s47, s47, exec_lo
	s_or_saveexec_b32 s48, s48
	v_mov_b32_e32 v3, 0x7f800001
	s_xor_b32 exec_lo, exec_lo, s48
	s_cbranch_execnz .LBB48_888
.LBB48_868:
	s_or_b32 exec_lo, exec_lo, s48
	s_and_saveexec_b32 s48, s47
	s_cbranch_execz .LBB48_870
.LBB48_869:
	v_and_b32_e32 v3, 0xffff, v1
	s_delay_alu instid0(VALU_DEP_1) | instskip(SKIP_1) | instid1(VALU_DEP_2)
	v_and_b32_e32 v5, 3, v3
	v_bfe_u32 v10, v3, 2, 5
	v_clz_i32_u32_e32 v8, v5
	s_delay_alu instid0(VALU_DEP_2) | instskip(NEXT) | instid1(VALU_DEP_2)
	v_cmp_eq_u32_e32 vcc_lo, 0, v10
	v_min_u32_e32 v8, 32, v8
	s_delay_alu instid0(VALU_DEP_1) | instskip(NEXT) | instid1(VALU_DEP_1)
	v_subrev_nc_u32_e32 v9, 29, v8
	v_dual_lshlrev_b32 v3, v9, v3 :: v_dual_sub_nc_u32 v8, 30, v8
	s_delay_alu instid0(VALU_DEP_1) | instskip(NEXT) | instid1(VALU_DEP_1)
	v_dual_lshlrev_b32 v1, 24, v1 :: v_dual_bitop2_b32 v3, 3, v3 bitop3:0x40
	v_dual_cndmask_b32 v8, v10, v8 :: v_dual_cndmask_b32 v3, v5, v3
	s_delay_alu instid0(VALU_DEP_2) | instskip(NEXT) | instid1(VALU_DEP_2)
	v_and_b32_e32 v1, 0x80000000, v1
	v_lshl_add_u32 v5, v8, 23, 0x37800000
	s_delay_alu instid0(VALU_DEP_3) | instskip(NEXT) | instid1(VALU_DEP_1)
	v_lshlrev_b32_e32 v3, 21, v3
	v_or3_b32 v3, v1, v5, v3
.LBB48_870:
	s_or_b32 exec_lo, exec_lo, s48
	s_delay_alu instid0(VALU_DEP_1) | instskip(SKIP_2) | instid1(VALU_DEP_2)
	v_bfe_u32 v1, v3, 16, 1
	v_cmp_o_f32_e32 vcc_lo, v3, v3
	s_mov_b32 s47, 0
	v_add3_u32 v1, v3, v1, 0x7fff
	s_delay_alu instid0(VALU_DEP_1) | instskip(NEXT) | instid1(VALU_DEP_1)
	v_lshrrev_b32_e32 v1, 16, v1
	v_cndmask_b32_e32 v1, 0x7fc0, v1, vcc_lo
	s_branch .LBB48_876
.LBB48_871:
	s_mov_b32 s48, -1
                                        ; implicit-def: $vgpr1
	s_branch .LBB48_882
.LBB48_872:
	s_or_saveexec_b32 s48, s48
	v_mov_b32_e32 v3, 0x7f800001
	s_xor_b32 exec_lo, exec_lo, s48
	s_cbranch_execz .LBB48_855
.LBB48_873:
	v_cmp_ne_u16_e32 vcc_lo, 0, v1
	v_mov_b32_e32 v3, 0
	s_and_not1_b32 s47, s47, exec_lo
	s_and_b32 s49, vcc_lo, exec_lo
	s_delay_alu instid0(SALU_CYCLE_1)
	s_or_b32 s47, s47, s49
	s_or_b32 exec_lo, exec_lo, s48
	s_and_saveexec_b32 s48, s47
	s_cbranch_execnz .LBB48_856
	s_branch .LBB48_857
.LBB48_874:
	s_mov_b32 s47, -1
                                        ; implicit-def: $vgpr1
	s_branch .LBB48_879
.LBB48_875:
	s_mov_b32 s47, -1
                                        ; implicit-def: $vgpr1
.LBB48_876:
	s_delay_alu instid0(SALU_CYCLE_1)
	s_and_b32 vcc_lo, exec_lo, s47
	s_cbranch_vccz .LBB48_878
; %bb.877:
	s_wait_loadcnt 0x0
	global_load_u8 v1, v[6:7], off
	s_wait_loadcnt 0x0
	v_lshlrev_b32_e32 v1, 24, v1
	s_delay_alu instid0(VALU_DEP_1) | instskip(NEXT) | instid1(VALU_DEP_1)
	v_and_b32_e32 v3, 0x7f000000, v1
	v_clz_i32_u32_e32 v5, v3
	v_add_nc_u32_e32 v9, 0x1000000, v3
	v_cmp_ne_u32_e32 vcc_lo, 0, v3
	s_delay_alu instid0(VALU_DEP_3) | instskip(NEXT) | instid1(VALU_DEP_1)
	v_min_u32_e32 v5, 32, v5
	v_sub_nc_u32_e64 v5, v5, 4 clamp
	s_delay_alu instid0(VALU_DEP_1) | instskip(NEXT) | instid1(VALU_DEP_1)
	v_dual_lshlrev_b32 v8, v5, v3 :: v_dual_lshlrev_b32 v5, 23, v5
	v_lshrrev_b32_e32 v8, 4, v8
	s_delay_alu instid0(VALU_DEP_1) | instskip(SKIP_1) | instid1(VALU_DEP_2)
	v_sub_nc_u32_e32 v5, v8, v5
	v_ashrrev_i32_e32 v8, 8, v9
	v_add_nc_u32_e32 v5, 0x3c000000, v5
	s_delay_alu instid0(VALU_DEP_1) | instskip(NEXT) | instid1(VALU_DEP_1)
	v_and_or_b32 v5, 0x7f800000, v8, v5
	v_cndmask_b32_e32 v3, 0, v5, vcc_lo
	s_delay_alu instid0(VALU_DEP_1) | instskip(SKIP_1) | instid1(VALU_DEP_2)
	v_and_or_b32 v1, 0x80000000, v1, v3
	v_bfe_u32 v3, v3, 16, 1
	v_cmp_o_f32_e32 vcc_lo, v1, v1
	s_delay_alu instid0(VALU_DEP_2) | instskip(NEXT) | instid1(VALU_DEP_1)
	v_add3_u32 v3, v1, v3, 0x7fff
	v_lshrrev_b32_e32 v3, 16, v3
	s_delay_alu instid0(VALU_DEP_1)
	v_cndmask_b32_e32 v1, 0x7fc0, v3, vcc_lo
.LBB48_878:
	s_mov_b32 s47, 0
.LBB48_879:
	s_delay_alu instid0(SALU_CYCLE_1)
	s_and_not1_b32 vcc_lo, exec_lo, s47
	s_cbranch_vccnz .LBB48_881
; %bb.880:
	s_wait_loadcnt 0x0
	global_load_u8 v1, v[6:7], off
	s_wait_loadcnt 0x0
	v_lshlrev_b32_e32 v3, 25, v1
	v_lshlrev_b16 v1, 8, v1
	s_delay_alu instid0(VALU_DEP_1) | instskip(SKIP_1) | instid1(VALU_DEP_2)
	v_and_or_b32 v8, 0x7f00, v1, 0.5
	v_bfe_i32 v1, v1, 0, 16
	v_dual_add_f32 v8, -0.5, v8 :: v_dual_lshrrev_b32 v5, 4, v3
	v_cmp_gt_u32_e32 vcc_lo, 0x8000000, v3
	s_delay_alu instid0(VALU_DEP_2) | instskip(NEXT) | instid1(VALU_DEP_1)
	v_or_b32_e32 v5, 0x70000000, v5
	v_mul_f32_e32 v5, 0x7800000, v5
	s_delay_alu instid0(VALU_DEP_1) | instskip(NEXT) | instid1(VALU_DEP_1)
	v_cndmask_b32_e32 v3, v5, v8, vcc_lo
	v_and_or_b32 v1, 0x80000000, v1, v3
	v_bfe_u32 v3, v3, 16, 1
	s_delay_alu instid0(VALU_DEP_2) | instskip(NEXT) | instid1(VALU_DEP_2)
	v_cmp_o_f32_e32 vcc_lo, v1, v1
	v_add3_u32 v3, v1, v3, 0x7fff
	s_delay_alu instid0(VALU_DEP_1) | instskip(NEXT) | instid1(VALU_DEP_1)
	v_lshrrev_b32_e32 v3, 16, v3
	v_cndmask_b32_e32 v1, 0x7fc0, v3, vcc_lo
.LBB48_881:
	s_mov_b32 s48, 0
	s_mov_b32 s47, -1
.LBB48_882:
	s_and_not1_b32 vcc_lo, exec_lo, s48
	s_cbranch_vccnz .LBB48_895
; %bb.883:
	s_cmp_gt_i32 s25, 14
	s_cbranch_scc0 .LBB48_886
; %bb.884:
	s_cmp_eq_u32 s25, 15
	s_cbranch_scc0 .LBB48_889
; %bb.885:
	s_wait_loadcnt 0x0
	global_load_u16 v1, v[6:7], off
	s_mov_b32 s47, -1
	s_mov_b32 s24, 0
	s_branch .LBB48_890
.LBB48_886:
	s_mov_b32 s48, -1
                                        ; implicit-def: $vgpr1
	s_branch .LBB48_891
.LBB48_887:
	s_or_saveexec_b32 s48, s48
	v_mov_b32_e32 v3, 0x7f800001
	s_xor_b32 exec_lo, exec_lo, s48
	s_cbranch_execz .LBB48_868
.LBB48_888:
	v_cmp_ne_u16_e32 vcc_lo, 0, v1
	v_mov_b32_e32 v3, 0
	s_and_not1_b32 s47, s47, exec_lo
	s_and_b32 s49, vcc_lo, exec_lo
	s_delay_alu instid0(SALU_CYCLE_1)
	s_or_b32 s47, s47, s49
	s_or_b32 exec_lo, exec_lo, s48
	s_and_saveexec_b32 s48, s47
	s_cbranch_execnz .LBB48_869
	s_branch .LBB48_870
.LBB48_889:
	s_mov_b32 s24, -1
                                        ; implicit-def: $vgpr1
.LBB48_890:
	s_mov_b32 s48, 0
.LBB48_891:
	s_delay_alu instid0(SALU_CYCLE_1)
	s_and_b32 vcc_lo, exec_lo, s48
	s_cbranch_vccz .LBB48_895
; %bb.892:
	s_cmp_eq_u32 s25, 11
	s_cbranch_scc0 .LBB48_894
; %bb.893:
	s_wait_loadcnt 0x0
	global_load_u8 v1, v[6:7], off
	s_mov_b32 s24, 0
	s_mov_b32 s47, -1
	s_wait_loadcnt 0x0
	v_cmp_ne_u16_e32 vcc_lo, 0, v1
	v_cndmask_b32_e64 v1, 0, 1.0, vcc_lo
	s_delay_alu instid0(VALU_DEP_1)
	v_lshrrev_b32_e32 v1, 16, v1
	s_branch .LBB48_895
.LBB48_894:
	s_mov_b32 s24, -1
                                        ; implicit-def: $vgpr1
.LBB48_895:
	s_mov_b32 s25, 0
.LBB48_896:
	s_delay_alu instid0(SALU_CYCLE_1)
	s_and_b32 vcc_lo, exec_lo, s25
	s_cbranch_vccz .LBB48_945
; %bb.897:
	s_and_b32 s0, 0xffff, s0
	s_delay_alu instid0(SALU_CYCLE_1)
	s_cmp_lt_i32 s0, 5
	s_cbranch_scc1 .LBB48_902
; %bb.898:
	s_cmp_lt_i32 s0, 8
	s_cbranch_scc1 .LBB48_903
; %bb.899:
	s_cmp_lt_i32 s0, 9
	s_cbranch_scc1 .LBB48_904
; %bb.900:
	s_cmp_gt_i32 s0, 9
	s_cbranch_scc0 .LBB48_905
; %bb.901:
	global_load_b64 v[8:9], v[6:7], off
	s_mov_b32 s25, 0
	s_wait_loadcnt 0x0
	v_cvt_f32_f64_e32 v1, v[8:9]
	s_delay_alu instid0(VALU_DEP_1) | instskip(SKIP_1) | instid1(VALU_DEP_2)
	v_bfe_u32 v3, v1, 16, 1
	v_cmp_o_f32_e32 vcc_lo, v1, v1
	v_add3_u32 v3, v1, v3, 0x7fff
	s_delay_alu instid0(VALU_DEP_1) | instskip(NEXT) | instid1(VALU_DEP_1)
	v_lshrrev_b32_e32 v3, 16, v3
	v_cndmask_b32_e32 v1, 0x7fc0, v3, vcc_lo
	s_branch .LBB48_906
.LBB48_902:
	s_mov_b32 s25, -1
                                        ; implicit-def: $vgpr1
	s_branch .LBB48_924
.LBB48_903:
	s_mov_b32 s25, -1
                                        ; implicit-def: $vgpr1
	s_branch .LBB48_912
.LBB48_904:
	s_mov_b32 s25, -1
                                        ; implicit-def: $vgpr1
	s_branch .LBB48_909
.LBB48_905:
	s_mov_b32 s25, -1
                                        ; implicit-def: $vgpr1
.LBB48_906:
	s_delay_alu instid0(SALU_CYCLE_1)
	s_and_not1_b32 vcc_lo, exec_lo, s25
	s_cbranch_vccnz .LBB48_908
; %bb.907:
	s_wait_loadcnt 0x0
	global_load_b32 v1, v[6:7], off
	s_wait_loadcnt 0x0
	v_bfe_u32 v3, v1, 16, 1
	v_cmp_o_f32_e32 vcc_lo, v1, v1
	s_delay_alu instid0(VALU_DEP_2) | instskip(NEXT) | instid1(VALU_DEP_1)
	v_add3_u32 v3, v1, v3, 0x7fff
	v_lshrrev_b32_e32 v3, 16, v3
	s_delay_alu instid0(VALU_DEP_1)
	v_cndmask_b32_e32 v1, 0x7fc0, v3, vcc_lo
.LBB48_908:
	s_mov_b32 s25, 0
.LBB48_909:
	s_delay_alu instid0(SALU_CYCLE_1)
	s_and_not1_b32 vcc_lo, exec_lo, s25
	s_cbranch_vccnz .LBB48_911
; %bb.910:
	s_wait_loadcnt 0x0
	global_load_b32 v1, v[6:7], off
	s_wait_loadcnt 0x0
	v_cvt_f32_f16_e32 v3, v1
	v_cmp_o_f16_e32 vcc_lo, v1, v1
	s_delay_alu instid0(VALU_DEP_2) | instskip(NEXT) | instid1(VALU_DEP_1)
	v_bfe_u32 v5, v3, 16, 1
	v_add3_u32 v3, v3, v5, 0x7fff
	s_delay_alu instid0(VALU_DEP_1) | instskip(NEXT) | instid1(VALU_DEP_1)
	v_lshrrev_b32_e32 v3, 16, v3
	v_cndmask_b32_e32 v1, 0x7fc0, v3, vcc_lo
.LBB48_911:
	s_mov_b32 s25, 0
.LBB48_912:
	s_delay_alu instid0(SALU_CYCLE_1)
	s_and_not1_b32 vcc_lo, exec_lo, s25
	s_cbranch_vccnz .LBB48_923
; %bb.913:
	s_cmp_lt_i32 s0, 6
	s_cbranch_scc1 .LBB48_916
; %bb.914:
	s_cmp_gt_i32 s0, 6
	s_cbranch_scc0 .LBB48_917
; %bb.915:
	global_load_b64 v[8:9], v[6:7], off
	s_mov_b32 s25, 0
	s_wait_loadcnt 0x0
	v_cvt_f32_f64_e32 v1, v[8:9]
	s_delay_alu instid0(VALU_DEP_1) | instskip(SKIP_1) | instid1(VALU_DEP_2)
	v_bfe_u32 v3, v1, 16, 1
	v_cmp_o_f32_e32 vcc_lo, v1, v1
	v_add3_u32 v3, v1, v3, 0x7fff
	s_delay_alu instid0(VALU_DEP_1) | instskip(NEXT) | instid1(VALU_DEP_1)
	v_lshrrev_b32_e32 v3, 16, v3
	v_cndmask_b32_e32 v1, 0x7fc0, v3, vcc_lo
	s_branch .LBB48_918
.LBB48_916:
	s_mov_b32 s25, -1
                                        ; implicit-def: $vgpr1
	s_branch .LBB48_921
.LBB48_917:
	s_mov_b32 s25, -1
                                        ; implicit-def: $vgpr1
.LBB48_918:
	s_delay_alu instid0(SALU_CYCLE_1)
	s_and_not1_b32 vcc_lo, exec_lo, s25
	s_cbranch_vccnz .LBB48_920
; %bb.919:
	s_wait_loadcnt 0x0
	global_load_b32 v1, v[6:7], off
	s_wait_loadcnt 0x0
	v_bfe_u32 v3, v1, 16, 1
	v_cmp_o_f32_e32 vcc_lo, v1, v1
	s_delay_alu instid0(VALU_DEP_2) | instskip(NEXT) | instid1(VALU_DEP_1)
	v_add3_u32 v3, v1, v3, 0x7fff
	v_lshrrev_b32_e32 v3, 16, v3
	s_delay_alu instid0(VALU_DEP_1)
	v_cndmask_b32_e32 v1, 0x7fc0, v3, vcc_lo
.LBB48_920:
	s_mov_b32 s25, 0
.LBB48_921:
	s_delay_alu instid0(SALU_CYCLE_1)
	s_and_not1_b32 vcc_lo, exec_lo, s25
	s_cbranch_vccnz .LBB48_923
; %bb.922:
	s_wait_loadcnt 0x0
	global_load_u16 v1, v[6:7], off
	s_wait_loadcnt 0x0
	v_cvt_f32_f16_e32 v3, v1
	v_cmp_o_f16_e32 vcc_lo, v1, v1
	s_delay_alu instid0(VALU_DEP_2) | instskip(NEXT) | instid1(VALU_DEP_1)
	v_bfe_u32 v5, v3, 16, 1
	v_add3_u32 v3, v3, v5, 0x7fff
	s_delay_alu instid0(VALU_DEP_1) | instskip(NEXT) | instid1(VALU_DEP_1)
	v_lshrrev_b32_e32 v3, 16, v3
	v_cndmask_b32_e32 v1, 0x7fc0, v3, vcc_lo
.LBB48_923:
	s_mov_b32 s25, 0
.LBB48_924:
	s_delay_alu instid0(SALU_CYCLE_1)
	s_and_not1_b32 vcc_lo, exec_lo, s25
	s_cbranch_vccnz .LBB48_944
; %bb.925:
	s_cmp_lt_i32 s0, 2
	s_cbranch_scc1 .LBB48_929
; %bb.926:
	s_cmp_lt_i32 s0, 3
	s_cbranch_scc1 .LBB48_930
; %bb.927:
	s_cmp_gt_i32 s0, 3
	s_cbranch_scc0 .LBB48_931
; %bb.928:
	global_load_b64 v[8:9], v[6:7], off
	s_mov_b32 s25, 0
	s_wait_loadcnt 0x0
	v_xor_b32_e32 v1, v8, v9
	v_cls_i32_e32 v3, v9
	s_delay_alu instid0(VALU_DEP_2) | instskip(NEXT) | instid1(VALU_DEP_1)
	v_ashrrev_i32_e32 v1, 31, v1
	v_add_nc_u32_e32 v1, 32, v1
	s_delay_alu instid0(VALU_DEP_1) | instskip(NEXT) | instid1(VALU_DEP_1)
	v_add_min_u32_e64 v1, v3, -1, v1
	v_lshlrev_b64_e32 v[8:9], v1, v[8:9]
	v_sub_nc_u32_e32 v1, 32, v1
	s_delay_alu instid0(VALU_DEP_2) | instskip(NEXT) | instid1(VALU_DEP_1)
	v_min_u32_e32 v3, 1, v8
	v_or_b32_e32 v3, v9, v3
	s_delay_alu instid0(VALU_DEP_1) | instskip(NEXT) | instid1(VALU_DEP_1)
	v_cvt_f32_i32_e32 v3, v3
	v_ldexp_f32 v1, v3, v1
	s_delay_alu instid0(VALU_DEP_1) | instskip(NEXT) | instid1(VALU_DEP_1)
	v_bfe_u32 v3, v1, 16, 1
	v_add3_u32 v1, v1, v3, 0x7fff
	s_delay_alu instid0(VALU_DEP_1)
	v_lshrrev_b32_e32 v1, 16, v1
	s_branch .LBB48_932
.LBB48_929:
	s_mov_b32 s25, -1
                                        ; implicit-def: $vgpr1
	s_branch .LBB48_938
.LBB48_930:
	s_mov_b32 s25, -1
                                        ; implicit-def: $vgpr1
	s_branch .LBB48_935
.LBB48_931:
	s_mov_b32 s25, -1
                                        ; implicit-def: $vgpr1
.LBB48_932:
	s_delay_alu instid0(SALU_CYCLE_1)
	s_and_not1_b32 vcc_lo, exec_lo, s25
	s_cbranch_vccnz .LBB48_934
; %bb.933:
	s_wait_loadcnt 0x0
	global_load_b32 v1, v[6:7], off
	s_wait_loadcnt 0x0
	v_cvt_f32_i32_e32 v1, v1
	s_delay_alu instid0(VALU_DEP_1) | instskip(NEXT) | instid1(VALU_DEP_1)
	v_bfe_u32 v3, v1, 16, 1
	v_add3_u32 v1, v1, v3, 0x7fff
	s_delay_alu instid0(VALU_DEP_1)
	v_lshrrev_b32_e32 v1, 16, v1
.LBB48_934:
	s_mov_b32 s25, 0
.LBB48_935:
	s_delay_alu instid0(SALU_CYCLE_1)
	s_and_not1_b32 vcc_lo, exec_lo, s25
	s_cbranch_vccnz .LBB48_937
; %bb.936:
	s_wait_loadcnt 0x0
	global_load_i16 v1, v[6:7], off
	s_wait_loadcnt 0x0
	v_cvt_f32_i32_e32 v1, v1
	s_delay_alu instid0(VALU_DEP_1) | instskip(NEXT) | instid1(VALU_DEP_1)
	v_bfe_u32 v3, v1, 16, 1
	v_add3_u32 v1, v1, v3, 0x7fff
	s_delay_alu instid0(VALU_DEP_1)
	v_lshrrev_b32_e32 v1, 16, v1
.LBB48_937:
	s_mov_b32 s25, 0
.LBB48_938:
	s_delay_alu instid0(SALU_CYCLE_1)
	s_and_not1_b32 vcc_lo, exec_lo, s25
	s_cbranch_vccnz .LBB48_944
; %bb.939:
	s_cmp_gt_i32 s0, 0
	s_mov_b32 s0, 0
	s_cbranch_scc0 .LBB48_941
; %bb.940:
	s_wait_loadcnt 0x0
	global_load_i8 v1, v[6:7], off
	s_wait_loadcnt 0x0
	v_cvt_f32_i32_e32 v1, v1
	s_delay_alu instid0(VALU_DEP_1) | instskip(NEXT) | instid1(VALU_DEP_1)
	v_bfe_u32 v3, v1, 16, 1
	v_add3_u32 v1, v1, v3, 0x7fff
	s_delay_alu instid0(VALU_DEP_1)
	v_lshrrev_b32_e32 v1, 16, v1
	s_branch .LBB48_942
.LBB48_941:
	s_mov_b32 s0, -1
                                        ; implicit-def: $vgpr1
.LBB48_942:
	s_delay_alu instid0(SALU_CYCLE_1)
	s_and_not1_b32 vcc_lo, exec_lo, s0
	s_cbranch_vccnz .LBB48_944
; %bb.943:
	s_wait_loadcnt 0x0
	global_load_u8 v1, v[6:7], off
	s_wait_loadcnt 0x0
	v_cvt_f32_ubyte0_e32 v1, v1
	s_delay_alu instid0(VALU_DEP_1) | instskip(NEXT) | instid1(VALU_DEP_1)
	v_bfe_u32 v3, v1, 16, 1
	v_add3_u32 v1, v1, v3, 0x7fff
	s_delay_alu instid0(VALU_DEP_1)
	v_lshrrev_b32_e32 v1, 16, v1
.LBB48_944:
	s_mov_b32 s47, -1
.LBB48_945:
	s_delay_alu instid0(SALU_CYCLE_1)
	s_and_not1_b32 vcc_lo, exec_lo, s47
	s_cbranch_vccnz .LBB48_953
; %bb.946:
	v_mov_b32_e32 v5, 0
	s_and_b32 s0, s9, 0xff
	s_delay_alu instid0(SALU_CYCLE_1) | instskip(NEXT) | instid1(VALU_DEP_1)
	s_cmp_lt_i32 s0, 11
	v_add_nc_u64_e32 v[4:5], s[16:17], v[4:5]
	s_cbranch_scc1 .LBB48_954
; %bb.947:
	s_and_b32 s47, 0xffff, s0
	s_delay_alu instid0(SALU_CYCLE_1)
	s_cmp_gt_i32 s47, 25
	s_cbranch_scc0 .LBB48_955
; %bb.948:
	s_cmp_gt_i32 s47, 28
	s_cbranch_scc0 .LBB48_956
; %bb.949:
	;; [unrolled: 3-line block ×4, first 2 shown]
	s_cmp_eq_u32 s47, 46
	s_mov_b32 s49, 0
	s_cbranch_scc0 .LBB48_961
; %bb.952:
	s_wait_loadcnt 0x0
	global_load_b32 v3, v[4:5], off
	s_mov_b32 s48, -1
	s_mov_b32 s25, 0
	s_branch .LBB48_963
.LBB48_953:
	s_mov_b32 s50, 0
	s_mov_b32 s0, s43
	;; [unrolled: 1-line block ×3, first 2 shown]
	s_branch .LBB48_1204
.LBB48_954:
	s_mov_b32 s47, -1
	s_mov_b32 s48, 0
	s_mov_b32 s25, s44
                                        ; implicit-def: $vgpr3
	s_branch .LBB48_1028
.LBB48_955:
	s_mov_b32 s49, -1
	s_mov_b32 s48, 0
	s_mov_b32 s25, s44
                                        ; implicit-def: $vgpr3
	s_branch .LBB48_992
.LBB48_956:
	s_mov_b32 s49, -1
	s_mov_b32 s48, 0
	s_mov_b32 s25, s44
                                        ; implicit-def: $vgpr3
	s_branch .LBB48_973
.LBB48_957:
	s_mov_b32 s49, -1
	s_mov_b32 s48, 0
	s_mov_b32 s25, s44
                                        ; implicit-def: $vgpr3
	s_branch .LBB48_968
.LBB48_958:
	s_mov_b32 s49, -1
	s_mov_b32 s48, 0
	s_mov_b32 s25, s44
	s_branch .LBB48_962
.LBB48_959:
	s_and_not1_saveexec_b32 s47, s47
	s_cbranch_execz .LBB48_722
.LBB48_960:
	v_add_f32_e64 v5, 0x42800000, |v6|
	s_and_not1_b32 s46, s46, exec_lo
	s_delay_alu instid0(VALU_DEP_1) | instskip(NEXT) | instid1(VALU_DEP_1)
	v_and_b32_e32 v5, 0xff, v5
	v_cmp_ne_u32_e32 vcc_lo, 0, v5
	s_and_b32 s48, vcc_lo, exec_lo
	s_delay_alu instid0(SALU_CYCLE_1)
	s_or_b32 s46, s46, s48
	s_or_b32 exec_lo, exec_lo, s47
	v_mov_b32_e32 v7, 0
	s_and_saveexec_b32 s47, s46
	s_cbranch_execnz .LBB48_723
	s_branch .LBB48_724
.LBB48_961:
	s_mov_b32 s25, -1
	s_mov_b32 s48, 0
.LBB48_962:
                                        ; implicit-def: $vgpr3
.LBB48_963:
	s_and_b32 vcc_lo, exec_lo, s49
	s_cbranch_vccz .LBB48_967
; %bb.964:
	s_cmp_eq_u32 s47, 44
	s_cbranch_scc0 .LBB48_966
; %bb.965:
	s_wait_loadcnt 0x0
	global_load_u8 v3, v[4:5], off
	s_mov_b32 s25, 0
	s_mov_b32 s48, -1
	s_wait_loadcnt 0x0
	s_wait_xcnt 0x1
	v_lshlrev_b32_e32 v6, 23, v3
	v_cmp_ne_u32_e32 vcc_lo, 0xff, v3
	s_delay_alu instid0(VALU_DEP_2) | instskip(SKIP_1) | instid1(VALU_DEP_2)
	v_cndmask_b32_e32 v6, 0x7f800001, v6, vcc_lo
	v_cmp_ne_u32_e32 vcc_lo, 0, v3
	v_cndmask_b32_e32 v3, 0x400000, v6, vcc_lo
	s_delay_alu instid0(VALU_DEP_1) | instskip(NEXT) | instid1(VALU_DEP_1)
	v_add_nc_u32_e32 v6, 0x7fff, v3
	v_lshrrev_b32_e32 v6, 16, v6
	v_cmp_o_f32_e32 vcc_lo, v3, v3
	s_delay_alu instid0(VALU_DEP_2)
	v_cndmask_b32_e32 v3, 0x7fc0, v6, vcc_lo
	s_branch .LBB48_967
.LBB48_966:
	s_mov_b32 s25, -1
                                        ; implicit-def: $vgpr3
.LBB48_967:
	s_mov_b32 s49, 0
.LBB48_968:
	s_delay_alu instid0(SALU_CYCLE_1)
	s_and_b32 vcc_lo, exec_lo, s49
	s_cbranch_vccz .LBB48_972
; %bb.969:
	s_cmp_eq_u32 s47, 29
	s_cbranch_scc0 .LBB48_971
; %bb.970:
	global_load_b64 v[6:7], v[4:5], off
	s_mov_b32 s48, -1
	s_mov_b32 s25, 0
	s_mov_b32 s49, 0
	s_wait_loadcnt 0x0
	v_clz_i32_u32_e32 v3, v7
	s_delay_alu instid0(VALU_DEP_1) | instskip(NEXT) | instid1(VALU_DEP_1)
	v_min_u32_e32 v3, 32, v3
	v_lshlrev_b64_e32 v[6:7], v3, v[6:7]
	v_sub_nc_u32_e32 v3, 32, v3
	s_delay_alu instid0(VALU_DEP_2) | instskip(NEXT) | instid1(VALU_DEP_1)
	v_min_u32_e32 v6, 1, v6
	v_or_b32_e32 v6, v7, v6
	s_delay_alu instid0(VALU_DEP_1) | instskip(NEXT) | instid1(VALU_DEP_1)
	v_cvt_f32_u32_e32 v6, v6
	v_ldexp_f32 v3, v6, v3
	s_delay_alu instid0(VALU_DEP_1) | instskip(NEXT) | instid1(VALU_DEP_1)
	v_bfe_u32 v6, v3, 16, 1
	v_add3_u32 v3, v3, v6, 0x7fff
	s_delay_alu instid0(VALU_DEP_1)
	v_lshrrev_b32_e32 v3, 16, v3
	s_branch .LBB48_973
.LBB48_971:
	s_mov_b32 s25, -1
                                        ; implicit-def: $vgpr3
.LBB48_972:
	s_mov_b32 s49, 0
.LBB48_973:
	s_delay_alu instid0(SALU_CYCLE_1)
	s_and_b32 vcc_lo, exec_lo, s49
	s_cbranch_vccz .LBB48_991
; %bb.974:
	s_cmp_lt_i32 s47, 27
	s_cbranch_scc1 .LBB48_977
; %bb.975:
	s_cmp_gt_i32 s47, 27
	s_cbranch_scc0 .LBB48_978
; %bb.976:
	s_wait_loadcnt 0x0
	global_load_b32 v3, v[4:5], off
	s_mov_b32 s48, 0
	s_wait_loadcnt 0x0
	v_cvt_f32_u32_e32 v3, v3
	s_wait_xcnt 0x1
	s_delay_alu instid0(VALU_DEP_1) | instskip(NEXT) | instid1(VALU_DEP_1)
	v_bfe_u32 v6, v3, 16, 1
	v_add3_u32 v3, v3, v6, 0x7fff
	s_delay_alu instid0(VALU_DEP_1)
	v_lshrrev_b32_e32 v3, 16, v3
	s_branch .LBB48_979
.LBB48_977:
	s_mov_b32 s48, -1
                                        ; implicit-def: $vgpr3
	s_branch .LBB48_982
.LBB48_978:
	s_mov_b32 s48, -1
                                        ; implicit-def: $vgpr3
.LBB48_979:
	s_delay_alu instid0(SALU_CYCLE_1)
	s_and_not1_b32 vcc_lo, exec_lo, s48
	s_cbranch_vccnz .LBB48_981
; %bb.980:
	s_wait_loadcnt 0x0
	global_load_u16 v3, v[4:5], off
	s_wait_loadcnt 0x0
	v_cvt_f32_u32_e32 v3, v3
	s_wait_xcnt 0x1
	s_delay_alu instid0(VALU_DEP_1) | instskip(NEXT) | instid1(VALU_DEP_1)
	v_bfe_u32 v6, v3, 16, 1
	v_add3_u32 v3, v3, v6, 0x7fff
	s_delay_alu instid0(VALU_DEP_1)
	v_lshrrev_b32_e32 v3, 16, v3
.LBB48_981:
	s_mov_b32 s48, 0
.LBB48_982:
	s_delay_alu instid0(SALU_CYCLE_1)
	s_and_not1_b32 vcc_lo, exec_lo, s48
	s_cbranch_vccnz .LBB48_990
; %bb.983:
	s_wait_loadcnt 0x0
	global_load_u8 v3, v[4:5], off
	s_mov_b32 s48, 0
	s_mov_b32 s49, exec_lo
	s_wait_loadcnt 0x0
	v_cmpx_lt_i16_e32 0x7f, v3
	s_xor_b32 s49, exec_lo, s49
	s_cbranch_execz .LBB48_1004
; %bb.984:
	s_mov_b32 s48, -1
	s_mov_b32 s50, exec_lo
	v_cmpx_eq_u16_e32 0x80, v3
; %bb.985:
	s_xor_b32 s48, exec_lo, -1
; %bb.986:
	s_or_b32 exec_lo, exec_lo, s50
	s_delay_alu instid0(SALU_CYCLE_1)
	s_and_b32 s48, s48, exec_lo
	s_or_saveexec_b32 s49, s49
	v_mov_b32_e32 v6, 0x7f800001
	s_xor_b32 exec_lo, exec_lo, s49
	s_cbranch_execnz .LBB48_1005
.LBB48_987:
	s_or_b32 exec_lo, exec_lo, s49
	s_and_saveexec_b32 s49, s48
	s_cbranch_execz .LBB48_989
.LBB48_988:
	v_and_b32_e32 v6, 0xffff, v3
	s_delay_alu instid0(VALU_DEP_1) | instskip(SKIP_1) | instid1(VALU_DEP_2)
	v_and_b32_e32 v7, 7, v6
	v_bfe_u32 v10, v6, 3, 4
	v_clz_i32_u32_e32 v8, v7
	s_delay_alu instid0(VALU_DEP_2) | instskip(NEXT) | instid1(VALU_DEP_2)
	v_cmp_eq_u32_e32 vcc_lo, 0, v10
	v_min_u32_e32 v8, 32, v8
	s_delay_alu instid0(VALU_DEP_1) | instskip(NEXT) | instid1(VALU_DEP_1)
	v_subrev_nc_u32_e32 v9, 28, v8
	v_dual_lshlrev_b32 v6, v9, v6 :: v_dual_sub_nc_u32 v8, 29, v8
	s_delay_alu instid0(VALU_DEP_1) | instskip(NEXT) | instid1(VALU_DEP_1)
	v_dual_lshlrev_b32 v3, 24, v3 :: v_dual_bitop2_b32 v6, 7, v6 bitop3:0x40
	v_dual_cndmask_b32 v8, v10, v8, vcc_lo :: v_dual_cndmask_b32 v6, v7, v6, vcc_lo
	s_delay_alu instid0(VALU_DEP_2) | instskip(NEXT) | instid1(VALU_DEP_2)
	v_and_b32_e32 v3, 0x80000000, v3
	v_lshl_add_u32 v7, v8, 23, 0x3b800000
	s_delay_alu instid0(VALU_DEP_3) | instskip(NEXT) | instid1(VALU_DEP_1)
	v_lshlrev_b32_e32 v6, 20, v6
	v_or3_b32 v6, v3, v7, v6
.LBB48_989:
	s_or_b32 exec_lo, exec_lo, s49
	s_delay_alu instid0(VALU_DEP_1) | instskip(SKIP_1) | instid1(VALU_DEP_2)
	v_bfe_u32 v3, v6, 16, 1
	v_cmp_o_f32_e32 vcc_lo, v6, v6
	v_add3_u32 v3, v6, v3, 0x7fff
	s_delay_alu instid0(VALU_DEP_1) | instskip(NEXT) | instid1(VALU_DEP_1)
	v_lshrrev_b32_e32 v3, 16, v3
	v_cndmask_b32_e32 v3, 0x7fc0, v3, vcc_lo
.LBB48_990:
	s_mov_b32 s48, -1
.LBB48_991:
	s_mov_b32 s49, 0
.LBB48_992:
	s_delay_alu instid0(SALU_CYCLE_1)
	s_and_b32 vcc_lo, exec_lo, s49
	s_cbranch_vccz .LBB48_1027
; %bb.993:
	s_cmp_gt_i32 s47, 22
	s_cbranch_scc0 .LBB48_1003
; %bb.994:
	s_cmp_lt_i32 s47, 24
	s_cbranch_scc1 .LBB48_1006
; %bb.995:
	s_cmp_gt_i32 s47, 24
	s_cbranch_scc0 .LBB48_1007
; %bb.996:
	s_wait_loadcnt 0x0
	global_load_u8 v3, v[4:5], off
	s_mov_b32 s48, 0
	s_mov_b32 s49, exec_lo
	s_wait_loadcnt 0x0
	v_cmpx_lt_i16_e32 0x7f, v3
	s_xor_b32 s49, exec_lo, s49
	s_cbranch_execz .LBB48_1019
; %bb.997:
	s_mov_b32 s48, -1
	s_mov_b32 s50, exec_lo
	v_cmpx_eq_u16_e32 0x80, v3
; %bb.998:
	s_xor_b32 s48, exec_lo, -1
; %bb.999:
	s_or_b32 exec_lo, exec_lo, s50
	s_delay_alu instid0(SALU_CYCLE_1)
	s_and_b32 s48, s48, exec_lo
	s_or_saveexec_b32 s49, s49
	v_mov_b32_e32 v6, 0x7f800001
	s_xor_b32 exec_lo, exec_lo, s49
	s_cbranch_execnz .LBB48_1020
.LBB48_1000:
	s_or_b32 exec_lo, exec_lo, s49
	s_and_saveexec_b32 s49, s48
	s_cbranch_execz .LBB48_1002
.LBB48_1001:
	v_and_b32_e32 v6, 0xffff, v3
	s_delay_alu instid0(VALU_DEP_1) | instskip(SKIP_1) | instid1(VALU_DEP_2)
	v_and_b32_e32 v7, 3, v6
	v_bfe_u32 v10, v6, 2, 5
	v_clz_i32_u32_e32 v8, v7
	s_delay_alu instid0(VALU_DEP_2) | instskip(NEXT) | instid1(VALU_DEP_2)
	v_cmp_eq_u32_e32 vcc_lo, 0, v10
	v_min_u32_e32 v8, 32, v8
	s_delay_alu instid0(VALU_DEP_1) | instskip(NEXT) | instid1(VALU_DEP_1)
	v_subrev_nc_u32_e32 v9, 29, v8
	v_dual_lshlrev_b32 v6, v9, v6 :: v_dual_sub_nc_u32 v8, 30, v8
	s_delay_alu instid0(VALU_DEP_1) | instskip(NEXT) | instid1(VALU_DEP_1)
	v_dual_lshlrev_b32 v3, 24, v3 :: v_dual_bitop2_b32 v6, 3, v6 bitop3:0x40
	v_dual_cndmask_b32 v8, v10, v8, vcc_lo :: v_dual_cndmask_b32 v6, v7, v6, vcc_lo
	s_delay_alu instid0(VALU_DEP_2) | instskip(NEXT) | instid1(VALU_DEP_2)
	v_and_b32_e32 v3, 0x80000000, v3
	v_lshl_add_u32 v7, v8, 23, 0x37800000
	s_delay_alu instid0(VALU_DEP_3) | instskip(NEXT) | instid1(VALU_DEP_1)
	v_lshlrev_b32_e32 v6, 21, v6
	v_or3_b32 v6, v3, v7, v6
.LBB48_1002:
	s_or_b32 exec_lo, exec_lo, s49
	s_delay_alu instid0(VALU_DEP_1) | instskip(SKIP_2) | instid1(VALU_DEP_2)
	v_bfe_u32 v3, v6, 16, 1
	v_cmp_o_f32_e32 vcc_lo, v6, v6
	s_mov_b32 s48, 0
	v_add3_u32 v3, v6, v3, 0x7fff
	s_delay_alu instid0(VALU_DEP_1) | instskip(NEXT) | instid1(VALU_DEP_1)
	v_lshrrev_b32_e32 v3, 16, v3
	v_cndmask_b32_e32 v3, 0x7fc0, v3, vcc_lo
	s_branch .LBB48_1008
.LBB48_1003:
	s_mov_b32 s49, -1
                                        ; implicit-def: $vgpr3
	s_branch .LBB48_1014
.LBB48_1004:
	s_or_saveexec_b32 s49, s49
	v_mov_b32_e32 v6, 0x7f800001
	s_xor_b32 exec_lo, exec_lo, s49
	s_cbranch_execz .LBB48_987
.LBB48_1005:
	v_cmp_ne_u16_e32 vcc_lo, 0, v3
	v_mov_b32_e32 v6, 0
	s_and_not1_b32 s48, s48, exec_lo
	s_and_b32 s50, vcc_lo, exec_lo
	s_delay_alu instid0(SALU_CYCLE_1)
	s_or_b32 s48, s48, s50
	s_or_b32 exec_lo, exec_lo, s49
	s_and_saveexec_b32 s49, s48
	s_cbranch_execnz .LBB48_988
	s_branch .LBB48_989
.LBB48_1006:
	s_mov_b32 s48, -1
                                        ; implicit-def: $vgpr3
	s_branch .LBB48_1011
.LBB48_1007:
	s_mov_b32 s48, -1
                                        ; implicit-def: $vgpr3
.LBB48_1008:
	s_delay_alu instid0(SALU_CYCLE_1)
	s_and_b32 vcc_lo, exec_lo, s48
	s_cbranch_vccz .LBB48_1010
; %bb.1009:
	s_wait_loadcnt 0x0
	global_load_u8 v3, v[4:5], off
	s_wait_loadcnt 0x0
	v_lshlrev_b32_e32 v3, 24, v3
	s_wait_xcnt 0x1
	s_delay_alu instid0(VALU_DEP_1) | instskip(NEXT) | instid1(VALU_DEP_1)
	v_and_b32_e32 v6, 0x7f000000, v3
	v_clz_i32_u32_e32 v7, v6
	v_cmp_ne_u32_e32 vcc_lo, 0, v6
	v_add_nc_u32_e32 v9, 0x1000000, v6
	s_delay_alu instid0(VALU_DEP_3) | instskip(NEXT) | instid1(VALU_DEP_1)
	v_min_u32_e32 v7, 32, v7
	v_sub_nc_u32_e64 v7, v7, 4 clamp
	s_delay_alu instid0(VALU_DEP_1) | instskip(NEXT) | instid1(VALU_DEP_1)
	v_dual_lshlrev_b32 v8, v7, v6 :: v_dual_lshlrev_b32 v7, 23, v7
	v_lshrrev_b32_e32 v8, 4, v8
	s_delay_alu instid0(VALU_DEP_1) | instskip(NEXT) | instid1(VALU_DEP_1)
	v_dual_sub_nc_u32 v7, v8, v7 :: v_dual_ashrrev_i32 v8, 8, v9
	v_add_nc_u32_e32 v7, 0x3c000000, v7
	s_delay_alu instid0(VALU_DEP_1) | instskip(NEXT) | instid1(VALU_DEP_1)
	v_and_or_b32 v7, 0x7f800000, v8, v7
	v_cndmask_b32_e32 v6, 0, v7, vcc_lo
	s_delay_alu instid0(VALU_DEP_1) | instskip(SKIP_1) | instid1(VALU_DEP_2)
	v_and_or_b32 v3, 0x80000000, v3, v6
	v_bfe_u32 v6, v6, 16, 1
	v_cmp_o_f32_e32 vcc_lo, v3, v3
	s_delay_alu instid0(VALU_DEP_2) | instskip(NEXT) | instid1(VALU_DEP_1)
	v_add3_u32 v6, v3, v6, 0x7fff
	v_lshrrev_b32_e32 v6, 16, v6
	s_delay_alu instid0(VALU_DEP_1)
	v_cndmask_b32_e32 v3, 0x7fc0, v6, vcc_lo
.LBB48_1010:
	s_mov_b32 s48, 0
.LBB48_1011:
	s_delay_alu instid0(SALU_CYCLE_1)
	s_and_not1_b32 vcc_lo, exec_lo, s48
	s_cbranch_vccnz .LBB48_1013
; %bb.1012:
	s_wait_loadcnt 0x0
	global_load_u8 v3, v[4:5], off
	s_wait_loadcnt 0x0
	s_wait_xcnt 0x1
	v_lshlrev_b32_e32 v6, 25, v3
	v_lshlrev_b16 v3, 8, v3
	s_delay_alu instid0(VALU_DEP_1) | instskip(SKIP_1) | instid1(VALU_DEP_2)
	v_and_or_b32 v8, 0x7f00, v3, 0.5
	v_bfe_i32 v3, v3, 0, 16
	v_dual_add_f32 v8, -0.5, v8 :: v_dual_lshrrev_b32 v7, 4, v6
	v_cmp_gt_u32_e32 vcc_lo, 0x8000000, v6
	s_delay_alu instid0(VALU_DEP_2) | instskip(NEXT) | instid1(VALU_DEP_1)
	v_or_b32_e32 v7, 0x70000000, v7
	v_mul_f32_e32 v7, 0x7800000, v7
	s_delay_alu instid0(VALU_DEP_1) | instskip(NEXT) | instid1(VALU_DEP_1)
	v_cndmask_b32_e32 v6, v7, v8, vcc_lo
	v_and_or_b32 v3, 0x80000000, v3, v6
	v_bfe_u32 v6, v6, 16, 1
	s_delay_alu instid0(VALU_DEP_2) | instskip(NEXT) | instid1(VALU_DEP_2)
	v_cmp_o_f32_e32 vcc_lo, v3, v3
	v_add3_u32 v6, v3, v6, 0x7fff
	s_delay_alu instid0(VALU_DEP_1) | instskip(NEXT) | instid1(VALU_DEP_1)
	v_lshrrev_b32_e32 v6, 16, v6
	v_cndmask_b32_e32 v3, 0x7fc0, v6, vcc_lo
.LBB48_1013:
	s_mov_b32 s49, 0
	s_mov_b32 s48, -1
.LBB48_1014:
	s_and_not1_b32 vcc_lo, exec_lo, s49
	s_cbranch_vccnz .LBB48_1027
; %bb.1015:
	s_cmp_gt_i32 s47, 14
	s_cbranch_scc0 .LBB48_1018
; %bb.1016:
	s_cmp_eq_u32 s47, 15
	s_cbranch_scc0 .LBB48_1021
; %bb.1017:
	s_wait_loadcnt 0x0
	global_load_u16 v3, v[4:5], off
	s_mov_b32 s48, -1
	s_mov_b32 s25, 0
	s_branch .LBB48_1022
.LBB48_1018:
	s_mov_b32 s49, -1
                                        ; implicit-def: $vgpr3
	s_branch .LBB48_1023
.LBB48_1019:
	s_or_saveexec_b32 s49, s49
	v_mov_b32_e32 v6, 0x7f800001
	s_xor_b32 exec_lo, exec_lo, s49
	s_cbranch_execz .LBB48_1000
.LBB48_1020:
	v_cmp_ne_u16_e32 vcc_lo, 0, v3
	v_mov_b32_e32 v6, 0
	s_and_not1_b32 s48, s48, exec_lo
	s_and_b32 s50, vcc_lo, exec_lo
	s_delay_alu instid0(SALU_CYCLE_1)
	s_or_b32 s48, s48, s50
	s_or_b32 exec_lo, exec_lo, s49
	s_and_saveexec_b32 s49, s48
	s_cbranch_execnz .LBB48_1001
	s_branch .LBB48_1002
.LBB48_1021:
	s_mov_b32 s25, -1
                                        ; implicit-def: $vgpr3
.LBB48_1022:
	s_mov_b32 s49, 0
.LBB48_1023:
	s_delay_alu instid0(SALU_CYCLE_1)
	s_and_b32 vcc_lo, exec_lo, s49
	s_cbranch_vccz .LBB48_1027
; %bb.1024:
	s_cmp_eq_u32 s47, 11
	s_cbranch_scc0 .LBB48_1026
; %bb.1025:
	s_wait_loadcnt 0x0
	global_load_u8 v3, v[4:5], off
	s_mov_b32 s25, 0
	s_mov_b32 s48, -1
	s_wait_loadcnt 0x0
	v_cmp_ne_u16_e32 vcc_lo, 0, v3
	v_cndmask_b32_e64 v3, 0, 1.0, vcc_lo
	s_delay_alu instid0(VALU_DEP_1)
	v_lshrrev_b32_e32 v3, 16, v3
	s_branch .LBB48_1027
.LBB48_1026:
	s_mov_b32 s25, -1
                                        ; implicit-def: $vgpr3
.LBB48_1027:
	s_mov_b32 s47, 0
.LBB48_1028:
	s_delay_alu instid0(SALU_CYCLE_1)
	s_and_b32 vcc_lo, exec_lo, s47
	s_cbranch_vccz .LBB48_1077
; %bb.1029:
	s_and_b32 s0, 0xffff, s0
	s_delay_alu instid0(SALU_CYCLE_1)
	s_cmp_lt_i32 s0, 5
	s_cbranch_scc1 .LBB48_1034
; %bb.1030:
	s_cmp_lt_i32 s0, 8
	s_cbranch_scc1 .LBB48_1035
; %bb.1031:
	;; [unrolled: 3-line block ×3, first 2 shown]
	s_cmp_gt_i32 s0, 9
	s_cbranch_scc0 .LBB48_1037
; %bb.1033:
	global_load_b64 v[6:7], v[4:5], off
	s_mov_b32 s47, 0
	s_wait_loadcnt 0x0
	v_cvt_f32_f64_e32 v3, v[6:7]
	s_delay_alu instid0(VALU_DEP_1) | instskip(SKIP_1) | instid1(VALU_DEP_2)
	v_bfe_u32 v6, v3, 16, 1
	v_cmp_o_f32_e32 vcc_lo, v3, v3
	v_add3_u32 v6, v3, v6, 0x7fff
	s_delay_alu instid0(VALU_DEP_1) | instskip(NEXT) | instid1(VALU_DEP_1)
	v_lshrrev_b32_e32 v6, 16, v6
	v_cndmask_b32_e32 v3, 0x7fc0, v6, vcc_lo
	s_branch .LBB48_1038
.LBB48_1034:
	s_mov_b32 s47, -1
                                        ; implicit-def: $vgpr3
	s_branch .LBB48_1056
.LBB48_1035:
	s_mov_b32 s47, -1
                                        ; implicit-def: $vgpr3
	s_branch .LBB48_1044
.LBB48_1036:
	s_mov_b32 s47, -1
                                        ; implicit-def: $vgpr3
	s_branch .LBB48_1041
.LBB48_1037:
	s_mov_b32 s47, -1
                                        ; implicit-def: $vgpr3
.LBB48_1038:
	s_delay_alu instid0(SALU_CYCLE_1)
	s_and_not1_b32 vcc_lo, exec_lo, s47
	s_cbranch_vccnz .LBB48_1040
; %bb.1039:
	s_wait_loadcnt 0x0
	global_load_b32 v3, v[4:5], off
	s_wait_loadcnt 0x0
	s_wait_xcnt 0x1
	v_bfe_u32 v6, v3, 16, 1
	v_cmp_o_f32_e32 vcc_lo, v3, v3
	s_delay_alu instid0(VALU_DEP_2) | instskip(NEXT) | instid1(VALU_DEP_1)
	v_add3_u32 v6, v3, v6, 0x7fff
	v_lshrrev_b32_e32 v6, 16, v6
	s_delay_alu instid0(VALU_DEP_1)
	v_cndmask_b32_e32 v3, 0x7fc0, v6, vcc_lo
.LBB48_1040:
	s_mov_b32 s47, 0
.LBB48_1041:
	s_delay_alu instid0(SALU_CYCLE_1)
	s_and_not1_b32 vcc_lo, exec_lo, s47
	s_cbranch_vccnz .LBB48_1043
; %bb.1042:
	s_wait_loadcnt 0x0
	global_load_b32 v3, v[4:5], off
	s_wait_loadcnt 0x0
	s_wait_xcnt 0x1
	v_cvt_f32_f16_e32 v6, v3
	v_cmp_o_f16_e32 vcc_lo, v3, v3
	s_delay_alu instid0(VALU_DEP_2) | instskip(NEXT) | instid1(VALU_DEP_1)
	v_bfe_u32 v7, v6, 16, 1
	v_add3_u32 v6, v6, v7, 0x7fff
	s_delay_alu instid0(VALU_DEP_1) | instskip(NEXT) | instid1(VALU_DEP_1)
	v_lshrrev_b32_e32 v6, 16, v6
	v_cndmask_b32_e32 v3, 0x7fc0, v6, vcc_lo
.LBB48_1043:
	s_mov_b32 s47, 0
.LBB48_1044:
	s_delay_alu instid0(SALU_CYCLE_1)
	s_and_not1_b32 vcc_lo, exec_lo, s47
	s_cbranch_vccnz .LBB48_1055
; %bb.1045:
	s_cmp_lt_i32 s0, 6
	s_cbranch_scc1 .LBB48_1048
; %bb.1046:
	s_cmp_gt_i32 s0, 6
	s_cbranch_scc0 .LBB48_1049
; %bb.1047:
	global_load_b64 v[6:7], v[4:5], off
	s_mov_b32 s47, 0
	s_wait_loadcnt 0x0
	v_cvt_f32_f64_e32 v3, v[6:7]
	s_delay_alu instid0(VALU_DEP_1) | instskip(SKIP_1) | instid1(VALU_DEP_2)
	v_bfe_u32 v6, v3, 16, 1
	v_cmp_o_f32_e32 vcc_lo, v3, v3
	v_add3_u32 v6, v3, v6, 0x7fff
	s_delay_alu instid0(VALU_DEP_1) | instskip(NEXT) | instid1(VALU_DEP_1)
	v_lshrrev_b32_e32 v6, 16, v6
	v_cndmask_b32_e32 v3, 0x7fc0, v6, vcc_lo
	s_branch .LBB48_1050
.LBB48_1048:
	s_mov_b32 s47, -1
                                        ; implicit-def: $vgpr3
	s_branch .LBB48_1053
.LBB48_1049:
	s_mov_b32 s47, -1
                                        ; implicit-def: $vgpr3
.LBB48_1050:
	s_delay_alu instid0(SALU_CYCLE_1)
	s_and_not1_b32 vcc_lo, exec_lo, s47
	s_cbranch_vccnz .LBB48_1052
; %bb.1051:
	s_wait_loadcnt 0x0
	global_load_b32 v3, v[4:5], off
	s_wait_loadcnt 0x0
	s_wait_xcnt 0x1
	v_bfe_u32 v6, v3, 16, 1
	v_cmp_o_f32_e32 vcc_lo, v3, v3
	s_delay_alu instid0(VALU_DEP_2) | instskip(NEXT) | instid1(VALU_DEP_1)
	v_add3_u32 v6, v3, v6, 0x7fff
	v_lshrrev_b32_e32 v6, 16, v6
	s_delay_alu instid0(VALU_DEP_1)
	v_cndmask_b32_e32 v3, 0x7fc0, v6, vcc_lo
.LBB48_1052:
	s_mov_b32 s47, 0
.LBB48_1053:
	s_delay_alu instid0(SALU_CYCLE_1)
	s_and_not1_b32 vcc_lo, exec_lo, s47
	s_cbranch_vccnz .LBB48_1055
; %bb.1054:
	s_wait_loadcnt 0x0
	global_load_u16 v3, v[4:5], off
	s_wait_loadcnt 0x0
	s_wait_xcnt 0x1
	v_cvt_f32_f16_e32 v6, v3
	v_cmp_o_f16_e32 vcc_lo, v3, v3
	s_delay_alu instid0(VALU_DEP_2) | instskip(NEXT) | instid1(VALU_DEP_1)
	v_bfe_u32 v7, v6, 16, 1
	v_add3_u32 v6, v6, v7, 0x7fff
	s_delay_alu instid0(VALU_DEP_1) | instskip(NEXT) | instid1(VALU_DEP_1)
	v_lshrrev_b32_e32 v6, 16, v6
	v_cndmask_b32_e32 v3, 0x7fc0, v6, vcc_lo
.LBB48_1055:
	s_mov_b32 s47, 0
.LBB48_1056:
	s_delay_alu instid0(SALU_CYCLE_1)
	s_and_not1_b32 vcc_lo, exec_lo, s47
	s_cbranch_vccnz .LBB48_1076
; %bb.1057:
	s_cmp_lt_i32 s0, 2
	s_cbranch_scc1 .LBB48_1061
; %bb.1058:
	s_cmp_lt_i32 s0, 3
	s_cbranch_scc1 .LBB48_1062
; %bb.1059:
	s_cmp_gt_i32 s0, 3
	s_cbranch_scc0 .LBB48_1063
; %bb.1060:
	global_load_b64 v[6:7], v[4:5], off
	s_mov_b32 s47, 0
	s_wait_loadcnt 0x0
	v_xor_b32_e32 v3, v6, v7
	v_cls_i32_e32 v8, v7
	s_delay_alu instid0(VALU_DEP_2) | instskip(NEXT) | instid1(VALU_DEP_1)
	v_ashrrev_i32_e32 v3, 31, v3
	v_add_nc_u32_e32 v3, 32, v3
	s_delay_alu instid0(VALU_DEP_1) | instskip(NEXT) | instid1(VALU_DEP_1)
	v_add_min_u32_e64 v3, v8, -1, v3
	v_lshlrev_b64_e32 v[6:7], v3, v[6:7]
	v_sub_nc_u32_e32 v3, 32, v3
	s_delay_alu instid0(VALU_DEP_2) | instskip(NEXT) | instid1(VALU_DEP_1)
	v_min_u32_e32 v6, 1, v6
	v_or_b32_e32 v6, v7, v6
	s_delay_alu instid0(VALU_DEP_1) | instskip(NEXT) | instid1(VALU_DEP_1)
	v_cvt_f32_i32_e32 v6, v6
	v_ldexp_f32 v3, v6, v3
	s_delay_alu instid0(VALU_DEP_1) | instskip(NEXT) | instid1(VALU_DEP_1)
	v_bfe_u32 v6, v3, 16, 1
	v_add3_u32 v3, v3, v6, 0x7fff
	s_delay_alu instid0(VALU_DEP_1)
	v_lshrrev_b32_e32 v3, 16, v3
	s_branch .LBB48_1064
.LBB48_1061:
	s_mov_b32 s47, -1
                                        ; implicit-def: $vgpr3
	s_branch .LBB48_1070
.LBB48_1062:
	s_mov_b32 s47, -1
                                        ; implicit-def: $vgpr3
	s_branch .LBB48_1067
.LBB48_1063:
	s_mov_b32 s47, -1
                                        ; implicit-def: $vgpr3
.LBB48_1064:
	s_delay_alu instid0(SALU_CYCLE_1)
	s_and_not1_b32 vcc_lo, exec_lo, s47
	s_cbranch_vccnz .LBB48_1066
; %bb.1065:
	s_wait_loadcnt 0x0
	global_load_b32 v3, v[4:5], off
	s_wait_loadcnt 0x0
	v_cvt_f32_i32_e32 v3, v3
	s_wait_xcnt 0x1
	s_delay_alu instid0(VALU_DEP_1) | instskip(NEXT) | instid1(VALU_DEP_1)
	v_bfe_u32 v6, v3, 16, 1
	v_add3_u32 v3, v3, v6, 0x7fff
	s_delay_alu instid0(VALU_DEP_1)
	v_lshrrev_b32_e32 v3, 16, v3
.LBB48_1066:
	s_mov_b32 s47, 0
.LBB48_1067:
	s_delay_alu instid0(SALU_CYCLE_1)
	s_and_not1_b32 vcc_lo, exec_lo, s47
	s_cbranch_vccnz .LBB48_1069
; %bb.1068:
	s_wait_loadcnt 0x0
	global_load_i16 v3, v[4:5], off
	s_wait_loadcnt 0x0
	v_cvt_f32_i32_e32 v3, v3
	s_wait_xcnt 0x1
	s_delay_alu instid0(VALU_DEP_1) | instskip(NEXT) | instid1(VALU_DEP_1)
	v_bfe_u32 v6, v3, 16, 1
	v_add3_u32 v3, v3, v6, 0x7fff
	s_delay_alu instid0(VALU_DEP_1)
	v_lshrrev_b32_e32 v3, 16, v3
.LBB48_1069:
	s_mov_b32 s47, 0
.LBB48_1070:
	s_delay_alu instid0(SALU_CYCLE_1)
	s_and_not1_b32 vcc_lo, exec_lo, s47
	s_cbranch_vccnz .LBB48_1076
; %bb.1071:
	s_cmp_gt_i32 s0, 0
	s_mov_b32 s0, 0
	s_cbranch_scc0 .LBB48_1073
; %bb.1072:
	s_wait_loadcnt 0x0
	global_load_i8 v3, v[4:5], off
	s_wait_loadcnt 0x0
	v_cvt_f32_i32_e32 v3, v3
	s_wait_xcnt 0x1
	s_delay_alu instid0(VALU_DEP_1) | instskip(NEXT) | instid1(VALU_DEP_1)
	v_bfe_u32 v6, v3, 16, 1
	v_add3_u32 v3, v3, v6, 0x7fff
	s_delay_alu instid0(VALU_DEP_1)
	v_lshrrev_b32_e32 v3, 16, v3
	s_branch .LBB48_1074
.LBB48_1073:
	s_mov_b32 s0, -1
                                        ; implicit-def: $vgpr3
.LBB48_1074:
	s_delay_alu instid0(SALU_CYCLE_1)
	s_and_not1_b32 vcc_lo, exec_lo, s0
	s_cbranch_vccnz .LBB48_1076
; %bb.1075:
	s_wait_loadcnt 0x0
	global_load_u8 v3, v[4:5], off
	s_wait_loadcnt 0x0
	v_cvt_f32_ubyte0_e32 v3, v3
	s_wait_xcnt 0x0
	s_delay_alu instid0(VALU_DEP_1) | instskip(NEXT) | instid1(VALU_DEP_1)
	v_bfe_u32 v4, v3, 16, 1
	v_add3_u32 v3, v3, v4, 0x7fff
	s_delay_alu instid0(VALU_DEP_1)
	v_lshrrev_b32_e32 v3, 16, v3
.LBB48_1076:
	s_mov_b32 s48, -1
.LBB48_1077:
	s_delay_alu instid0(SALU_CYCLE_1)
	s_and_not1_b32 vcc_lo, exec_lo, s48
	s_cbranch_vccnz .LBB48_1087
; %bb.1078:
	s_wait_loadcnt 0x0
	v_lshlrev_b32_e32 v4, 16, v1
	s_mov_b32 s0, exec_lo
	s_delay_alu instid0(VALU_DEP_1)
	v_cmpx_nlt_f32_e32 0, v4
	s_cbranch_execz .LBB48_1080
; %bb.1079:
	v_lshlrev_b32_e32 v1, 16, v3
	s_delay_alu instid0(VALU_DEP_1) | instskip(NEXT) | instid1(VALU_DEP_1)
	v_mul_f32_e32 v1, v4, v1
	v_bfe_u32 v3, v1, 16, 1
	v_cmp_o_f32_e32 vcc_lo, v1, v1
	s_delay_alu instid0(VALU_DEP_2) | instskip(NEXT) | instid1(VALU_DEP_1)
	v_add3_u32 v3, v1, v3, 0x7fff
	v_lshrrev_b32_e32 v3, 16, v3
	s_delay_alu instid0(VALU_DEP_1)
	v_cndmask_b32_e32 v1, 0x7fc0, v3, vcc_lo
.LBB48_1080:
	s_or_b32 exec_lo, exec_lo, s0
	v_mov_b32_e32 v3, 0
	s_and_b32 s47, s31, 0xff
	s_delay_alu instid0(SALU_CYCLE_1) | instskip(NEXT) | instid1(VALU_DEP_1)
	s_cmp_lt_i32 s47, 11
	v_add_nc_u64_e32 v[2:3], s[4:5], v[2:3]
	s_cbranch_scc1 .LBB48_1088
; %bb.1081:
	s_and_b32 s48, 0xffff, s47
	s_delay_alu instid0(SALU_CYCLE_1)
	s_cmp_gt_i32 s48, 25
	s_cbranch_scc0 .LBB48_1089
; %bb.1082:
	s_cmp_gt_i32 s48, 28
	s_cbranch_scc0 .LBB48_1090
; %bb.1083:
	;; [unrolled: 3-line block ×4, first 2 shown]
	s_mov_b32 s50, 0
	s_mov_b32 s0, -1
	s_cmp_eq_u32 s48, 46
	s_mov_b32 s49, 0
	s_cbranch_scc0 .LBB48_1093
; %bb.1086:
	v_and_b32_e32 v4, 0xffff, v1
	s_mov_b32 s49, -1
	s_mov_b32 s0, 0
	global_store_b32 v[2:3], v4, off
	s_branch .LBB48_1093
.LBB48_1087:
	s_mov_b32 s50, 0
	s_mov_b32 s0, s43
	s_branch .LBB48_1204
.LBB48_1088:
	s_mov_b32 s48, -1
	s_mov_b32 s49, 0
	s_mov_b32 s0, s43
	s_branch .LBB48_1162
.LBB48_1089:
	s_mov_b32 s50, -1
	s_mov_b32 s49, 0
	s_mov_b32 s0, s43
	s_branch .LBB48_1120
.LBB48_1090:
	s_mov_b32 s50, -1
	s_mov_b32 s49, 0
	s_mov_b32 s0, s43
	s_branch .LBB48_1103
.LBB48_1091:
	s_mov_b32 s50, -1
	s_mov_b32 s49, 0
	s_mov_b32 s0, s43
	s_branch .LBB48_1099
.LBB48_1092:
	s_mov_b32 s50, -1
	s_mov_b32 s49, 0
	s_mov_b32 s0, s43
.LBB48_1093:
	s_and_b32 vcc_lo, exec_lo, s50
	s_cbranch_vccz .LBB48_1098
; %bb.1094:
	s_cmp_eq_u32 s48, 44
	s_mov_b32 s0, -1
	s_cbranch_scc0 .LBB48_1098
; %bb.1095:
	s_wait_xcnt 0x0
	v_and_b32_e32 v4, 0xffff, v1
	v_mov_b32_e32 v5, 0xff
	s_mov_b32 s49, exec_lo
	s_delay_alu instid0(VALU_DEP_2) | instskip(NEXT) | instid1(VALU_DEP_1)
	v_bfe_u32 v6, v4, 7, 8
	v_cmpx_ne_u32_e32 0xff, v6
	s_cbranch_execz .LBB48_1097
; %bb.1096:
	v_dual_lshlrev_b32 v5, 16, v4 :: v_dual_bitop2_b32 v7, 64, v4 bitop3:0x40
	v_lshrrev_b32_e32 v4, 7, v4
	s_delay_alu instid0(VALU_DEP_2) | instskip(NEXT) | instid1(VALU_DEP_3)
	v_and_or_b32 v5, 0x3f0000, v5, v6
	v_cmp_ne_u32_e32 vcc_lo, 0, v7
	s_delay_alu instid0(VALU_DEP_2) | instskip(SKIP_1) | instid1(SALU_CYCLE_1)
	v_cmp_ne_u32_e64 s0, 0, v5
	s_and_b32 s0, vcc_lo, s0
	v_cndmask_b32_e64 v5, 0, 1, s0
	s_delay_alu instid0(VALU_DEP_1)
	v_add_nc_u32_e32 v5, v4, v5
.LBB48_1097:
	s_or_b32 exec_lo, exec_lo, s49
	s_mov_b32 s49, -1
	s_mov_b32 s0, 0
	global_store_b8 v[2:3], v5, off
.LBB48_1098:
	s_mov_b32 s50, 0
.LBB48_1099:
	s_delay_alu instid0(SALU_CYCLE_1)
	s_and_b32 vcc_lo, exec_lo, s50
	s_cbranch_vccz .LBB48_1102
; %bb.1100:
	s_cmp_eq_u32 s48, 29
	s_mov_b32 s0, -1
	s_cbranch_scc0 .LBB48_1102
; %bb.1101:
	s_wait_xcnt 0x0
	v_lshlrev_b32_e32 v4, 16, v1
	s_mov_b32 s49, -1
	s_mov_b32 s0, 0
	s_mov_b32 s50, 0
	s_delay_alu instid0(VALU_DEP_1) | instskip(NEXT) | instid1(VALU_DEP_1)
	v_trunc_f32_e32 v4, v4
	v_mul_f32_e32 v5, 0x2f800000, v4
	s_delay_alu instid0(VALU_DEP_1) | instskip(NEXT) | instid1(VALU_DEP_1)
	v_floor_f32_e32 v5, v5
	v_fmamk_f32 v4, v5, 0xcf800000, v4
	v_cvt_u32_f32_e32 v5, v5
	s_delay_alu instid0(VALU_DEP_2)
	v_cvt_u32_f32_e32 v4, v4
	global_store_b64 v[2:3], v[4:5], off
	s_branch .LBB48_1103
.LBB48_1102:
	s_mov_b32 s50, 0
.LBB48_1103:
	s_delay_alu instid0(SALU_CYCLE_1)
	s_and_b32 vcc_lo, exec_lo, s50
	s_cbranch_vccz .LBB48_1119
; %bb.1104:
	s_cmp_lt_i32 s48, 27
	s_mov_b32 s49, -1
	s_cbranch_scc1 .LBB48_1110
; %bb.1105:
	s_cmp_gt_i32 s48, 27
	s_cbranch_scc0 .LBB48_1107
; %bb.1106:
	s_wait_xcnt 0x0
	v_lshlrev_b32_e32 v4, 16, v1
	s_mov_b32 s49, 0
	s_delay_alu instid0(VALU_DEP_1)
	v_cvt_u32_f32_e32 v4, v4
	global_store_b32 v[2:3], v4, off
.LBB48_1107:
	s_and_not1_b32 vcc_lo, exec_lo, s49
	s_cbranch_vccnz .LBB48_1109
; %bb.1108:
	s_wait_xcnt 0x0
	v_lshlrev_b32_e32 v4, 16, v1
	s_delay_alu instid0(VALU_DEP_1)
	v_cvt_u32_f32_e32 v4, v4
	global_store_b16 v[2:3], v4, off
.LBB48_1109:
	s_mov_b32 s49, 0
.LBB48_1110:
	s_delay_alu instid0(SALU_CYCLE_1)
	s_and_not1_b32 vcc_lo, exec_lo, s49
	s_cbranch_vccnz .LBB48_1118
; %bb.1111:
	v_dual_mov_b32 v7, 0x80 :: v_dual_lshlrev_b32 v6, 16, v1
	s_mov_b32 s49, exec_lo
	s_wait_xcnt 0x0
	s_delay_alu instid0(VALU_DEP_1) | instskip(NEXT) | instid1(VALU_DEP_1)
	v_and_b32_e32 v5, 0x7fffffff, v6
	v_cmpx_gt_u32_e32 0x43800000, v5
	s_cbranch_execz .LBB48_1117
; %bb.1112:
	v_and_b32_e32 v4, 0xffff, v1
	v_cmp_lt_u32_e32 vcc_lo, 0x3bffffff, v5
	s_mov_b32 s50, 0
                                        ; implicit-def: $vgpr5
	s_and_saveexec_b32 s51, vcc_lo
	s_delay_alu instid0(SALU_CYCLE_1)
	s_xor_b32 s51, exec_lo, s51
	s_cbranch_execz .LBB48_1232
; %bb.1113:
	v_bfe_u32 v5, v4, 4, 1
	s_mov_b32 s50, exec_lo
	s_delay_alu instid0(VALU_DEP_1) | instskip(NEXT) | instid1(VALU_DEP_1)
	v_add3_u32 v5, v6, v5, 0x487ffff
                                        ; implicit-def: $vgpr6
	v_lshrrev_b32_e32 v5, 20, v5
	s_and_not1_saveexec_b32 s51, s51
	s_cbranch_execnz .LBB48_1233
.LBB48_1114:
	s_or_b32 exec_lo, exec_lo, s51
	v_mov_b32_e32 v7, 0
	s_and_saveexec_b32 s51, s50
.LBB48_1115:
	v_lshrrev_b32_e32 v4, 8, v4
	s_delay_alu instid0(VALU_DEP_1)
	v_and_or_b32 v7, 0x80, v4, v5
.LBB48_1116:
	s_or_b32 exec_lo, exec_lo, s51
.LBB48_1117:
	s_delay_alu instid0(SALU_CYCLE_1)
	s_or_b32 exec_lo, exec_lo, s49
	global_store_b8 v[2:3], v7, off
.LBB48_1118:
	s_mov_b32 s49, -1
.LBB48_1119:
	s_mov_b32 s50, 0
.LBB48_1120:
	s_delay_alu instid0(SALU_CYCLE_1)
	s_and_b32 vcc_lo, exec_lo, s50
	s_cbranch_vccz .LBB48_1161
; %bb.1121:
	s_cmp_gt_i32 s48, 22
	s_mov_b32 s50, -1
	s_cbranch_scc0 .LBB48_1153
; %bb.1122:
	s_cmp_lt_i32 s48, 24
	s_mov_b32 s49, -1
	s_cbranch_scc1 .LBB48_1142
; %bb.1123:
	s_cmp_gt_i32 s48, 24
	s_cbranch_scc0 .LBB48_1131
; %bb.1124:
	s_wait_xcnt 0x0
	v_dual_mov_b32 v7, 0x80 :: v_dual_lshlrev_b32 v6, 16, v1
	s_mov_b32 s49, exec_lo
	s_delay_alu instid0(VALU_DEP_1) | instskip(NEXT) | instid1(VALU_DEP_1)
	v_and_b32_e32 v5, 0x7fffffff, v6
	v_cmpx_gt_u32_e32 0x47800000, v5
	s_cbranch_execz .LBB48_1130
; %bb.1125:
	v_and_b32_e32 v4, 0xffff, v1
	v_cmp_lt_u32_e32 vcc_lo, 0x37ffffff, v5
	s_mov_b32 s50, 0
                                        ; implicit-def: $vgpr5
	s_and_saveexec_b32 s51, vcc_lo
	s_delay_alu instid0(SALU_CYCLE_1)
	s_xor_b32 s51, exec_lo, s51
	s_cbranch_execz .LBB48_2310
; %bb.1126:
	v_bfe_u32 v5, v4, 5, 1
	s_mov_b32 s50, exec_lo
	s_delay_alu instid0(VALU_DEP_1) | instskip(NEXT) | instid1(VALU_DEP_1)
	v_add3_u32 v5, v6, v5, 0x88fffff
                                        ; implicit-def: $vgpr6
	v_lshrrev_b32_e32 v5, 21, v5
	s_and_not1_saveexec_b32 s51, s51
	s_cbranch_execnz .LBB48_2311
.LBB48_1127:
	s_or_b32 exec_lo, exec_lo, s51
	v_mov_b32_e32 v7, 0
	s_and_saveexec_b32 s51, s50
.LBB48_1128:
	v_lshrrev_b32_e32 v4, 8, v4
	s_delay_alu instid0(VALU_DEP_1)
	v_and_or_b32 v7, 0x80, v4, v5
.LBB48_1129:
	s_or_b32 exec_lo, exec_lo, s51
.LBB48_1130:
	s_delay_alu instid0(SALU_CYCLE_1)
	s_or_b32 exec_lo, exec_lo, s49
	s_mov_b32 s49, 0
	global_store_b8 v[2:3], v7, off
.LBB48_1131:
	s_and_b32 vcc_lo, exec_lo, s49
	s_cbranch_vccz .LBB48_1141
; %bb.1132:
	v_lshlrev_b32_e32 v6, 16, v1
	s_wait_xcnt 0x0
	v_and_b32_e32 v4, 0xffff, v1
	s_mov_b32 s49, exec_lo
                                        ; implicit-def: $vgpr5
	s_delay_alu instid0(VALU_DEP_2) | instskip(NEXT) | instid1(VALU_DEP_1)
	v_and_b32_e32 v7, 0x7fffffff, v6
	v_cmpx_gt_u32_e32 0x43f00000, v7
	s_xor_b32 s49, exec_lo, s49
	s_cbranch_execz .LBB48_1138
; %bb.1133:
	s_mov_b32 s50, exec_lo
                                        ; implicit-def: $vgpr5
	v_cmpx_lt_u32_e32 0x3c7fffff, v7
	s_xor_b32 s50, exec_lo, s50
; %bb.1134:
	v_bfe_u32 v5, v4, 4, 1
	s_delay_alu instid0(VALU_DEP_1) | instskip(NEXT) | instid1(VALU_DEP_1)
	v_add3_u32 v5, v6, v5, 0x407ffff
	v_and_b32_e32 v6, 0xff00000, v5
	v_lshrrev_b32_e32 v5, 20, v5
	s_delay_alu instid0(VALU_DEP_2) | instskip(NEXT) | instid1(VALU_DEP_2)
	v_cmp_ne_u32_e32 vcc_lo, 0x7f00000, v6
                                        ; implicit-def: $vgpr6
	v_cndmask_b32_e32 v5, 0x7e, v5, vcc_lo
; %bb.1135:
	s_and_not1_saveexec_b32 s50, s50
; %bb.1136:
	v_add_f32_e64 v5, 0x46800000, |v6|
; %bb.1137:
	s_or_b32 exec_lo, exec_lo, s50
                                        ; implicit-def: $vgpr7
.LBB48_1138:
	s_and_not1_saveexec_b32 s49, s49
; %bb.1139:
	v_mov_b32_e32 v5, 0x7f
	v_cmp_lt_u32_e32 vcc_lo, 0x7f800000, v7
	s_delay_alu instid0(VALU_DEP_2)
	v_cndmask_b32_e32 v5, 0x7e, v5, vcc_lo
; %bb.1140:
	s_or_b32 exec_lo, exec_lo, s49
	v_lshrrev_b32_e32 v4, 8, v4
	s_delay_alu instid0(VALU_DEP_1)
	v_and_or_b32 v4, 0x80, v4, v5
	global_store_b8 v[2:3], v4, off
.LBB48_1141:
	s_mov_b32 s49, 0
.LBB48_1142:
	s_delay_alu instid0(SALU_CYCLE_1)
	s_and_not1_b32 vcc_lo, exec_lo, s49
	s_cbranch_vccnz .LBB48_1152
; %bb.1143:
	v_lshlrev_b32_e32 v6, 16, v1
	s_wait_xcnt 0x0
	v_and_b32_e32 v4, 0xffff, v1
	s_mov_b32 s49, exec_lo
                                        ; implicit-def: $vgpr5
	s_delay_alu instid0(VALU_DEP_2) | instskip(NEXT) | instid1(VALU_DEP_1)
	v_and_b32_e32 v7, 0x7fffffff, v6
	v_cmpx_gt_u32_e32 0x47800000, v7
	s_xor_b32 s49, exec_lo, s49
	s_cbranch_execz .LBB48_1149
; %bb.1144:
	s_mov_b32 s50, exec_lo
                                        ; implicit-def: $vgpr5
	v_cmpx_lt_u32_e32 0x387fffff, v7
	s_xor_b32 s50, exec_lo, s50
; %bb.1145:
	v_bfe_u32 v5, v4, 5, 1
	s_delay_alu instid0(VALU_DEP_1) | instskip(NEXT) | instid1(VALU_DEP_1)
	v_add3_u32 v5, v6, v5, 0x80fffff
                                        ; implicit-def: $vgpr6
	v_lshrrev_b32_e32 v5, 21, v5
; %bb.1146:
	s_and_not1_saveexec_b32 s50, s50
; %bb.1147:
	v_add_f32_e64 v5, 0x43000000, |v6|
; %bb.1148:
	s_or_b32 exec_lo, exec_lo, s50
                                        ; implicit-def: $vgpr7
.LBB48_1149:
	s_and_not1_saveexec_b32 s49, s49
; %bb.1150:
	v_mov_b32_e32 v5, 0x7f
	v_cmp_lt_u32_e32 vcc_lo, 0x7f800000, v7
	s_delay_alu instid0(VALU_DEP_2)
	v_cndmask_b32_e32 v5, 0x7c, v5, vcc_lo
; %bb.1151:
	s_or_b32 exec_lo, exec_lo, s49
	v_lshrrev_b32_e32 v4, 8, v4
	s_delay_alu instid0(VALU_DEP_1)
	v_and_or_b32 v4, 0x80, v4, v5
	global_store_b8 v[2:3], v4, off
.LBB48_1152:
	s_mov_b32 s50, 0
	s_mov_b32 s49, -1
.LBB48_1153:
	s_and_not1_b32 vcc_lo, exec_lo, s50
	s_cbranch_vccnz .LBB48_1161
; %bb.1154:
	s_cmp_gt_i32 s48, 14
	s_mov_b32 s50, -1
	s_cbranch_scc0 .LBB48_1158
; %bb.1155:
	s_cmp_eq_u32 s48, 15
	s_mov_b32 s0, -1
	s_cbranch_scc0 .LBB48_1157
; %bb.1156:
	s_mov_b32 s49, -1
	s_mov_b32 s0, 0
	global_store_b16 v[2:3], v1, off
.LBB48_1157:
	s_mov_b32 s50, 0
.LBB48_1158:
	s_delay_alu instid0(SALU_CYCLE_1)
	s_and_b32 vcc_lo, exec_lo, s50
	s_cbranch_vccz .LBB48_1161
; %bb.1159:
	s_cmp_eq_u32 s48, 11
	s_mov_b32 s0, -1
	s_cbranch_scc0 .LBB48_1161
; %bb.1160:
	s_wait_xcnt 0x0
	v_and_b32_e32 v4, 0x7fff, v1
	s_mov_b32 s0, 0
	s_mov_b32 s49, -1
	s_delay_alu instid0(VALU_DEP_1)
	v_cmp_ne_u16_e32 vcc_lo, 0, v4
	v_cndmask_b32_e64 v4, 0, 1, vcc_lo
	global_store_b8 v[2:3], v4, off
.LBB48_1161:
	s_mov_b32 s48, 0
.LBB48_1162:
	s_delay_alu instid0(SALU_CYCLE_1)
	s_and_b32 vcc_lo, exec_lo, s48
	s_cbranch_vccz .LBB48_1201
; %bb.1163:
	s_and_b32 s47, 0xffff, s47
	s_mov_b32 s48, -1
	s_cmp_lt_i32 s47, 5
	s_cbranch_scc1 .LBB48_1184
; %bb.1164:
	s_cmp_lt_i32 s47, 8
	s_cbranch_scc1 .LBB48_1174
; %bb.1165:
	;; [unrolled: 3-line block ×3, first 2 shown]
	s_cmp_gt_i32 s47, 9
	s_cbranch_scc0 .LBB48_1168
; %bb.1167:
	s_wait_xcnt 0x0
	v_dual_lshlrev_b32 v4, 16, v1 :: v_dual_mov_b32 v6, 0
	s_mov_b32 s48, 0
	s_delay_alu instid0(VALU_DEP_1) | instskip(NEXT) | instid1(VALU_DEP_2)
	v_cvt_f64_f32_e32 v[4:5], v4
	v_mov_b32_e32 v7, v6
	global_store_b128 v[2:3], v[4:7], off
.LBB48_1168:
	s_and_not1_b32 vcc_lo, exec_lo, s48
	s_cbranch_vccnz .LBB48_1170
; %bb.1169:
	s_wait_xcnt 0x0
	v_dual_mov_b32 v5, 0 :: v_dual_lshlrev_b32 v4, 16, v1
	global_store_b64 v[2:3], v[4:5], off
.LBB48_1170:
	s_mov_b32 s48, 0
.LBB48_1171:
	s_delay_alu instid0(SALU_CYCLE_1)
	s_and_not1_b32 vcc_lo, exec_lo, s48
	s_cbranch_vccnz .LBB48_1173
; %bb.1172:
	s_wait_xcnt 0x0
	v_lshlrev_b32_e32 v4, 16, v1
	s_delay_alu instid0(VALU_DEP_1) | instskip(NEXT) | instid1(VALU_DEP_1)
	v_cvt_f16_f32_e32 v4, v4
	v_and_b32_e32 v4, 0xffff, v4
	global_store_b32 v[2:3], v4, off
.LBB48_1173:
	s_mov_b32 s48, 0
.LBB48_1174:
	s_delay_alu instid0(SALU_CYCLE_1)
	s_and_not1_b32 vcc_lo, exec_lo, s48
	s_cbranch_vccnz .LBB48_1183
; %bb.1175:
	s_cmp_lt_i32 s47, 6
	s_mov_b32 s48, -1
	s_cbranch_scc1 .LBB48_1181
; %bb.1176:
	s_cmp_gt_i32 s47, 6
	s_cbranch_scc0 .LBB48_1178
; %bb.1177:
	s_wait_xcnt 0x0
	v_lshlrev_b32_e32 v4, 16, v1
	s_mov_b32 s48, 0
	s_delay_alu instid0(VALU_DEP_1)
	v_cvt_f64_f32_e32 v[4:5], v4
	global_store_b64 v[2:3], v[4:5], off
.LBB48_1178:
	s_and_not1_b32 vcc_lo, exec_lo, s48
	s_cbranch_vccnz .LBB48_1180
; %bb.1179:
	s_wait_xcnt 0x0
	v_lshlrev_b32_e32 v4, 16, v1
	global_store_b32 v[2:3], v4, off
.LBB48_1180:
	s_mov_b32 s48, 0
.LBB48_1181:
	s_delay_alu instid0(SALU_CYCLE_1)
	s_and_not1_b32 vcc_lo, exec_lo, s48
	s_cbranch_vccnz .LBB48_1183
; %bb.1182:
	s_wait_xcnt 0x0
	v_lshlrev_b32_e32 v4, 16, v1
	s_delay_alu instid0(VALU_DEP_1)
	v_cvt_f16_f32_e32 v4, v4
	global_store_b16 v[2:3], v4, off
.LBB48_1183:
	s_mov_b32 s48, 0
.LBB48_1184:
	s_delay_alu instid0(SALU_CYCLE_1)
	s_and_not1_b32 vcc_lo, exec_lo, s48
	s_cbranch_vccnz .LBB48_1200
; %bb.1185:
	s_cmp_lt_i32 s47, 2
	s_mov_b32 s48, -1
	s_cbranch_scc1 .LBB48_1195
; %bb.1186:
	s_cmp_lt_i32 s47, 3
	s_cbranch_scc1 .LBB48_1192
; %bb.1187:
	s_cmp_gt_i32 s47, 3
	s_cbranch_scc0 .LBB48_1189
; %bb.1188:
	s_wait_xcnt 0x0
	v_lshlrev_b32_e32 v4, 16, v1
	s_mov_b32 s48, 0
	s_delay_alu instid0(VALU_DEP_1) | instskip(NEXT) | instid1(VALU_DEP_1)
	v_trunc_f32_e32 v4, v4
	v_mul_f32_e64 v5, 0x2f800000, |v4|
	s_delay_alu instid0(VALU_DEP_1) | instskip(NEXT) | instid1(VALU_DEP_1)
	v_floor_f32_e32 v5, v5
	v_fma_f32 v6, 0xcf800000, v5, |v4|
	v_ashrrev_i32_e32 v4, 31, v4
	v_cvt_u32_f32_e32 v7, v5
	s_delay_alu instid0(VALU_DEP_3) | instskip(NEXT) | instid1(VALU_DEP_2)
	v_cvt_u32_f32_e32 v6, v6
	v_dual_mov_b32 v5, v4 :: v_dual_bitop2_b32 v7, v7, v4 bitop3:0x14
	s_delay_alu instid0(VALU_DEP_2) | instskip(NEXT) | instid1(VALU_DEP_1)
	v_xor_b32_e32 v6, v6, v4
	v_sub_nc_u64_e32 v[4:5], v[6:7], v[4:5]
	global_store_b64 v[2:3], v[4:5], off
.LBB48_1189:
	s_and_not1_b32 vcc_lo, exec_lo, s48
	s_cbranch_vccnz .LBB48_1191
; %bb.1190:
	s_wait_xcnt 0x0
	v_lshlrev_b32_e32 v4, 16, v1
	s_delay_alu instid0(VALU_DEP_1)
	v_cvt_i32_f32_e32 v4, v4
	global_store_b32 v[2:3], v4, off
.LBB48_1191:
	s_mov_b32 s48, 0
.LBB48_1192:
	s_delay_alu instid0(SALU_CYCLE_1)
	s_and_not1_b32 vcc_lo, exec_lo, s48
	s_cbranch_vccnz .LBB48_1194
; %bb.1193:
	s_wait_xcnt 0x0
	v_lshlrev_b32_e32 v4, 16, v1
	s_delay_alu instid0(VALU_DEP_1)
	v_cvt_i32_f32_e32 v4, v4
	global_store_b16 v[2:3], v4, off
.LBB48_1194:
	s_mov_b32 s48, 0
.LBB48_1195:
	s_delay_alu instid0(SALU_CYCLE_1)
	s_and_not1_b32 vcc_lo, exec_lo, s48
	s_cbranch_vccnz .LBB48_1200
; %bb.1196:
	s_wait_xcnt 0x0
	v_lshlrev_b32_e32 v1, 16, v1
	s_cmp_gt_i32 s47, 0
	s_mov_b32 s47, -1
	s_cbranch_scc0 .LBB48_1198
; %bb.1197:
	s_delay_alu instid0(VALU_DEP_1)
	v_cvt_i32_f32_e32 v4, v1
	s_mov_b32 s47, 0
	global_store_b8 v[2:3], v4, off
.LBB48_1198:
	s_and_not1_b32 vcc_lo, exec_lo, s47
	s_cbranch_vccnz .LBB48_1200
; %bb.1199:
	v_trunc_f32_e32 v1, v1
	s_wait_xcnt 0x0
	s_delay_alu instid0(VALU_DEP_1) | instskip(NEXT) | instid1(VALU_DEP_1)
	v_mul_f32_e64 v4, 0x2f800000, |v1|
	v_floor_f32_e32 v4, v4
	s_delay_alu instid0(VALU_DEP_1) | instskip(SKIP_1) | instid1(VALU_DEP_2)
	v_fma_f32 v4, 0xcf800000, v4, |v1|
	v_ashrrev_i32_e32 v1, 31, v1
	v_cvt_u32_f32_e32 v4, v4
	s_delay_alu instid0(VALU_DEP_1) | instskip(NEXT) | instid1(VALU_DEP_1)
	v_xor_b32_e32 v4, v4, v1
	v_sub_nc_u32_e32 v1, v4, v1
	global_store_b8 v[2:3], v1, off
.LBB48_1200:
	s_mov_b32 s49, -1
.LBB48_1201:
	s_delay_alu instid0(SALU_CYCLE_1)
	s_and_not1_b32 vcc_lo, exec_lo, s49
	s_cbranch_vccnz .LBB48_1203
; %bb.1202:
	v_add_nc_u32_e32 v0, 0x80, v0
	s_mov_b32 s50, -1
	s_branch .LBB48_1205
.LBB48_1203:
	s_mov_b32 s50, 0
.LBB48_1204:
                                        ; implicit-def: $vgpr0
.LBB48_1205:
	s_and_not1_b32 s47, s43, exec_lo
	s_and_b32 s0, s0, exec_lo
	s_and_b32 s25, s25, exec_lo
	s_or_b32 s48, s47, s0
	s_and_not1_b32 s0, s44, exec_lo
	s_and_not1_b32 s47, s42, exec_lo
	s_and_b32 s24, s24, exec_lo
	s_or_b32 s49, s0, s25
	s_or_b32 s47, s47, s24
	s_or_not1_b32 s51, s50, exec_lo
.LBB48_1206:
	s_wait_xcnt 0x0
	s_or_b32 exec_lo, exec_lo, s46
	s_mov_b32 s25, 0
	s_mov_b32 s50, 0
	;; [unrolled: 1-line block ×3, first 2 shown]
                                        ; implicit-def: $sgpr0
                                        ; implicit-def: $vgpr6_vgpr7
                                        ; implicit-def: $vgpr4
                                        ; implicit-def: $vgpr2
                                        ; implicit-def: $vgpr8
	s_and_saveexec_b32 s46, s51
	s_cbranch_execz .LBB48_1301
; %bb.1207:
	v_cmp_gt_i32_e32 vcc_lo, s36, v0
	s_mov_b32 s51, s47
                                        ; implicit-def: $sgpr0
                                        ; implicit-def: $vgpr6_vgpr7
                                        ; implicit-def: $vgpr4
                                        ; implicit-def: $vgpr2
                                        ; implicit-def: $vgpr8
	s_and_saveexec_b32 s36, vcc_lo
	s_cbranch_execz .LBB48_1300
; %bb.1208:
	s_and_not1_b32 vcc_lo, exec_lo, s29
	s_cbranch_vccnz .LBB48_1214
; %bb.1209:
	s_and_not1_b32 vcc_lo, exec_lo, s37
	s_cbranch_vccnz .LBB48_1215
; %bb.1210:
	s_wait_loadcnt 0x0
	v_dual_mov_b32 v2, 0 :: v_dual_mov_b32 v1, v0
	v_dual_mov_b32 v6, 0 :: v_dual_mov_b32 v4, 0
	s_add_co_i32 s0, s35, 1
	s_mov_b64 s[24:25], 0xffffffffffffffe8
	s_and_b32 s0, s0, 30
	s_add_nc_u64 s[24:25], s[2:3], s[24:25]
.LBB48_1211:                            ; =>This Inner Loop Header: Depth=1
	s_clause 0x1
	s_load_b128 s[52:55], s[24:25], 0x1c
	s_load_b64 s[50:51], s[24:25], 0x2c
	s_add_co_i32 s0, s0, -2
	s_delay_alu instid0(SALU_CYCLE_1) | instskip(SKIP_2) | instid1(VALU_DEP_1)
	s_cmp_eq_u32 s0, 0
	s_wait_kmcnt 0x0
	v_mul_hi_u32 v3, s53, v1
	v_add_nc_u32_e32 v3, v1, v3
	s_delay_alu instid0(VALU_DEP_1) | instskip(NEXT) | instid1(VALU_DEP_1)
	v_lshrrev_b32_e32 v3, s54, v3
	v_mul_hi_u32 v5, s50, v3
	v_mul_lo_u32 v7, v3, s52
	s_clause 0x1
	s_load_b128 s[56:59], s[24:25], 0xdc
	s_load_b64 s[52:53], s[24:25], 0xec
	s_wait_xcnt 0x0
	s_add_nc_u64 s[24:25], s[24:25], 24
	s_delay_alu instid0(VALU_DEP_1) | instskip(NEXT) | instid1(VALU_DEP_1)
	v_dual_add_nc_u32 v5, v3, v5 :: v_dual_sub_nc_u32 v7, v1, v7
	v_lshrrev_b32_e32 v1, s51, v5
	s_wait_kmcnt 0x0
	s_delay_alu instid0(VALU_DEP_2) | instskip(NEXT) | instid1(VALU_DEP_2)
	v_mad_u32 v2, v7, s56, v2
	v_mul_lo_u32 v5, v1, s55
	v_mad_u32 v4, v7, s58, v4
	v_mad_u32 v6, v7, s57, v6
	s_delay_alu instid0(VALU_DEP_3) | instskip(NEXT) | instid1(VALU_DEP_1)
	v_sub_nc_u32_e32 v3, v3, v5
	v_mad_u32 v2, v3, s59, v2
	s_delay_alu instid0(VALU_DEP_4) | instskip(NEXT) | instid1(VALU_DEP_4)
	v_mad_u32 v4, v3, s53, v4
	v_mad_u32 v6, v3, s52, v6
	s_cbranch_scc0 .LBB48_1211
; %bb.1212:
	s_bitcmp1_b32 s35, 0
	s_cselect_b32 s0, -1, 0
	s_delay_alu instid0(SALU_CYCLE_1)
	s_and_b32 vcc_lo, exec_lo, s0
	s_cbranch_vccnz .LBB48_1216
; %bb.1213:
	s_clause 0x1
	s_load_b96 s[52:54], s[24:25], 0x1c
	s_load_b96 s[56:58], s[24:25], 0xdc
	s_wait_kmcnt 0x0
	v_mul_hi_u32 v3, s53, v1
	s_delay_alu instid0(VALU_DEP_1) | instskip(NEXT) | instid1(VALU_DEP_1)
	v_add_nc_u32_e32 v3, v1, v3
	v_lshrrev_b32_e32 v3, s54, v3
	s_delay_alu instid0(VALU_DEP_1) | instskip(NEXT) | instid1(VALU_DEP_1)
	v_mul_lo_u32 v3, v3, s52
	v_sub_nc_u32_e32 v1, v1, v3
	s_delay_alu instid0(VALU_DEP_1)
	v_mad_u32 v2, v1, s56, v2
	v_mad_u32 v6, v1, s57, v6
	;; [unrolled: 1-line block ×3, first 2 shown]
	s_branch .LBB48_1216
.LBB48_1214:
	s_mov_b32 s0, -1
                                        ; implicit-def: $vgpr4
                                        ; implicit-def: $vgpr6
                                        ; implicit-def: $vgpr2
	s_branch .LBB48_1217
.LBB48_1215:
	v_dual_mov_b32 v4, 0 :: v_dual_mov_b32 v6, 0
	v_mov_b32_e32 v2, 0
.LBB48_1216:
	s_mov_b32 s0, 0
.LBB48_1217:
	s_delay_alu instid0(SALU_CYCLE_1)
	s_and_not1_b32 vcc_lo, exec_lo, s0
	s_cbranch_vccnz .LBB48_1220
; %bb.1218:
	s_wait_loadcnt 0x0
	v_mov_b32_e32 v1, 0
	s_and_not1_b32 vcc_lo, exec_lo, s34
	s_delay_alu instid0(VALU_DEP_1) | instskip(NEXT) | instid1(VALU_DEP_1)
	v_mul_u64_e32 v[2:3], s[18:19], v[0:1]
	v_add_nc_u32_e32 v2, v0, v3
	s_delay_alu instid0(VALU_DEP_1) | instskip(NEXT) | instid1(VALU_DEP_1)
	v_lshrrev_b32_e32 v8, s10, v2
	v_mul_lo_u32 v2, v8, s8
	s_delay_alu instid0(VALU_DEP_1) | instskip(NEXT) | instid1(VALU_DEP_1)
	v_sub_nc_u32_e32 v0, v0, v2
	v_mul_lo_u32 v2, v0, s12
	v_mul_lo_u32 v4, v0, s14
	;; [unrolled: 1-line block ×3, first 2 shown]
	s_cbranch_vccnz .LBB48_1220
; %bb.1219:
	v_mov_b32_e32 v9, v1
	s_delay_alu instid0(VALU_DEP_1) | instskip(NEXT) | instid1(VALU_DEP_1)
	v_mul_u64_e32 v[0:1], s[22:23], v[8:9]
	v_add_nc_u32_e32 v0, v8, v1
	s_delay_alu instid0(VALU_DEP_1) | instskip(NEXT) | instid1(VALU_DEP_1)
	v_lshrrev_b32_e32 v0, s1, v0
	v_mul_lo_u32 v0, v0, s11
	s_delay_alu instid0(VALU_DEP_1) | instskip(NEXT) | instid1(VALU_DEP_1)
	v_sub_nc_u32_e32 v0, v8, v0
	v_mad_u32 v2, v0, s15, v2
	v_mad_u32 v6, v0, s20, v6
	;; [unrolled: 1-line block ×3, first 2 shown]
.LBB48_1220:
	v_mov_b32_e32 v7, 0
	s_and_b32 s0, s33, 0xff
	s_delay_alu instid0(SALU_CYCLE_1) | instskip(NEXT) | instid1(VALU_DEP_1)
	s_cmp_lt_i32 s0, 11
	v_add_nc_u64_e32 v[6:7], s[6:7], v[6:7]
	s_cbranch_scc1 .LBB48_1227
; %bb.1221:
	s_and_b32 s1, 0xffff, s0
	s_mov_b32 s7, 0
	s_cmp_gt_i32 s1, 25
	s_cbranch_scc0 .LBB48_1228
; %bb.1222:
	s_cmp_gt_i32 s1, 28
	s_cbranch_scc0 .LBB48_1229
; %bb.1223:
	;; [unrolled: 3-line block ×4, first 2 shown]
	s_cmp_eq_u32 s1, 46
	s_mov_b32 s10, 0
	s_cbranch_scc0 .LBB48_1234
; %bb.1226:
	global_load_b32 v8, v[6:7], off
	s_mov_b32 s6, 0
	s_mov_b32 s8, -1
	s_branch .LBB48_1236
.LBB48_1227:
	s_mov_b32 s1, -1
	s_mov_b32 s8, 0
	s_mov_b32 s7, 0
	s_mov_b32 s6, s47
                                        ; implicit-def: $vgpr8
	s_branch .LBB48_1299
.LBB48_1228:
	s_mov_b32 s10, -1
	s_mov_b32 s8, 0
	s_mov_b32 s6, s47
                                        ; implicit-def: $vgpr8
	s_branch .LBB48_1265
.LBB48_1229:
	s_mov_b32 s10, -1
	s_mov_b32 s8, 0
	s_mov_b32 s6, s47
                                        ; implicit-def: $vgpr8
	s_branch .LBB48_1246
.LBB48_1230:
	s_mov_b32 s10, -1
	s_mov_b32 s8, 0
	s_mov_b32 s6, s47
                                        ; implicit-def: $vgpr8
	s_branch .LBB48_1241
.LBB48_1231:
	s_mov_b32 s10, -1
	s_mov_b32 s8, 0
	s_mov_b32 s6, s47
	s_branch .LBB48_1235
.LBB48_1232:
	s_and_not1_saveexec_b32 s51, s51
	s_cbranch_execz .LBB48_1114
.LBB48_1233:
	v_add_f32_e64 v5, 0x46000000, |v6|
	s_and_not1_b32 s50, s50, exec_lo
	s_delay_alu instid0(VALU_DEP_1) | instskip(NEXT) | instid1(VALU_DEP_1)
	v_and_b32_e32 v5, 0xff, v5
	v_cmp_ne_u32_e32 vcc_lo, 0, v5
	s_and_b32 s52, vcc_lo, exec_lo
	s_delay_alu instid0(SALU_CYCLE_1)
	s_or_b32 s50, s50, s52
	s_or_b32 exec_lo, exec_lo, s51
	v_mov_b32_e32 v7, 0
	s_and_saveexec_b32 s51, s50
	s_cbranch_execnz .LBB48_1115
	s_branch .LBB48_1116
.LBB48_1234:
	s_mov_b32 s6, -1
	s_mov_b32 s8, 0
.LBB48_1235:
                                        ; implicit-def: $vgpr8
.LBB48_1236:
	s_and_b32 vcc_lo, exec_lo, s10
	s_cbranch_vccz .LBB48_1240
; %bb.1237:
	s_cmp_eq_u32 s1, 44
	s_cbranch_scc0 .LBB48_1239
; %bb.1238:
	global_load_u8 v0, v[6:7], off
	s_mov_b32 s6, 0
	s_mov_b32 s8, -1
	s_wait_loadcnt 0x0
	v_lshlrev_b32_e32 v1, 23, v0
	v_cmp_ne_u32_e32 vcc_lo, 0xff, v0
	s_delay_alu instid0(VALU_DEP_2) | instskip(SKIP_1) | instid1(VALU_DEP_2)
	v_cndmask_b32_e32 v1, 0x7f800001, v1, vcc_lo
	v_cmp_ne_u32_e32 vcc_lo, 0, v0
	v_cndmask_b32_e32 v0, 0x400000, v1, vcc_lo
	s_delay_alu instid0(VALU_DEP_1) | instskip(NEXT) | instid1(VALU_DEP_1)
	v_add_nc_u32_e32 v1, 0x7fff, v0
	v_lshrrev_b32_e32 v1, 16, v1
	v_cmp_o_f32_e32 vcc_lo, v0, v0
	s_delay_alu instid0(VALU_DEP_2)
	v_cndmask_b32_e32 v8, 0x7fc0, v1, vcc_lo
	s_branch .LBB48_1240
.LBB48_1239:
	s_mov_b32 s6, -1
                                        ; implicit-def: $vgpr8
.LBB48_1240:
	s_mov_b32 s10, 0
.LBB48_1241:
	s_delay_alu instid0(SALU_CYCLE_1)
	s_and_b32 vcc_lo, exec_lo, s10
	s_cbranch_vccz .LBB48_1245
; %bb.1242:
	s_cmp_eq_u32 s1, 29
	s_cbranch_scc0 .LBB48_1244
; %bb.1243:
	s_wait_loadcnt 0x0
	global_load_b64 v[0:1], v[6:7], off
	s_mov_b32 s6, 0
	s_mov_b32 s8, -1
	s_mov_b32 s10, 0
	s_wait_loadcnt 0x0
	v_clz_i32_u32_e32 v3, v1
	s_delay_alu instid0(VALU_DEP_1) | instskip(NEXT) | instid1(VALU_DEP_1)
	v_min_u32_e32 v3, 32, v3
	v_lshlrev_b64_e32 v[0:1], v3, v[0:1]
	s_delay_alu instid0(VALU_DEP_1) | instskip(NEXT) | instid1(VALU_DEP_1)
	v_min_u32_e32 v0, 1, v0
	v_dual_sub_nc_u32 v1, 32, v3 :: v_dual_bitop2_b32 v0, v1, v0 bitop3:0x54
	s_delay_alu instid0(VALU_DEP_1) | instskip(NEXT) | instid1(VALU_DEP_1)
	v_cvt_f32_u32_e32 v0, v0
	v_ldexp_f32 v0, v0, v1
	s_delay_alu instid0(VALU_DEP_1) | instskip(NEXT) | instid1(VALU_DEP_1)
	v_bfe_u32 v1, v0, 16, 1
	v_add3_u32 v0, v0, v1, 0x7fff
	s_delay_alu instid0(VALU_DEP_1)
	v_lshrrev_b32_e32 v8, 16, v0
	s_branch .LBB48_1246
.LBB48_1244:
	s_mov_b32 s6, -1
                                        ; implicit-def: $vgpr8
.LBB48_1245:
	s_mov_b32 s10, 0
.LBB48_1246:
	s_delay_alu instid0(SALU_CYCLE_1)
	s_and_b32 vcc_lo, exec_lo, s10
	s_cbranch_vccz .LBB48_1264
; %bb.1247:
	s_cmp_lt_i32 s1, 27
	s_cbranch_scc1 .LBB48_1250
; %bb.1248:
	s_cmp_gt_i32 s1, 27
	s_cbranch_scc0 .LBB48_1251
; %bb.1249:
	global_load_b32 v0, v[6:7], off
	s_mov_b32 s8, 0
	s_wait_loadcnt 0x0
	v_cvt_f32_u32_e32 v0, v0
	s_delay_alu instid0(VALU_DEP_1) | instskip(NEXT) | instid1(VALU_DEP_1)
	v_bfe_u32 v1, v0, 16, 1
	v_add3_u32 v0, v0, v1, 0x7fff
	s_delay_alu instid0(VALU_DEP_1)
	v_lshrrev_b32_e32 v8, 16, v0
	s_branch .LBB48_1252
.LBB48_1250:
	s_mov_b32 s8, -1
                                        ; implicit-def: $vgpr8
	s_branch .LBB48_1255
.LBB48_1251:
	s_mov_b32 s8, -1
                                        ; implicit-def: $vgpr8
.LBB48_1252:
	s_delay_alu instid0(SALU_CYCLE_1)
	s_and_not1_b32 vcc_lo, exec_lo, s8
	s_cbranch_vccnz .LBB48_1254
; %bb.1253:
	global_load_u16 v0, v[6:7], off
	s_wait_loadcnt 0x0
	v_cvt_f32_u32_e32 v0, v0
	s_delay_alu instid0(VALU_DEP_1) | instskip(NEXT) | instid1(VALU_DEP_1)
	v_bfe_u32 v1, v0, 16, 1
	v_add3_u32 v0, v0, v1, 0x7fff
	s_delay_alu instid0(VALU_DEP_1)
	v_lshrrev_b32_e32 v8, 16, v0
.LBB48_1254:
	s_mov_b32 s8, 0
.LBB48_1255:
	s_delay_alu instid0(SALU_CYCLE_1)
	s_and_not1_b32 vcc_lo, exec_lo, s8
	s_cbranch_vccnz .LBB48_1263
; %bb.1256:
	global_load_u8 v0, v[6:7], off
	s_mov_b32 s8, 0
	s_mov_b32 s10, exec_lo
	s_wait_loadcnt 0x0
	v_cmpx_lt_i16_e32 0x7f, v0
	s_xor_b32 s10, exec_lo, s10
	s_cbranch_execz .LBB48_1277
; %bb.1257:
	s_mov_b32 s8, -1
	s_mov_b32 s11, exec_lo
	v_cmpx_eq_u16_e32 0x80, v0
; %bb.1258:
	s_xor_b32 s8, exec_lo, -1
; %bb.1259:
	s_or_b32 exec_lo, exec_lo, s11
	s_delay_alu instid0(SALU_CYCLE_1)
	s_and_b32 s8, s8, exec_lo
	s_or_saveexec_b32 s10, s10
	v_mov_b32_e32 v1, 0x7f800001
	s_xor_b32 exec_lo, exec_lo, s10
	s_cbranch_execnz .LBB48_1278
.LBB48_1260:
	s_or_b32 exec_lo, exec_lo, s10
	s_and_saveexec_b32 s10, s8
	s_cbranch_execz .LBB48_1262
.LBB48_1261:
	v_and_b32_e32 v1, 0xffff, v0
	s_delay_alu instid0(VALU_DEP_1) | instskip(SKIP_1) | instid1(VALU_DEP_2)
	v_dual_lshlrev_b32 v0, 24, v0 :: v_dual_bitop2_b32 v3, 7, v1 bitop3:0x40
	v_bfe_u32 v9, v1, 3, 4
	v_and_b32_e32 v0, 0x80000000, v0
	s_delay_alu instid0(VALU_DEP_3) | instskip(NEXT) | instid1(VALU_DEP_3)
	v_clz_i32_u32_e32 v5, v3
	v_cmp_eq_u32_e32 vcc_lo, 0, v9
	s_delay_alu instid0(VALU_DEP_2) | instskip(NEXT) | instid1(VALU_DEP_1)
	v_min_u32_e32 v5, 32, v5
	v_subrev_nc_u32_e32 v8, 28, v5
	v_sub_nc_u32_e32 v5, 29, v5
	s_delay_alu instid0(VALU_DEP_2) | instskip(NEXT) | instid1(VALU_DEP_2)
	v_lshlrev_b32_e32 v1, v8, v1
	v_cndmask_b32_e32 v5, v9, v5, vcc_lo
	s_delay_alu instid0(VALU_DEP_2) | instskip(NEXT) | instid1(VALU_DEP_1)
	v_and_b32_e32 v1, 7, v1
	v_cndmask_b32_e32 v1, v3, v1, vcc_lo
	s_delay_alu instid0(VALU_DEP_3) | instskip(NEXT) | instid1(VALU_DEP_2)
	v_lshl_add_u32 v3, v5, 23, 0x3b800000
	v_lshlrev_b32_e32 v1, 20, v1
	s_delay_alu instid0(VALU_DEP_1)
	v_or3_b32 v1, v0, v3, v1
.LBB48_1262:
	s_or_b32 exec_lo, exec_lo, s10
	s_delay_alu instid0(VALU_DEP_1) | instskip(SKIP_1) | instid1(VALU_DEP_2)
	v_bfe_u32 v0, v1, 16, 1
	v_cmp_o_f32_e32 vcc_lo, v1, v1
	v_add3_u32 v0, v1, v0, 0x7fff
	s_delay_alu instid0(VALU_DEP_1) | instskip(NEXT) | instid1(VALU_DEP_1)
	v_lshrrev_b32_e32 v0, 16, v0
	v_cndmask_b32_e32 v8, 0x7fc0, v0, vcc_lo
.LBB48_1263:
	s_mov_b32 s8, -1
.LBB48_1264:
	s_mov_b32 s10, 0
.LBB48_1265:
	s_delay_alu instid0(SALU_CYCLE_1)
	s_and_b32 vcc_lo, exec_lo, s10
	s_cbranch_vccz .LBB48_1298
; %bb.1266:
	s_cmp_gt_i32 s1, 22
	s_cbranch_scc0 .LBB48_1276
; %bb.1267:
	s_cmp_lt_i32 s1, 24
	s_cbranch_scc1 .LBB48_1279
; %bb.1268:
	s_cmp_gt_i32 s1, 24
	s_cbranch_scc0 .LBB48_1280
; %bb.1269:
	global_load_u8 v0, v[6:7], off
	s_mov_b32 s8, exec_lo
	s_wait_loadcnt 0x0
	v_cmpx_lt_i16_e32 0x7f, v0
	s_xor_b32 s8, exec_lo, s8
	s_cbranch_execz .LBB48_1292
; %bb.1270:
	s_mov_b32 s7, -1
	s_mov_b32 s10, exec_lo
	v_cmpx_eq_u16_e32 0x80, v0
; %bb.1271:
	s_xor_b32 s7, exec_lo, -1
; %bb.1272:
	s_or_b32 exec_lo, exec_lo, s10
	s_delay_alu instid0(SALU_CYCLE_1)
	s_and_b32 s7, s7, exec_lo
	s_or_saveexec_b32 s8, s8
	v_mov_b32_e32 v1, 0x7f800001
	s_xor_b32 exec_lo, exec_lo, s8
	s_cbranch_execnz .LBB48_1293
.LBB48_1273:
	s_or_b32 exec_lo, exec_lo, s8
	s_and_saveexec_b32 s8, s7
	s_cbranch_execz .LBB48_1275
.LBB48_1274:
	v_and_b32_e32 v1, 0xffff, v0
	s_delay_alu instid0(VALU_DEP_1) | instskip(SKIP_1) | instid1(VALU_DEP_2)
	v_dual_lshlrev_b32 v0, 24, v0 :: v_dual_bitop2_b32 v3, 3, v1 bitop3:0x40
	v_bfe_u32 v9, v1, 2, 5
	v_and_b32_e32 v0, 0x80000000, v0
	s_delay_alu instid0(VALU_DEP_3) | instskip(NEXT) | instid1(VALU_DEP_3)
	v_clz_i32_u32_e32 v5, v3
	v_cmp_eq_u32_e32 vcc_lo, 0, v9
	s_delay_alu instid0(VALU_DEP_2) | instskip(NEXT) | instid1(VALU_DEP_1)
	v_min_u32_e32 v5, 32, v5
	v_subrev_nc_u32_e32 v8, 29, v5
	v_sub_nc_u32_e32 v5, 30, v5
	s_delay_alu instid0(VALU_DEP_2) | instskip(NEXT) | instid1(VALU_DEP_2)
	v_lshlrev_b32_e32 v1, v8, v1
	v_cndmask_b32_e32 v5, v9, v5, vcc_lo
	s_delay_alu instid0(VALU_DEP_2) | instskip(NEXT) | instid1(VALU_DEP_1)
	v_and_b32_e32 v1, 3, v1
	v_cndmask_b32_e32 v1, v3, v1, vcc_lo
	s_delay_alu instid0(VALU_DEP_3) | instskip(NEXT) | instid1(VALU_DEP_2)
	v_lshl_add_u32 v3, v5, 23, 0x37800000
	v_lshlrev_b32_e32 v1, 21, v1
	s_delay_alu instid0(VALU_DEP_1)
	v_or3_b32 v1, v0, v3, v1
.LBB48_1275:
	s_or_b32 exec_lo, exec_lo, s8
	s_delay_alu instid0(VALU_DEP_1) | instskip(SKIP_2) | instid1(VALU_DEP_2)
	v_bfe_u32 v0, v1, 16, 1
	v_cmp_o_f32_e32 vcc_lo, v1, v1
	s_mov_b32 s7, 0
	v_add3_u32 v0, v1, v0, 0x7fff
	s_delay_alu instid0(VALU_DEP_1) | instskip(NEXT) | instid1(VALU_DEP_1)
	v_lshrrev_b32_e32 v0, 16, v0
	v_cndmask_b32_e32 v8, 0x7fc0, v0, vcc_lo
	s_branch .LBB48_1281
.LBB48_1276:
	s_mov_b32 s7, -1
                                        ; implicit-def: $vgpr8
	s_branch .LBB48_1287
.LBB48_1277:
	s_or_saveexec_b32 s10, s10
	v_mov_b32_e32 v1, 0x7f800001
	s_xor_b32 exec_lo, exec_lo, s10
	s_cbranch_execz .LBB48_1260
.LBB48_1278:
	v_cmp_ne_u16_e32 vcc_lo, 0, v0
	v_mov_b32_e32 v1, 0
	s_and_not1_b32 s8, s8, exec_lo
	s_and_b32 s11, vcc_lo, exec_lo
	s_delay_alu instid0(SALU_CYCLE_1)
	s_or_b32 s8, s8, s11
	s_or_b32 exec_lo, exec_lo, s10
	s_and_saveexec_b32 s10, s8
	s_cbranch_execnz .LBB48_1261
	s_branch .LBB48_1262
.LBB48_1279:
	s_mov_b32 s7, -1
                                        ; implicit-def: $vgpr8
	s_branch .LBB48_1284
.LBB48_1280:
	s_mov_b32 s7, -1
                                        ; implicit-def: $vgpr8
.LBB48_1281:
	s_delay_alu instid0(SALU_CYCLE_1)
	s_and_b32 vcc_lo, exec_lo, s7
	s_cbranch_vccz .LBB48_1283
; %bb.1282:
	global_load_u8 v0, v[6:7], off
	s_wait_loadcnt 0x0
	v_lshlrev_b32_e32 v0, 24, v0
	s_delay_alu instid0(VALU_DEP_1) | instskip(NEXT) | instid1(VALU_DEP_1)
	v_and_b32_e32 v1, 0x7f000000, v0
	v_clz_i32_u32_e32 v3, v1
	v_cmp_ne_u32_e32 vcc_lo, 0, v1
	v_add_nc_u32_e32 v8, 0x1000000, v1
	s_delay_alu instid0(VALU_DEP_3) | instskip(NEXT) | instid1(VALU_DEP_1)
	v_min_u32_e32 v3, 32, v3
	v_sub_nc_u32_e64 v3, v3, 4 clamp
	s_delay_alu instid0(VALU_DEP_1) | instskip(NEXT) | instid1(VALU_DEP_1)
	v_dual_lshlrev_b32 v5, v3, v1 :: v_dual_lshlrev_b32 v3, 23, v3
	v_lshrrev_b32_e32 v5, 4, v5
	s_delay_alu instid0(VALU_DEP_1) | instskip(NEXT) | instid1(VALU_DEP_1)
	v_dual_sub_nc_u32 v3, v5, v3 :: v_dual_ashrrev_i32 v5, 8, v8
	v_add_nc_u32_e32 v3, 0x3c000000, v3
	s_delay_alu instid0(VALU_DEP_1) | instskip(NEXT) | instid1(VALU_DEP_1)
	v_and_or_b32 v3, 0x7f800000, v5, v3
	v_cndmask_b32_e32 v1, 0, v3, vcc_lo
	s_delay_alu instid0(VALU_DEP_1) | instskip(SKIP_1) | instid1(VALU_DEP_2)
	v_and_or_b32 v0, 0x80000000, v0, v1
	v_bfe_u32 v1, v1, 16, 1
	v_cmp_o_f32_e32 vcc_lo, v0, v0
	s_delay_alu instid0(VALU_DEP_2) | instskip(NEXT) | instid1(VALU_DEP_1)
	v_add3_u32 v1, v0, v1, 0x7fff
	v_lshrrev_b32_e32 v1, 16, v1
	s_delay_alu instid0(VALU_DEP_1)
	v_cndmask_b32_e32 v8, 0x7fc0, v1, vcc_lo
.LBB48_1283:
	s_mov_b32 s7, 0
.LBB48_1284:
	s_delay_alu instid0(SALU_CYCLE_1)
	s_and_not1_b32 vcc_lo, exec_lo, s7
	s_cbranch_vccnz .LBB48_1286
; %bb.1285:
	global_load_u8 v0, v[6:7], off
	s_wait_loadcnt 0x0
	v_lshlrev_b32_e32 v1, 25, v0
	v_lshlrev_b16 v0, 8, v0
	s_delay_alu instid0(VALU_DEP_1) | instskip(SKIP_1) | instid1(VALU_DEP_2)
	v_and_or_b32 v5, 0x7f00, v0, 0.5
	v_bfe_i32 v0, v0, 0, 16
	v_add_f32_e32 v5, -0.5, v5
	v_lshrrev_b32_e32 v3, 4, v1
	v_cmp_gt_u32_e32 vcc_lo, 0x8000000, v1
	s_delay_alu instid0(VALU_DEP_2) | instskip(NEXT) | instid1(VALU_DEP_1)
	v_or_b32_e32 v3, 0x70000000, v3
	v_mul_f32_e32 v3, 0x7800000, v3
	s_delay_alu instid0(VALU_DEP_1) | instskip(NEXT) | instid1(VALU_DEP_1)
	v_cndmask_b32_e32 v1, v3, v5, vcc_lo
	v_and_or_b32 v0, 0x80000000, v0, v1
	v_bfe_u32 v1, v1, 16, 1
	s_delay_alu instid0(VALU_DEP_2) | instskip(NEXT) | instid1(VALU_DEP_2)
	v_cmp_o_f32_e32 vcc_lo, v0, v0
	v_add3_u32 v1, v0, v1, 0x7fff
	s_delay_alu instid0(VALU_DEP_1) | instskip(NEXT) | instid1(VALU_DEP_1)
	v_lshrrev_b32_e32 v1, 16, v1
	v_cndmask_b32_e32 v8, 0x7fc0, v1, vcc_lo
.LBB48_1286:
	s_mov_b32 s7, 0
	s_mov_b32 s8, -1
.LBB48_1287:
	s_and_not1_b32 vcc_lo, exec_lo, s7
	s_mov_b32 s7, 0
	s_cbranch_vccnz .LBB48_1298
; %bb.1288:
	s_cmp_gt_i32 s1, 14
	s_cbranch_scc0 .LBB48_1291
; %bb.1289:
	s_cmp_eq_u32 s1, 15
	s_cbranch_scc0 .LBB48_1294
; %bb.1290:
	s_wait_loadcnt 0x0
	global_load_u16 v8, v[6:7], off
	s_mov_b32 s6, 0
	s_mov_b32 s8, -1
	s_branch .LBB48_1296
.LBB48_1291:
	s_mov_b32 s7, -1
	s_branch .LBB48_1295
.LBB48_1292:
	s_or_saveexec_b32 s8, s8
	v_mov_b32_e32 v1, 0x7f800001
	s_xor_b32 exec_lo, exec_lo, s8
	s_cbranch_execz .LBB48_1273
.LBB48_1293:
	v_cmp_ne_u16_e32 vcc_lo, 0, v0
	v_mov_b32_e32 v1, 0
	s_and_not1_b32 s7, s7, exec_lo
	s_and_b32 s10, vcc_lo, exec_lo
	s_delay_alu instid0(SALU_CYCLE_1)
	s_or_b32 s7, s7, s10
	s_or_b32 exec_lo, exec_lo, s8
	s_and_saveexec_b32 s8, s7
	s_cbranch_execnz .LBB48_1274
	s_branch .LBB48_1275
.LBB48_1294:
	s_mov_b32 s6, -1
.LBB48_1295:
                                        ; implicit-def: $vgpr8
.LBB48_1296:
	s_and_b32 vcc_lo, exec_lo, s7
	s_mov_b32 s7, 0
	s_cbranch_vccz .LBB48_1298
; %bb.1297:
	s_cmp_lg_u32 s1, 11
	s_mov_b32 s7, -1
	s_cselect_b32 s1, -1, 0
	s_and_not1_b32 s6, s6, exec_lo
	s_and_b32 s1, s1, exec_lo
	s_delay_alu instid0(SALU_CYCLE_1)
	s_or_b32 s6, s6, s1
.LBB48_1298:
	s_mov_b32 s1, 0
.LBB48_1299:
	s_delay_alu instid0(SALU_CYCLE_1)
	s_and_b32 s50, s1, exec_lo
	s_and_not1_b32 s1, s47, exec_lo
	s_and_b32 s6, s6, exec_lo
	s_and_b32 s24, s8, exec_lo
	;; [unrolled: 1-line block ×3, first 2 shown]
	s_or_b32 s51, s1, s6
.LBB48_1300:
	s_wait_xcnt 0x0
	s_or_b32 exec_lo, exec_lo, s36
	s_delay_alu instid0(SALU_CYCLE_1)
	s_and_not1_b32 s1, s47, exec_lo
	s_and_b32 s6, s51, exec_lo
	s_and_b32 s24, s24, exec_lo
	;; [unrolled: 1-line block ×4, first 2 shown]
	s_or_b32 s47, s1, s6
.LBB48_1301:
	s_or_b32 exec_lo, exec_lo, s46
	s_delay_alu instid0(SALU_CYCLE_1)
	s_and_not1_b32 s1, s43, exec_lo
	s_and_b32 s6, s48, exec_lo
	s_and_not1_b32 s7, s44, exec_lo
	s_and_b32 s8, s49, exec_lo
	s_or_b32 s43, s1, s6
	s_and_not1_b32 s1, s42, exec_lo
	s_and_b32 s6, s47, exec_lo
	s_or_b32 s44, s7, s8
	s_and_b32 s24, s24, exec_lo
	s_and_b32 s46, s50, exec_lo
	;; [unrolled: 1-line block ×3, first 2 shown]
	s_or_b32 s42, s1, s6
.LBB48_1302:
	s_or_b32 exec_lo, exec_lo, s45
	s_delay_alu instid0(SALU_CYCLE_1)
	s_and_not1_b32 s1, s38, exec_lo
	s_and_b32 s6, s43, exec_lo
	s_and_not1_b32 s7, s39, exec_lo
	s_and_b32 s8, s44, exec_lo
	s_or_b32 s38, s1, s6
	s_and_not1_b32 s1, s40, exec_lo
	s_and_b32 s6, s42, exec_lo
	s_or_b32 s39, s7, s8
	s_and_b32 s24, s24, exec_lo
	s_and_b32 s43, s46, exec_lo
	;; [unrolled: 1-line block ×3, first 2 shown]
	s_or_b32 s40, s1, s6
	s_or_b32 exec_lo, exec_lo, s41
	s_mov_b32 s1, 0
	s_and_saveexec_b32 s6, s40
	s_cbranch_execz .LBB48_404
.LBB48_1303:
	s_mov_b32 s1, exec_lo
	s_and_not1_b32 s19, s19, exec_lo
	s_trap 2
	s_or_b32 exec_lo, exec_lo, s6
	s_and_saveexec_b32 s6, s19
	s_delay_alu instid0(SALU_CYCLE_1)
	s_xor_b32 s6, exec_lo, s6
	s_cbranch_execnz .LBB48_405
.LBB48_1304:
	s_or_b32 exec_lo, exec_lo, s6
	s_and_saveexec_b32 s6, s43
	s_cbranch_execz .LBB48_1350
.LBB48_1305:
	s_sext_i32_i16 s7, s0
	s_delay_alu instid0(SALU_CYCLE_1)
	s_cmp_lt_i32 s7, 5
	s_cbranch_scc1 .LBB48_1310
; %bb.1306:
	s_cmp_lt_i32 s7, 8
	s_cbranch_scc1 .LBB48_1311
; %bb.1307:
	s_cmp_lt_i32 s7, 9
	s_cbranch_scc1 .LBB48_1312
; %bb.1308:
	s_cmp_gt_i32 s7, 9
	s_cbranch_scc0 .LBB48_1313
; %bb.1309:
	s_wait_loadcnt 0x0
	global_load_b64 v[0:1], v[6:7], off
	s_mov_b32 s7, 0
	s_wait_loadcnt 0x0
	v_cvt_f32_f64_e32 v0, v[0:1]
	s_delay_alu instid0(VALU_DEP_1) | instskip(SKIP_1) | instid1(VALU_DEP_2)
	v_bfe_u32 v1, v0, 16, 1
	v_cmp_o_f32_e32 vcc_lo, v0, v0
	v_add3_u32 v1, v0, v1, 0x7fff
	s_delay_alu instid0(VALU_DEP_1) | instskip(NEXT) | instid1(VALU_DEP_1)
	v_lshrrev_b32_e32 v1, 16, v1
	v_cndmask_b32_e32 v8, 0x7fc0, v1, vcc_lo
	s_branch .LBB48_1314
.LBB48_1310:
                                        ; implicit-def: $vgpr8
	s_branch .LBB48_1331
.LBB48_1311:
                                        ; implicit-def: $vgpr8
	s_branch .LBB48_1320
.LBB48_1312:
	s_mov_b32 s7, -1
                                        ; implicit-def: $vgpr8
	s_branch .LBB48_1317
.LBB48_1313:
	s_mov_b32 s7, -1
                                        ; implicit-def: $vgpr8
.LBB48_1314:
	s_delay_alu instid0(SALU_CYCLE_1)
	s_and_not1_b32 vcc_lo, exec_lo, s7
	s_cbranch_vccnz .LBB48_1316
; %bb.1315:
	global_load_b32 v0, v[6:7], off
	s_wait_loadcnt 0x0
	v_bfe_u32 v1, v0, 16, 1
	v_cmp_o_f32_e32 vcc_lo, v0, v0
	s_delay_alu instid0(VALU_DEP_2) | instskip(NEXT) | instid1(VALU_DEP_1)
	v_add3_u32 v1, v0, v1, 0x7fff
	v_lshrrev_b32_e32 v1, 16, v1
	s_delay_alu instid0(VALU_DEP_1)
	v_cndmask_b32_e32 v8, 0x7fc0, v1, vcc_lo
.LBB48_1316:
	s_mov_b32 s7, 0
.LBB48_1317:
	s_delay_alu instid0(SALU_CYCLE_1)
	s_and_not1_b32 vcc_lo, exec_lo, s7
	s_cbranch_vccnz .LBB48_1319
; %bb.1318:
	global_load_b32 v0, v[6:7], off
	s_wait_loadcnt 0x0
	v_cvt_f32_f16_e32 v1, v0
	v_cmp_o_f16_e32 vcc_lo, v0, v0
	s_delay_alu instid0(VALU_DEP_2) | instskip(NEXT) | instid1(VALU_DEP_1)
	v_bfe_u32 v3, v1, 16, 1
	v_add3_u32 v1, v1, v3, 0x7fff
	s_delay_alu instid0(VALU_DEP_1) | instskip(NEXT) | instid1(VALU_DEP_1)
	v_lshrrev_b32_e32 v1, 16, v1
	v_cndmask_b32_e32 v8, 0x7fc0, v1, vcc_lo
.LBB48_1319:
	s_cbranch_execnz .LBB48_1330
.LBB48_1320:
	s_sext_i32_i16 s7, s0
	s_delay_alu instid0(SALU_CYCLE_1)
	s_cmp_lt_i32 s7, 6
	s_cbranch_scc1 .LBB48_1323
; %bb.1321:
	s_cmp_gt_i32 s7, 6
	s_cbranch_scc0 .LBB48_1324
; %bb.1322:
	s_wait_loadcnt 0x0
	global_load_b64 v[0:1], v[6:7], off
	s_mov_b32 s7, 0
	s_wait_loadcnt 0x0
	v_cvt_f32_f64_e32 v0, v[0:1]
	s_delay_alu instid0(VALU_DEP_1) | instskip(SKIP_1) | instid1(VALU_DEP_2)
	v_bfe_u32 v1, v0, 16, 1
	v_cmp_o_f32_e32 vcc_lo, v0, v0
	v_add3_u32 v1, v0, v1, 0x7fff
	s_delay_alu instid0(VALU_DEP_1) | instskip(NEXT) | instid1(VALU_DEP_1)
	v_lshrrev_b32_e32 v1, 16, v1
	v_cndmask_b32_e32 v8, 0x7fc0, v1, vcc_lo
	s_branch .LBB48_1325
.LBB48_1323:
	s_mov_b32 s7, -1
                                        ; implicit-def: $vgpr8
	s_branch .LBB48_1328
.LBB48_1324:
	s_mov_b32 s7, -1
                                        ; implicit-def: $vgpr8
.LBB48_1325:
	s_delay_alu instid0(SALU_CYCLE_1)
	s_and_not1_b32 vcc_lo, exec_lo, s7
	s_cbranch_vccnz .LBB48_1327
; %bb.1326:
	global_load_b32 v0, v[6:7], off
	s_wait_loadcnt 0x0
	v_bfe_u32 v1, v0, 16, 1
	v_cmp_o_f32_e32 vcc_lo, v0, v0
	s_delay_alu instid0(VALU_DEP_2) | instskip(NEXT) | instid1(VALU_DEP_1)
	v_add3_u32 v1, v0, v1, 0x7fff
	v_lshrrev_b32_e32 v1, 16, v1
	s_delay_alu instid0(VALU_DEP_1)
	v_cndmask_b32_e32 v8, 0x7fc0, v1, vcc_lo
.LBB48_1327:
	s_mov_b32 s7, 0
.LBB48_1328:
	s_delay_alu instid0(SALU_CYCLE_1)
	s_and_not1_b32 vcc_lo, exec_lo, s7
	s_cbranch_vccnz .LBB48_1330
; %bb.1329:
	global_load_u16 v0, v[6:7], off
	s_wait_loadcnt 0x0
	v_cvt_f32_f16_e32 v1, v0
	v_cmp_o_f16_e32 vcc_lo, v0, v0
	s_delay_alu instid0(VALU_DEP_2) | instskip(NEXT) | instid1(VALU_DEP_1)
	v_bfe_u32 v3, v1, 16, 1
	v_add3_u32 v1, v1, v3, 0x7fff
	s_delay_alu instid0(VALU_DEP_1) | instskip(NEXT) | instid1(VALU_DEP_1)
	v_lshrrev_b32_e32 v1, 16, v1
	v_cndmask_b32_e32 v8, 0x7fc0, v1, vcc_lo
.LBB48_1330:
	s_cbranch_execnz .LBB48_1349
.LBB48_1331:
	s_sext_i32_i16 s7, s0
	s_delay_alu instid0(SALU_CYCLE_1)
	s_cmp_lt_i32 s7, 2
	s_cbranch_scc1 .LBB48_1335
; %bb.1332:
	s_cmp_lt_i32 s7, 3
	s_cbranch_scc1 .LBB48_1336
; %bb.1333:
	s_cmp_gt_i32 s7, 3
	s_cbranch_scc0 .LBB48_1337
; %bb.1334:
	s_wait_loadcnt 0x0
	global_load_b64 v[0:1], v[6:7], off
	s_mov_b32 s7, 0
	s_wait_loadcnt 0x0
	v_xor_b32_e32 v3, v0, v1
	v_cls_i32_e32 v5, v1
	s_delay_alu instid0(VALU_DEP_2) | instskip(NEXT) | instid1(VALU_DEP_1)
	v_ashrrev_i32_e32 v3, 31, v3
	v_add_nc_u32_e32 v3, 32, v3
	s_delay_alu instid0(VALU_DEP_1) | instskip(NEXT) | instid1(VALU_DEP_1)
	v_add_min_u32_e64 v3, v5, -1, v3
	v_lshlrev_b64_e32 v[0:1], v3, v[0:1]
	s_delay_alu instid0(VALU_DEP_1) | instskip(NEXT) | instid1(VALU_DEP_1)
	v_min_u32_e32 v0, 1, v0
	v_dual_sub_nc_u32 v1, 32, v3 :: v_dual_bitop2_b32 v0, v1, v0 bitop3:0x54
	s_delay_alu instid0(VALU_DEP_1) | instskip(NEXT) | instid1(VALU_DEP_1)
	v_cvt_f32_i32_e32 v0, v0
	v_ldexp_f32 v0, v0, v1
	s_delay_alu instid0(VALU_DEP_1) | instskip(NEXT) | instid1(VALU_DEP_1)
	v_bfe_u32 v1, v0, 16, 1
	v_add3_u32 v0, v0, v1, 0x7fff
	s_delay_alu instid0(VALU_DEP_1)
	v_lshrrev_b32_e32 v8, 16, v0
	s_branch .LBB48_1338
.LBB48_1335:
                                        ; implicit-def: $vgpr8
	s_branch .LBB48_1344
.LBB48_1336:
	s_mov_b32 s7, -1
                                        ; implicit-def: $vgpr8
	s_branch .LBB48_1341
.LBB48_1337:
	s_mov_b32 s7, -1
                                        ; implicit-def: $vgpr8
.LBB48_1338:
	s_delay_alu instid0(SALU_CYCLE_1)
	s_and_not1_b32 vcc_lo, exec_lo, s7
	s_cbranch_vccnz .LBB48_1340
; %bb.1339:
	global_load_b32 v0, v[6:7], off
	s_wait_loadcnt 0x0
	v_cvt_f32_i32_e32 v0, v0
	s_delay_alu instid0(VALU_DEP_1) | instskip(NEXT) | instid1(VALU_DEP_1)
	v_bfe_u32 v1, v0, 16, 1
	v_add3_u32 v0, v0, v1, 0x7fff
	s_delay_alu instid0(VALU_DEP_1)
	v_lshrrev_b32_e32 v8, 16, v0
.LBB48_1340:
	s_mov_b32 s7, 0
.LBB48_1341:
	s_delay_alu instid0(SALU_CYCLE_1)
	s_and_not1_b32 vcc_lo, exec_lo, s7
	s_cbranch_vccnz .LBB48_1343
; %bb.1342:
	global_load_i16 v0, v[6:7], off
	s_wait_loadcnt 0x0
	v_cvt_f32_i32_e32 v0, v0
	s_delay_alu instid0(VALU_DEP_1) | instskip(NEXT) | instid1(VALU_DEP_1)
	v_bfe_u32 v1, v0, 16, 1
	v_add3_u32 v0, v0, v1, 0x7fff
	s_delay_alu instid0(VALU_DEP_1)
	v_lshrrev_b32_e32 v8, 16, v0
.LBB48_1343:
	s_cbranch_execnz .LBB48_1349
.LBB48_1344:
	s_sext_i32_i16 s0, s0
	s_delay_alu instid0(SALU_CYCLE_1)
	s_cmp_gt_i32 s0, 0
	s_mov_b32 s0, 0
	s_cbranch_scc0 .LBB48_1346
; %bb.1345:
	global_load_i8 v0, v[6:7], off
	s_wait_loadcnt 0x0
	v_cvt_f32_i32_e32 v0, v0
	s_delay_alu instid0(VALU_DEP_1) | instskip(NEXT) | instid1(VALU_DEP_1)
	v_bfe_u32 v1, v0, 16, 1
	v_add3_u32 v0, v0, v1, 0x7fff
	s_delay_alu instid0(VALU_DEP_1)
	v_lshrrev_b32_e32 v8, 16, v0
	s_branch .LBB48_1347
.LBB48_1346:
	s_mov_b32 s0, -1
                                        ; implicit-def: $vgpr8
.LBB48_1347:
	s_delay_alu instid0(SALU_CYCLE_1)
	s_and_not1_b32 vcc_lo, exec_lo, s0
	s_cbranch_vccnz .LBB48_1349
; %bb.1348:
	global_load_u8 v0, v[6:7], off
	s_wait_loadcnt 0x0
	v_cvt_f32_ubyte0_e32 v0, v0
	s_delay_alu instid0(VALU_DEP_1) | instskip(NEXT) | instid1(VALU_DEP_1)
	v_bfe_u32 v1, v0, 16, 1
	v_add3_u32 v0, v0, v1, 0x7fff
	s_delay_alu instid0(VALU_DEP_1)
	v_lshrrev_b32_e32 v8, 16, v0
.LBB48_1349:
	s_or_b32 s24, s24, exec_lo
.LBB48_1350:
	s_wait_xcnt 0x0
	s_or_b32 exec_lo, exec_lo, s6
	s_mov_b32 s8, 0
	s_mov_b32 s7, 0
	;; [unrolled: 1-line block ×3, first 2 shown]
                                        ; implicit-def: $sgpr0
                                        ; implicit-def: $vgpr0_vgpr1
                                        ; implicit-def: $vgpr3
	s_and_saveexec_b32 s6, s24
	s_cbranch_execz .LBB48_1358
; %bb.1351:
	v_mov_b32_e32 v5, 0
	s_and_b32 s0, s9, 0xff
	s_delay_alu instid0(SALU_CYCLE_1) | instskip(SKIP_1) | instid1(VALU_DEP_1)
	s_cmp_lt_i32 s0, 11
	s_wait_loadcnt 0x0
	v_add_nc_u64_e32 v[0:1], s[16:17], v[4:5]
	s_cbranch_scc1 .LBB48_1361
; %bb.1352:
	s_and_b32 s7, 0xffff, s0
	s_mov_b32 s9, 0
	s_cmp_gt_i32 s7, 25
	s_cbranch_scc0 .LBB48_1362
; %bb.1353:
	s_cmp_gt_i32 s7, 28
	s_cbranch_scc0 .LBB48_1363
; %bb.1354:
	;; [unrolled: 3-line block ×4, first 2 shown]
	s_cmp_eq_u32 s7, 46
	s_mov_b32 s11, 0
	s_cbranch_scc0 .LBB48_1366
; %bb.1357:
	global_load_b32 v3, v[0:1], off
	s_mov_b32 s10, -1
	s_branch .LBB48_1368
.LBB48_1358:
	s_or_b32 exec_lo, exec_lo, s6
	s_and_saveexec_b32 s6, s39
	s_cbranch_execnz .LBB48_1431
.LBB48_1359:
	s_or_b32 exec_lo, exec_lo, s6
	s_and_saveexec_b32 s6, s8
	s_delay_alu instid0(SALU_CYCLE_1)
	s_xor_b32 s6, exec_lo, s6
	s_cbranch_execz .LBB48_1432
.LBB48_1360:
	s_wait_loadcnt 0x0
	global_load_u8 v3, v[0:1], off
	s_or_b32 s10, s10, exec_lo
	s_wait_loadcnt 0x0
	v_cmp_ne_u16_e32 vcc_lo, 0, v3
	v_cndmask_b32_e64 v3, 0, 1.0, vcc_lo
	s_delay_alu instid0(VALU_DEP_1)
	v_lshrrev_b32_e32 v3, 16, v3
	s_wait_xcnt 0x0
	s_or_b32 exec_lo, exec_lo, s6
	s_and_saveexec_b32 s6, s7
	s_cbranch_execz .LBB48_1478
	s_branch .LBB48_1433
.LBB48_1361:
	s_mov_b32 s7, -1
	s_mov_b32 s9, 0
	s_mov_b32 s8, s39
                                        ; implicit-def: $vgpr3
	s_branch .LBB48_1430
.LBB48_1362:
	s_mov_b32 s8, s39
                                        ; implicit-def: $vgpr3
	s_cbranch_execnz .LBB48_1397
	s_branch .LBB48_1429
.LBB48_1363:
	s_mov_b32 s11, -1
	s_mov_b32 s8, s39
                                        ; implicit-def: $vgpr3
	s_branch .LBB48_1378
.LBB48_1364:
	s_mov_b32 s11, -1
	s_mov_b32 s8, s39
                                        ; implicit-def: $vgpr3
	s_branch .LBB48_1373
.LBB48_1365:
	s_mov_b32 s11, -1
	s_mov_b32 s8, s39
	s_branch .LBB48_1367
.LBB48_1366:
	s_mov_b32 s8, -1
.LBB48_1367:
                                        ; implicit-def: $vgpr3
.LBB48_1368:
	s_and_b32 vcc_lo, exec_lo, s11
	s_cbranch_vccz .LBB48_1372
; %bb.1369:
	s_cmp_eq_u32 s7, 44
	s_cbranch_scc0 .LBB48_1371
; %bb.1370:
	s_wait_loadcnt 0x0
	global_load_u8 v3, v[0:1], off
	s_mov_b32 s8, 0
	s_mov_b32 s10, -1
	s_wait_loadcnt 0x0
	v_lshlrev_b32_e32 v4, 23, v3
	v_cmp_ne_u32_e32 vcc_lo, 0xff, v3
	s_delay_alu instid0(VALU_DEP_2) | instskip(SKIP_1) | instid1(VALU_DEP_2)
	v_cndmask_b32_e32 v4, 0x7f800001, v4, vcc_lo
	v_cmp_ne_u32_e32 vcc_lo, 0, v3
	v_cndmask_b32_e32 v3, 0x400000, v4, vcc_lo
	s_delay_alu instid0(VALU_DEP_1) | instskip(NEXT) | instid1(VALU_DEP_1)
	v_add_nc_u32_e32 v4, 0x7fff, v3
	v_lshrrev_b32_e32 v4, 16, v4
	v_cmp_o_f32_e32 vcc_lo, v3, v3
	s_delay_alu instid0(VALU_DEP_2)
	v_cndmask_b32_e32 v3, 0x7fc0, v4, vcc_lo
	s_branch .LBB48_1372
.LBB48_1371:
	s_mov_b32 s8, -1
                                        ; implicit-def: $vgpr3
.LBB48_1372:
	s_mov_b32 s11, 0
.LBB48_1373:
	s_delay_alu instid0(SALU_CYCLE_1)
	s_and_b32 vcc_lo, exec_lo, s11
	s_cbranch_vccz .LBB48_1377
; %bb.1374:
	s_cmp_eq_u32 s7, 29
	s_cbranch_scc0 .LBB48_1376
; %bb.1375:
	global_load_b64 v[4:5], v[0:1], off
	s_mov_b32 s8, 0
	s_mov_b32 s10, -1
	s_mov_b32 s11, 0
	s_wait_loadcnt 0x0
	v_clz_i32_u32_e32 v3, v5
	s_delay_alu instid0(VALU_DEP_1) | instskip(NEXT) | instid1(VALU_DEP_1)
	v_min_u32_e32 v3, 32, v3
	v_lshlrev_b64_e32 v[4:5], v3, v[4:5]
	v_sub_nc_u32_e32 v3, 32, v3
	s_delay_alu instid0(VALU_DEP_2) | instskip(NEXT) | instid1(VALU_DEP_1)
	v_min_u32_e32 v4, 1, v4
	v_or_b32_e32 v4, v5, v4
	s_delay_alu instid0(VALU_DEP_1) | instskip(NEXT) | instid1(VALU_DEP_1)
	v_cvt_f32_u32_e32 v4, v4
	v_ldexp_f32 v3, v4, v3
	s_delay_alu instid0(VALU_DEP_1) | instskip(NEXT) | instid1(VALU_DEP_1)
	v_bfe_u32 v4, v3, 16, 1
	v_add3_u32 v3, v3, v4, 0x7fff
	s_delay_alu instid0(VALU_DEP_1)
	v_lshrrev_b32_e32 v3, 16, v3
	s_branch .LBB48_1378
.LBB48_1376:
	s_mov_b32 s8, -1
                                        ; implicit-def: $vgpr3
.LBB48_1377:
	s_mov_b32 s11, 0
.LBB48_1378:
	s_delay_alu instid0(SALU_CYCLE_1)
	s_and_b32 vcc_lo, exec_lo, s11
	s_cbranch_vccz .LBB48_1396
; %bb.1379:
	s_cmp_lt_i32 s7, 27
	s_cbranch_scc1 .LBB48_1382
; %bb.1380:
	s_cmp_gt_i32 s7, 27
	s_cbranch_scc0 .LBB48_1383
; %bb.1381:
	s_wait_loadcnt 0x0
	global_load_b32 v3, v[0:1], off
	s_mov_b32 s10, 0
	s_wait_loadcnt 0x0
	v_cvt_f32_u32_e32 v3, v3
	s_delay_alu instid0(VALU_DEP_1) | instskip(NEXT) | instid1(VALU_DEP_1)
	v_bfe_u32 v4, v3, 16, 1
	v_add3_u32 v3, v3, v4, 0x7fff
	s_delay_alu instid0(VALU_DEP_1)
	v_lshrrev_b32_e32 v3, 16, v3
	s_branch .LBB48_1384
.LBB48_1382:
	s_mov_b32 s10, -1
                                        ; implicit-def: $vgpr3
	s_branch .LBB48_1387
.LBB48_1383:
	s_mov_b32 s10, -1
                                        ; implicit-def: $vgpr3
.LBB48_1384:
	s_delay_alu instid0(SALU_CYCLE_1)
	s_and_not1_b32 vcc_lo, exec_lo, s10
	s_cbranch_vccnz .LBB48_1386
; %bb.1385:
	s_wait_loadcnt 0x0
	global_load_u16 v3, v[0:1], off
	s_wait_loadcnt 0x0
	v_cvt_f32_u32_e32 v3, v3
	s_delay_alu instid0(VALU_DEP_1) | instskip(NEXT) | instid1(VALU_DEP_1)
	v_bfe_u32 v4, v3, 16, 1
	v_add3_u32 v3, v3, v4, 0x7fff
	s_delay_alu instid0(VALU_DEP_1)
	v_lshrrev_b32_e32 v3, 16, v3
.LBB48_1386:
	s_mov_b32 s10, 0
.LBB48_1387:
	s_delay_alu instid0(SALU_CYCLE_1)
	s_and_not1_b32 vcc_lo, exec_lo, s10
	s_cbranch_vccnz .LBB48_1395
; %bb.1388:
	s_wait_loadcnt 0x0
	global_load_u8 v3, v[0:1], off
	s_mov_b32 s10, 0
	s_mov_b32 s11, exec_lo
	s_wait_loadcnt 0x0
	v_cmpx_lt_i16_e32 0x7f, v3
	s_xor_b32 s11, exec_lo, s11
	s_cbranch_execz .LBB48_1408
; %bb.1389:
	s_mov_b32 s10, -1
	s_mov_b32 s12, exec_lo
	v_cmpx_eq_u16_e32 0x80, v3
; %bb.1390:
	s_xor_b32 s10, exec_lo, -1
; %bb.1391:
	s_or_b32 exec_lo, exec_lo, s12
	s_delay_alu instid0(SALU_CYCLE_1)
	s_and_b32 s10, s10, exec_lo
	s_or_saveexec_b32 s11, s11
	v_mov_b32_e32 v4, 0x7f800001
	s_xor_b32 exec_lo, exec_lo, s11
	s_cbranch_execnz .LBB48_1409
.LBB48_1392:
	s_or_b32 exec_lo, exec_lo, s11
	s_and_saveexec_b32 s11, s10
	s_cbranch_execz .LBB48_1394
.LBB48_1393:
	v_and_b32_e32 v4, 0xffff, v3
	s_delay_alu instid0(VALU_DEP_1) | instskip(SKIP_1) | instid1(VALU_DEP_2)
	v_and_b32_e32 v5, 7, v4
	v_bfe_u32 v9, v4, 3, 4
	v_clz_i32_u32_e32 v6, v5
	s_delay_alu instid0(VALU_DEP_2) | instskip(NEXT) | instid1(VALU_DEP_2)
	v_cmp_eq_u32_e32 vcc_lo, 0, v9
	v_min_u32_e32 v6, 32, v6
	s_delay_alu instid0(VALU_DEP_1) | instskip(NEXT) | instid1(VALU_DEP_1)
	v_subrev_nc_u32_e32 v7, 28, v6
	v_dual_lshlrev_b32 v4, v7, v4 :: v_dual_sub_nc_u32 v6, 29, v6
	s_delay_alu instid0(VALU_DEP_1) | instskip(NEXT) | instid1(VALU_DEP_2)
	v_dual_lshlrev_b32 v3, 24, v3 :: v_dual_bitop2_b32 v4, 7, v4 bitop3:0x40
	v_cndmask_b32_e32 v6, v9, v6, vcc_lo
	s_delay_alu instid0(VALU_DEP_2) | instskip(NEXT) | instid1(VALU_DEP_3)
	v_cndmask_b32_e32 v4, v5, v4, vcc_lo
	v_and_b32_e32 v3, 0x80000000, v3
	s_delay_alu instid0(VALU_DEP_3) | instskip(NEXT) | instid1(VALU_DEP_3)
	v_lshl_add_u32 v5, v6, 23, 0x3b800000
	v_lshlrev_b32_e32 v4, 20, v4
	s_delay_alu instid0(VALU_DEP_1)
	v_or3_b32 v4, v3, v5, v4
.LBB48_1394:
	s_or_b32 exec_lo, exec_lo, s11
	s_delay_alu instid0(VALU_DEP_1) | instskip(SKIP_1) | instid1(VALU_DEP_2)
	v_bfe_u32 v3, v4, 16, 1
	v_cmp_o_f32_e32 vcc_lo, v4, v4
	v_add3_u32 v3, v4, v3, 0x7fff
	s_delay_alu instid0(VALU_DEP_1) | instskip(NEXT) | instid1(VALU_DEP_1)
	v_lshrrev_b32_e32 v3, 16, v3
	v_cndmask_b32_e32 v3, 0x7fc0, v3, vcc_lo
.LBB48_1395:
	s_mov_b32 s10, -1
.LBB48_1396:
	s_branch .LBB48_1429
.LBB48_1397:
	s_cmp_gt_i32 s7, 22
	s_cbranch_scc0 .LBB48_1407
; %bb.1398:
	s_cmp_lt_i32 s7, 24
	s_cbranch_scc1 .LBB48_1410
; %bb.1399:
	s_cmp_gt_i32 s7, 24
	s_cbranch_scc0 .LBB48_1411
; %bb.1400:
	s_wait_loadcnt 0x0
	global_load_u8 v3, v[0:1], off
	s_mov_b32 s10, exec_lo
	s_wait_loadcnt 0x0
	v_cmpx_lt_i16_e32 0x7f, v3
	s_xor_b32 s10, exec_lo, s10
	s_cbranch_execz .LBB48_1423
; %bb.1401:
	s_mov_b32 s9, -1
	s_mov_b32 s11, exec_lo
	v_cmpx_eq_u16_e32 0x80, v3
; %bb.1402:
	s_xor_b32 s9, exec_lo, -1
; %bb.1403:
	s_or_b32 exec_lo, exec_lo, s11
	s_delay_alu instid0(SALU_CYCLE_1)
	s_and_b32 s9, s9, exec_lo
	s_or_saveexec_b32 s10, s10
	v_mov_b32_e32 v4, 0x7f800001
	s_xor_b32 exec_lo, exec_lo, s10
	s_cbranch_execnz .LBB48_1424
.LBB48_1404:
	s_or_b32 exec_lo, exec_lo, s10
	s_and_saveexec_b32 s10, s9
	s_cbranch_execz .LBB48_1406
.LBB48_1405:
	v_and_b32_e32 v4, 0xffff, v3
	s_delay_alu instid0(VALU_DEP_1) | instskip(SKIP_1) | instid1(VALU_DEP_2)
	v_and_b32_e32 v5, 3, v4
	v_bfe_u32 v9, v4, 2, 5
	v_clz_i32_u32_e32 v6, v5
	s_delay_alu instid0(VALU_DEP_2) | instskip(NEXT) | instid1(VALU_DEP_2)
	v_cmp_eq_u32_e32 vcc_lo, 0, v9
	v_min_u32_e32 v6, 32, v6
	s_delay_alu instid0(VALU_DEP_1) | instskip(NEXT) | instid1(VALU_DEP_1)
	v_subrev_nc_u32_e32 v7, 29, v6
	v_dual_lshlrev_b32 v4, v7, v4 :: v_dual_sub_nc_u32 v6, 30, v6
	s_delay_alu instid0(VALU_DEP_1) | instskip(NEXT) | instid1(VALU_DEP_2)
	v_dual_lshlrev_b32 v3, 24, v3 :: v_dual_bitop2_b32 v4, 3, v4 bitop3:0x40
	v_cndmask_b32_e32 v6, v9, v6, vcc_lo
	s_delay_alu instid0(VALU_DEP_2) | instskip(NEXT) | instid1(VALU_DEP_3)
	v_cndmask_b32_e32 v4, v5, v4, vcc_lo
	v_and_b32_e32 v3, 0x80000000, v3
	s_delay_alu instid0(VALU_DEP_3) | instskip(NEXT) | instid1(VALU_DEP_3)
	v_lshl_add_u32 v5, v6, 23, 0x37800000
	v_lshlrev_b32_e32 v4, 21, v4
	s_delay_alu instid0(VALU_DEP_1)
	v_or3_b32 v4, v3, v5, v4
.LBB48_1406:
	s_or_b32 exec_lo, exec_lo, s10
	s_delay_alu instid0(VALU_DEP_1) | instskip(SKIP_2) | instid1(VALU_DEP_2)
	v_bfe_u32 v3, v4, 16, 1
	v_cmp_o_f32_e32 vcc_lo, v4, v4
	s_mov_b32 s9, 0
	v_add3_u32 v3, v4, v3, 0x7fff
	s_delay_alu instid0(VALU_DEP_1) | instskip(NEXT) | instid1(VALU_DEP_1)
	v_lshrrev_b32_e32 v3, 16, v3
	v_cndmask_b32_e32 v3, 0x7fc0, v3, vcc_lo
	s_branch .LBB48_1412
.LBB48_1407:
	s_mov_b32 s9, -1
                                        ; implicit-def: $vgpr3
	s_branch .LBB48_1418
.LBB48_1408:
	s_or_saveexec_b32 s11, s11
	v_mov_b32_e32 v4, 0x7f800001
	s_xor_b32 exec_lo, exec_lo, s11
	s_cbranch_execz .LBB48_1392
.LBB48_1409:
	v_cmp_ne_u16_e32 vcc_lo, 0, v3
	v_mov_b32_e32 v4, 0
	s_and_not1_b32 s10, s10, exec_lo
	s_and_b32 s12, vcc_lo, exec_lo
	s_delay_alu instid0(SALU_CYCLE_1)
	s_or_b32 s10, s10, s12
	s_or_b32 exec_lo, exec_lo, s11
	s_and_saveexec_b32 s11, s10
	s_cbranch_execnz .LBB48_1393
	s_branch .LBB48_1394
.LBB48_1410:
	s_mov_b32 s9, -1
                                        ; implicit-def: $vgpr3
	s_branch .LBB48_1415
.LBB48_1411:
	s_mov_b32 s9, -1
                                        ; implicit-def: $vgpr3
.LBB48_1412:
	s_delay_alu instid0(SALU_CYCLE_1)
	s_and_b32 vcc_lo, exec_lo, s9
	s_cbranch_vccz .LBB48_1414
; %bb.1413:
	s_wait_loadcnt 0x0
	global_load_u8 v3, v[0:1], off
	s_wait_loadcnt 0x0
	v_lshlrev_b32_e32 v3, 24, v3
	s_delay_alu instid0(VALU_DEP_1) | instskip(NEXT) | instid1(VALU_DEP_1)
	v_and_b32_e32 v4, 0x7f000000, v3
	v_clz_i32_u32_e32 v5, v4
	v_cmp_ne_u32_e32 vcc_lo, 0, v4
	v_add_nc_u32_e32 v7, 0x1000000, v4
	s_delay_alu instid0(VALU_DEP_3) | instskip(NEXT) | instid1(VALU_DEP_1)
	v_min_u32_e32 v5, 32, v5
	v_sub_nc_u32_e64 v5, v5, 4 clamp
	s_delay_alu instid0(VALU_DEP_1) | instskip(NEXT) | instid1(VALU_DEP_1)
	v_dual_lshlrev_b32 v6, v5, v4 :: v_dual_lshlrev_b32 v5, 23, v5
	v_lshrrev_b32_e32 v6, 4, v6
	s_delay_alu instid0(VALU_DEP_1) | instskip(NEXT) | instid1(VALU_DEP_1)
	v_dual_sub_nc_u32 v5, v6, v5 :: v_dual_ashrrev_i32 v6, 8, v7
	v_add_nc_u32_e32 v5, 0x3c000000, v5
	s_delay_alu instid0(VALU_DEP_1) | instskip(NEXT) | instid1(VALU_DEP_1)
	v_and_or_b32 v5, 0x7f800000, v6, v5
	v_cndmask_b32_e32 v4, 0, v5, vcc_lo
	s_delay_alu instid0(VALU_DEP_1) | instskip(SKIP_1) | instid1(VALU_DEP_2)
	v_and_or_b32 v3, 0x80000000, v3, v4
	v_bfe_u32 v4, v4, 16, 1
	v_cmp_o_f32_e32 vcc_lo, v3, v3
	s_delay_alu instid0(VALU_DEP_2) | instskip(NEXT) | instid1(VALU_DEP_1)
	v_add3_u32 v4, v3, v4, 0x7fff
	v_lshrrev_b32_e32 v4, 16, v4
	s_delay_alu instid0(VALU_DEP_1)
	v_cndmask_b32_e32 v3, 0x7fc0, v4, vcc_lo
.LBB48_1414:
	s_mov_b32 s9, 0
.LBB48_1415:
	s_delay_alu instid0(SALU_CYCLE_1)
	s_and_not1_b32 vcc_lo, exec_lo, s9
	s_cbranch_vccnz .LBB48_1417
; %bb.1416:
	s_wait_loadcnt 0x0
	global_load_u8 v3, v[0:1], off
	s_wait_loadcnt 0x0
	v_lshlrev_b32_e32 v4, 25, v3
	v_lshlrev_b16 v3, 8, v3
	s_delay_alu instid0(VALU_DEP_1) | instskip(SKIP_1) | instid1(VALU_DEP_2)
	v_and_or_b32 v6, 0x7f00, v3, 0.5
	v_bfe_i32 v3, v3, 0, 16
	v_dual_add_f32 v6, -0.5, v6 :: v_dual_lshrrev_b32 v5, 4, v4
	v_cmp_gt_u32_e32 vcc_lo, 0x8000000, v4
	s_delay_alu instid0(VALU_DEP_2) | instskip(NEXT) | instid1(VALU_DEP_1)
	v_or_b32_e32 v5, 0x70000000, v5
	v_mul_f32_e32 v5, 0x7800000, v5
	s_delay_alu instid0(VALU_DEP_1) | instskip(NEXT) | instid1(VALU_DEP_1)
	v_cndmask_b32_e32 v4, v5, v6, vcc_lo
	v_and_or_b32 v3, 0x80000000, v3, v4
	v_bfe_u32 v4, v4, 16, 1
	s_delay_alu instid0(VALU_DEP_2) | instskip(NEXT) | instid1(VALU_DEP_2)
	v_cmp_o_f32_e32 vcc_lo, v3, v3
	v_add3_u32 v4, v3, v4, 0x7fff
	s_delay_alu instid0(VALU_DEP_1) | instskip(NEXT) | instid1(VALU_DEP_1)
	v_lshrrev_b32_e32 v4, 16, v4
	v_cndmask_b32_e32 v3, 0x7fc0, v4, vcc_lo
.LBB48_1417:
	s_mov_b32 s9, 0
	s_mov_b32 s10, -1
.LBB48_1418:
	s_and_not1_b32 vcc_lo, exec_lo, s9
	s_mov_b32 s9, 0
	s_cbranch_vccnz .LBB48_1429
; %bb.1419:
	s_cmp_gt_i32 s7, 14
	s_cbranch_scc0 .LBB48_1422
; %bb.1420:
	s_cmp_eq_u32 s7, 15
	s_cbranch_scc0 .LBB48_1425
; %bb.1421:
	s_wait_loadcnt 0x0
	global_load_u16 v3, v[0:1], off
	s_mov_b32 s8, 0
	s_mov_b32 s10, -1
	s_branch .LBB48_1427
.LBB48_1422:
	s_mov_b32 s9, -1
	s_branch .LBB48_1426
.LBB48_1423:
	s_or_saveexec_b32 s10, s10
	v_mov_b32_e32 v4, 0x7f800001
	s_xor_b32 exec_lo, exec_lo, s10
	s_cbranch_execz .LBB48_1404
.LBB48_1424:
	v_cmp_ne_u16_e32 vcc_lo, 0, v3
	v_mov_b32_e32 v4, 0
	s_and_not1_b32 s9, s9, exec_lo
	s_and_b32 s11, vcc_lo, exec_lo
	s_delay_alu instid0(SALU_CYCLE_1)
	s_or_b32 s9, s9, s11
	s_or_b32 exec_lo, exec_lo, s10
	s_and_saveexec_b32 s10, s9
	s_cbranch_execnz .LBB48_1405
	s_branch .LBB48_1406
.LBB48_1425:
	s_mov_b32 s8, -1
.LBB48_1426:
                                        ; implicit-def: $vgpr3
.LBB48_1427:
	s_and_b32 vcc_lo, exec_lo, s9
	s_mov_b32 s9, 0
	s_cbranch_vccz .LBB48_1429
; %bb.1428:
	s_cmp_lg_u32 s7, 11
	s_mov_b32 s9, -1
	s_cselect_b32 s7, -1, 0
	s_and_not1_b32 s8, s8, exec_lo
	s_and_b32 s7, s7, exec_lo
	s_delay_alu instid0(SALU_CYCLE_1)
	s_or_b32 s8, s8, s7
.LBB48_1429:
	s_mov_b32 s7, 0
.LBB48_1430:
	s_and_not1_b32 s11, s39, exec_lo
	s_and_b32 s12, s8, exec_lo
	s_and_b32 s10, s10, exec_lo
	;; [unrolled: 1-line block ×4, first 2 shown]
	s_or_b32 s39, s11, s12
	s_wait_xcnt 0x0
	s_or_b32 exec_lo, exec_lo, s6
	s_and_saveexec_b32 s6, s39
	s_cbranch_execz .LBB48_1359
.LBB48_1431:
	s_or_b32 s1, s1, exec_lo
	s_and_not1_b32 s8, s8, exec_lo
	s_trap 2
	s_or_b32 exec_lo, exec_lo, s6
	s_and_saveexec_b32 s6, s8
	s_delay_alu instid0(SALU_CYCLE_1)
	s_xor_b32 s6, exec_lo, s6
	s_cbranch_execnz .LBB48_1360
.LBB48_1432:
	s_or_b32 exec_lo, exec_lo, s6
	s_and_saveexec_b32 s6, s7
	s_cbranch_execz .LBB48_1478
.LBB48_1433:
	s_sext_i32_i16 s7, s0
	s_delay_alu instid0(SALU_CYCLE_1)
	s_cmp_lt_i32 s7, 5
	s_cbranch_scc1 .LBB48_1438
; %bb.1434:
	s_cmp_lt_i32 s7, 8
	s_cbranch_scc1 .LBB48_1439
; %bb.1435:
	;; [unrolled: 3-line block ×3, first 2 shown]
	s_cmp_gt_i32 s7, 9
	s_cbranch_scc0 .LBB48_1441
; %bb.1437:
	s_wait_loadcnt 0x0
	global_load_b64 v[4:5], v[0:1], off
	s_mov_b32 s7, 0
	s_wait_loadcnt 0x0
	v_cvt_f32_f64_e32 v3, v[4:5]
	s_delay_alu instid0(VALU_DEP_1) | instskip(SKIP_1) | instid1(VALU_DEP_2)
	v_bfe_u32 v4, v3, 16, 1
	v_cmp_o_f32_e32 vcc_lo, v3, v3
	v_add3_u32 v4, v3, v4, 0x7fff
	s_delay_alu instid0(VALU_DEP_1) | instskip(NEXT) | instid1(VALU_DEP_1)
	v_lshrrev_b32_e32 v4, 16, v4
	v_cndmask_b32_e32 v3, 0x7fc0, v4, vcc_lo
	s_branch .LBB48_1442
.LBB48_1438:
                                        ; implicit-def: $vgpr3
	s_branch .LBB48_1459
.LBB48_1439:
                                        ; implicit-def: $vgpr3
	s_branch .LBB48_1448
.LBB48_1440:
	s_mov_b32 s7, -1
                                        ; implicit-def: $vgpr3
	s_branch .LBB48_1445
.LBB48_1441:
	s_mov_b32 s7, -1
                                        ; implicit-def: $vgpr3
.LBB48_1442:
	s_delay_alu instid0(SALU_CYCLE_1)
	s_and_not1_b32 vcc_lo, exec_lo, s7
	s_cbranch_vccnz .LBB48_1444
; %bb.1443:
	s_wait_loadcnt 0x0
	global_load_b32 v3, v[0:1], off
	s_wait_loadcnt 0x0
	v_bfe_u32 v4, v3, 16, 1
	v_cmp_o_f32_e32 vcc_lo, v3, v3
	s_delay_alu instid0(VALU_DEP_2) | instskip(NEXT) | instid1(VALU_DEP_1)
	v_add3_u32 v4, v3, v4, 0x7fff
	v_lshrrev_b32_e32 v4, 16, v4
	s_delay_alu instid0(VALU_DEP_1)
	v_cndmask_b32_e32 v3, 0x7fc0, v4, vcc_lo
.LBB48_1444:
	s_mov_b32 s7, 0
.LBB48_1445:
	s_delay_alu instid0(SALU_CYCLE_1)
	s_and_not1_b32 vcc_lo, exec_lo, s7
	s_cbranch_vccnz .LBB48_1447
; %bb.1446:
	s_wait_loadcnt 0x0
	global_load_b32 v3, v[0:1], off
	s_wait_loadcnt 0x0
	v_cvt_f32_f16_e32 v4, v3
	v_cmp_o_f16_e32 vcc_lo, v3, v3
	s_delay_alu instid0(VALU_DEP_2) | instskip(NEXT) | instid1(VALU_DEP_1)
	v_bfe_u32 v5, v4, 16, 1
	v_add3_u32 v4, v4, v5, 0x7fff
	s_delay_alu instid0(VALU_DEP_1) | instskip(NEXT) | instid1(VALU_DEP_1)
	v_lshrrev_b32_e32 v4, 16, v4
	v_cndmask_b32_e32 v3, 0x7fc0, v4, vcc_lo
.LBB48_1447:
	s_cbranch_execnz .LBB48_1458
.LBB48_1448:
	s_sext_i32_i16 s7, s0
	s_delay_alu instid0(SALU_CYCLE_1)
	s_cmp_lt_i32 s7, 6
	s_cbranch_scc1 .LBB48_1451
; %bb.1449:
	s_cmp_gt_i32 s7, 6
	s_cbranch_scc0 .LBB48_1452
; %bb.1450:
	s_wait_loadcnt 0x0
	global_load_b64 v[4:5], v[0:1], off
	s_mov_b32 s7, 0
	s_wait_loadcnt 0x0
	v_cvt_f32_f64_e32 v3, v[4:5]
	s_delay_alu instid0(VALU_DEP_1) | instskip(SKIP_1) | instid1(VALU_DEP_2)
	v_bfe_u32 v4, v3, 16, 1
	v_cmp_o_f32_e32 vcc_lo, v3, v3
	v_add3_u32 v4, v3, v4, 0x7fff
	s_delay_alu instid0(VALU_DEP_1) | instskip(NEXT) | instid1(VALU_DEP_1)
	v_lshrrev_b32_e32 v4, 16, v4
	v_cndmask_b32_e32 v3, 0x7fc0, v4, vcc_lo
	s_branch .LBB48_1453
.LBB48_1451:
	s_mov_b32 s7, -1
                                        ; implicit-def: $vgpr3
	s_branch .LBB48_1456
.LBB48_1452:
	s_mov_b32 s7, -1
                                        ; implicit-def: $vgpr3
.LBB48_1453:
	s_delay_alu instid0(SALU_CYCLE_1)
	s_and_not1_b32 vcc_lo, exec_lo, s7
	s_cbranch_vccnz .LBB48_1455
; %bb.1454:
	s_wait_loadcnt 0x0
	global_load_b32 v3, v[0:1], off
	s_wait_loadcnt 0x0
	v_bfe_u32 v4, v3, 16, 1
	v_cmp_o_f32_e32 vcc_lo, v3, v3
	s_delay_alu instid0(VALU_DEP_2) | instskip(NEXT) | instid1(VALU_DEP_1)
	v_add3_u32 v4, v3, v4, 0x7fff
	v_lshrrev_b32_e32 v4, 16, v4
	s_delay_alu instid0(VALU_DEP_1)
	v_cndmask_b32_e32 v3, 0x7fc0, v4, vcc_lo
.LBB48_1455:
	s_mov_b32 s7, 0
.LBB48_1456:
	s_delay_alu instid0(SALU_CYCLE_1)
	s_and_not1_b32 vcc_lo, exec_lo, s7
	s_cbranch_vccnz .LBB48_1458
; %bb.1457:
	s_wait_loadcnt 0x0
	global_load_u16 v3, v[0:1], off
	s_wait_loadcnt 0x0
	v_cvt_f32_f16_e32 v4, v3
	v_cmp_o_f16_e32 vcc_lo, v3, v3
	s_delay_alu instid0(VALU_DEP_2) | instskip(NEXT) | instid1(VALU_DEP_1)
	v_bfe_u32 v5, v4, 16, 1
	v_add3_u32 v4, v4, v5, 0x7fff
	s_delay_alu instid0(VALU_DEP_1) | instskip(NEXT) | instid1(VALU_DEP_1)
	v_lshrrev_b32_e32 v4, 16, v4
	v_cndmask_b32_e32 v3, 0x7fc0, v4, vcc_lo
.LBB48_1458:
	s_cbranch_execnz .LBB48_1477
.LBB48_1459:
	s_sext_i32_i16 s7, s0
	s_delay_alu instid0(SALU_CYCLE_1)
	s_cmp_lt_i32 s7, 2
	s_cbranch_scc1 .LBB48_1463
; %bb.1460:
	s_cmp_lt_i32 s7, 3
	s_cbranch_scc1 .LBB48_1464
; %bb.1461:
	s_cmp_gt_i32 s7, 3
	s_cbranch_scc0 .LBB48_1465
; %bb.1462:
	s_wait_loadcnt 0x0
	global_load_b64 v[4:5], v[0:1], off
	s_mov_b32 s7, 0
	s_wait_loadcnt 0x0
	v_xor_b32_e32 v3, v4, v5
	v_cls_i32_e32 v6, v5
	s_delay_alu instid0(VALU_DEP_2) | instskip(NEXT) | instid1(VALU_DEP_1)
	v_ashrrev_i32_e32 v3, 31, v3
	v_add_nc_u32_e32 v3, 32, v3
	s_delay_alu instid0(VALU_DEP_1) | instskip(NEXT) | instid1(VALU_DEP_1)
	v_add_min_u32_e64 v3, v6, -1, v3
	v_lshlrev_b64_e32 v[4:5], v3, v[4:5]
	v_sub_nc_u32_e32 v3, 32, v3
	s_delay_alu instid0(VALU_DEP_2) | instskip(NEXT) | instid1(VALU_DEP_1)
	v_min_u32_e32 v4, 1, v4
	v_or_b32_e32 v4, v5, v4
	s_delay_alu instid0(VALU_DEP_1) | instskip(NEXT) | instid1(VALU_DEP_1)
	v_cvt_f32_i32_e32 v4, v4
	v_ldexp_f32 v3, v4, v3
	s_delay_alu instid0(VALU_DEP_1) | instskip(NEXT) | instid1(VALU_DEP_1)
	v_bfe_u32 v4, v3, 16, 1
	v_add3_u32 v3, v3, v4, 0x7fff
	s_delay_alu instid0(VALU_DEP_1)
	v_lshrrev_b32_e32 v3, 16, v3
	s_branch .LBB48_1466
.LBB48_1463:
                                        ; implicit-def: $vgpr3
	s_branch .LBB48_1472
.LBB48_1464:
	s_mov_b32 s7, -1
                                        ; implicit-def: $vgpr3
	s_branch .LBB48_1469
.LBB48_1465:
	s_mov_b32 s7, -1
                                        ; implicit-def: $vgpr3
.LBB48_1466:
	s_delay_alu instid0(SALU_CYCLE_1)
	s_and_not1_b32 vcc_lo, exec_lo, s7
	s_cbranch_vccnz .LBB48_1468
; %bb.1467:
	s_wait_loadcnt 0x0
	global_load_b32 v3, v[0:1], off
	s_wait_loadcnt 0x0
	v_cvt_f32_i32_e32 v3, v3
	s_delay_alu instid0(VALU_DEP_1) | instskip(NEXT) | instid1(VALU_DEP_1)
	v_bfe_u32 v4, v3, 16, 1
	v_add3_u32 v3, v3, v4, 0x7fff
	s_delay_alu instid0(VALU_DEP_1)
	v_lshrrev_b32_e32 v3, 16, v3
.LBB48_1468:
	s_mov_b32 s7, 0
.LBB48_1469:
	s_delay_alu instid0(SALU_CYCLE_1)
	s_and_not1_b32 vcc_lo, exec_lo, s7
	s_cbranch_vccnz .LBB48_1471
; %bb.1470:
	s_wait_loadcnt 0x0
	global_load_i16 v3, v[0:1], off
	s_wait_loadcnt 0x0
	v_cvt_f32_i32_e32 v3, v3
	s_delay_alu instid0(VALU_DEP_1) | instskip(NEXT) | instid1(VALU_DEP_1)
	v_bfe_u32 v4, v3, 16, 1
	v_add3_u32 v3, v3, v4, 0x7fff
	s_delay_alu instid0(VALU_DEP_1)
	v_lshrrev_b32_e32 v3, 16, v3
.LBB48_1471:
	s_cbranch_execnz .LBB48_1477
.LBB48_1472:
	s_sext_i32_i16 s0, s0
	s_delay_alu instid0(SALU_CYCLE_1)
	s_cmp_gt_i32 s0, 0
	s_mov_b32 s0, 0
	s_cbranch_scc0 .LBB48_1474
; %bb.1473:
	s_wait_loadcnt 0x0
	global_load_i8 v3, v[0:1], off
	s_wait_loadcnt 0x0
	v_cvt_f32_i32_e32 v3, v3
	s_delay_alu instid0(VALU_DEP_1) | instskip(NEXT) | instid1(VALU_DEP_1)
	v_bfe_u32 v4, v3, 16, 1
	v_add3_u32 v3, v3, v4, 0x7fff
	s_delay_alu instid0(VALU_DEP_1)
	v_lshrrev_b32_e32 v3, 16, v3
	s_branch .LBB48_1475
.LBB48_1474:
	s_mov_b32 s0, -1
                                        ; implicit-def: $vgpr3
.LBB48_1475:
	s_delay_alu instid0(SALU_CYCLE_1)
	s_and_not1_b32 vcc_lo, exec_lo, s0
	s_cbranch_vccnz .LBB48_1477
; %bb.1476:
	s_wait_loadcnt 0x0
	global_load_u8 v0, v[0:1], off
	s_wait_loadcnt 0x0
	v_cvt_f32_ubyte0_e32 v0, v0
	s_delay_alu instid0(VALU_DEP_1) | instskip(NEXT) | instid1(VALU_DEP_1)
	v_bfe_u32 v1, v0, 16, 1
	v_add3_u32 v0, v0, v1, 0x7fff
	s_delay_alu instid0(VALU_DEP_1)
	v_lshrrev_b32_e32 v3, 16, v0
.LBB48_1477:
	s_or_b32 s10, s10, exec_lo
.LBB48_1478:
	s_wait_xcnt 0x0
	s_or_b32 exec_lo, exec_lo, s6
	s_mov_b32 s0, 0
	s_mov_b32 s8, 0
                                        ; implicit-def: $sgpr6
                                        ; implicit-def: $vgpr0_vgpr1
	s_and_saveexec_b32 s7, s10
	s_cbranch_execz .LBB48_1488
; %bb.1479:
	s_wait_loadcnt 0x0
	v_lshlrev_b32_e32 v0, 16, v8
	s_mov_b32 s0, exec_lo
	s_delay_alu instid0(VALU_DEP_1)
	v_cmpx_nlt_f32_e32 0, v0
	s_cbranch_execz .LBB48_1481
; %bb.1480:
	v_lshlrev_b32_e32 v1, 16, v3
	s_delay_alu instid0(VALU_DEP_1) | instskip(NEXT) | instid1(VALU_DEP_1)
	v_mul_f32_e32 v0, v0, v1
	v_bfe_u32 v1, v0, 16, 1
	s_delay_alu instid0(VALU_DEP_1) | instskip(NEXT) | instid1(VALU_DEP_1)
	v_add3_u32 v1, v0, v1, 0x7fff
	v_lshrrev_b32_e32 v1, 16, v1
	v_cmp_o_f32_e32 vcc_lo, v0, v0
	s_delay_alu instid0(VALU_DEP_2)
	v_cndmask_b32_e32 v8, 0x7fc0, v1, vcc_lo
.LBB48_1481:
	s_or_b32 exec_lo, exec_lo, s0
	v_mov_b32_e32 v3, 0
	s_and_b32 s6, s31, 0xff
	s_delay_alu instid0(SALU_CYCLE_1) | instskip(NEXT) | instid1(VALU_DEP_1)
	s_cmp_lt_i32 s6, 11
	v_add_nc_u64_e32 v[0:1], s[4:5], v[2:3]
	s_cbranch_scc1 .LBB48_1491
; %bb.1482:
	s_and_b32 s4, 0xffff, s6
	s_mov_b32 s5, -1
	s_cmp_gt_i32 s4, 25
	s_mov_b32 s0, s38
	s_cbranch_scc0 .LBB48_1519
; %bb.1483:
	s_cmp_gt_i32 s4, 28
	s_mov_b32 s0, s38
	s_cbranch_scc0 .LBB48_1503
; %bb.1484:
	;; [unrolled: 4-line block ×4, first 2 shown]
	s_cmp_eq_u32 s4, 46
	s_mov_b32 s0, -1
	s_cbranch_scc0 .LBB48_1492
; %bb.1487:
	v_and_b32_e32 v2, 0xffff, v8
	s_mov_b32 s0, 0
	s_mov_b32 s5, 0
	global_store_b32 v[0:1], v2, off
	s_branch .LBB48_1493
.LBB48_1488:
	s_or_b32 exec_lo, exec_lo, s7
	s_and_saveexec_b32 s4, s38
	s_cbranch_execnz .LBB48_1561
.LBB48_1489:
	s_or_b32 exec_lo, exec_lo, s4
	s_and_saveexec_b32 s4, s0
	s_delay_alu instid0(SALU_CYCLE_1)
	s_xor_b32 s0, exec_lo, s4
	s_cbranch_execz .LBB48_1562
.LBB48_1490:
	s_wait_loadcnt 0x0
	v_and_b32_e32 v2, 0x7fff, v8
	s_delay_alu instid0(VALU_DEP_1)
	v_cmp_ne_u16_e32 vcc_lo, 0, v2
	v_cndmask_b32_e64 v2, 0, 1, vcc_lo
	global_store_b8 v[0:1], v2, off
	s_wait_xcnt 0x0
	s_or_b32 exec_lo, exec_lo, s0
	s_and_saveexec_b32 s0, s8
	s_delay_alu instid0(SALU_CYCLE_1)
	s_xor_b32 s0, exec_lo, s0
	s_cbranch_execz .LBB48_1600
	s_branch .LBB48_1563
.LBB48_1491:
	s_mov_b32 s9, 0
	s_mov_b32 s5, -1
	s_mov_b32 s0, s38
	s_branch .LBB48_1560
.LBB48_1492:
	s_mov_b32 s5, 0
.LBB48_1493:
	s_delay_alu instid0(SALU_CYCLE_1)
	s_and_b32 vcc_lo, exec_lo, s5
	s_cbranch_vccz .LBB48_1498
; %bb.1494:
	s_cmp_eq_u32 s4, 44
	s_mov_b32 s0, -1
	s_cbranch_scc0 .LBB48_1498
; %bb.1495:
	s_wait_xcnt 0x0
	v_and_b32_e32 v2, 0xffff, v8
	v_mov_b32_e32 v3, 0xff
	s_mov_b32 s5, exec_lo
	s_delay_alu instid0(VALU_DEP_2) | instskip(NEXT) | instid1(VALU_DEP_1)
	v_bfe_u32 v4, v2, 7, 8
	v_cmpx_ne_u32_e32 0xff, v4
	s_cbranch_execz .LBB48_1497
; %bb.1496:
	v_dual_lshlrev_b32 v3, 16, v2 :: v_dual_bitop2_b32 v5, 64, v2 bitop3:0x40
	v_lshrrev_b32_e32 v2, 7, v2
	s_delay_alu instid0(VALU_DEP_2) | instskip(NEXT) | instid1(VALU_DEP_3)
	v_and_or_b32 v3, 0x3f0000, v3, v4
	v_cmp_ne_u32_e32 vcc_lo, 0, v5
	s_delay_alu instid0(VALU_DEP_2) | instskip(SKIP_1) | instid1(SALU_CYCLE_1)
	v_cmp_ne_u32_e64 s0, 0, v3
	s_and_b32 s0, vcc_lo, s0
	v_cndmask_b32_e64 v3, 0, 1, s0
	s_delay_alu instid0(VALU_DEP_1)
	v_add_nc_u32_e32 v3, v2, v3
.LBB48_1497:
	s_or_b32 exec_lo, exec_lo, s5
	s_mov_b32 s0, 0
	global_store_b8 v[0:1], v3, off
.LBB48_1498:
	s_mov_b32 s5, 0
.LBB48_1499:
	s_delay_alu instid0(SALU_CYCLE_1)
	s_and_b32 vcc_lo, exec_lo, s5
	s_cbranch_vccz .LBB48_1502
; %bb.1500:
	s_cmp_eq_u32 s4, 29
	s_mov_b32 s0, -1
	s_cbranch_scc0 .LBB48_1502
; %bb.1501:
	s_wait_xcnt 0x0
	v_lshlrev_b32_e32 v2, 16, v8
	s_mov_b32 s0, 0
	s_mov_b32 s5, 0
	s_delay_alu instid0(VALU_DEP_1) | instskip(NEXT) | instid1(VALU_DEP_1)
	v_trunc_f32_e32 v2, v2
	v_mul_f32_e32 v3, 0x2f800000, v2
	s_delay_alu instid0(VALU_DEP_1) | instskip(NEXT) | instid1(VALU_DEP_1)
	v_floor_f32_e32 v3, v3
	v_fmamk_f32 v2, v3, 0xcf800000, v2
	v_cvt_u32_f32_e32 v3, v3
	s_delay_alu instid0(VALU_DEP_2)
	v_cvt_u32_f32_e32 v2, v2
	global_store_b64 v[0:1], v[2:3], off
	s_branch .LBB48_1503
.LBB48_1502:
	s_mov_b32 s5, 0
.LBB48_1503:
	s_delay_alu instid0(SALU_CYCLE_1)
	s_and_b32 vcc_lo, exec_lo, s5
	s_cbranch_vccz .LBB48_1518
; %bb.1504:
	s_cmp_lt_i32 s4, 27
	s_mov_b32 s5, -1
	s_cbranch_scc1 .LBB48_1510
; %bb.1505:
	s_cmp_gt_i32 s4, 27
	s_cbranch_scc0 .LBB48_1507
; %bb.1506:
	s_wait_xcnt 0x0
	v_lshlrev_b32_e32 v2, 16, v8
	s_mov_b32 s5, 0
	s_delay_alu instid0(VALU_DEP_1)
	v_cvt_u32_f32_e32 v2, v2
	global_store_b32 v[0:1], v2, off
.LBB48_1507:
	s_and_not1_b32 vcc_lo, exec_lo, s5
	s_cbranch_vccnz .LBB48_1509
; %bb.1508:
	s_wait_xcnt 0x0
	v_lshlrev_b32_e32 v2, 16, v8
	s_delay_alu instid0(VALU_DEP_1)
	v_cvt_u32_f32_e32 v2, v2
	global_store_b16 v[0:1], v2, off
.LBB48_1509:
	s_mov_b32 s5, 0
.LBB48_1510:
	s_delay_alu instid0(SALU_CYCLE_1)
	s_and_not1_b32 vcc_lo, exec_lo, s5
	s_cbranch_vccnz .LBB48_1518
; %bb.1511:
	v_dual_mov_b32 v5, 0x80 :: v_dual_lshlrev_b32 v4, 16, v8
	s_mov_b32 s5, exec_lo
	s_wait_xcnt 0x0
	s_delay_alu instid0(VALU_DEP_1) | instskip(NEXT) | instid1(VALU_DEP_1)
	v_and_b32_e32 v3, 0x7fffffff, v4
	v_cmpx_gt_u32_e32 0x43800000, v3
	s_cbranch_execz .LBB48_1517
; %bb.1512:
	v_and_b32_e32 v2, 0xffff, v8
	v_cmp_lt_u32_e32 vcc_lo, 0x3bffffff, v3
                                        ; implicit-def: $vgpr3
	s_and_saveexec_b32 s9, vcc_lo
	s_delay_alu instid0(SALU_CYCLE_1)
	s_xor_b32 s9, exec_lo, s9
	s_cbranch_execz .LBB48_1659
; %bb.1513:
	v_bfe_u32 v3, v2, 4, 1
	s_mov_b32 s8, exec_lo
	s_delay_alu instid0(VALU_DEP_1) | instskip(NEXT) | instid1(VALU_DEP_1)
	v_add3_u32 v3, v4, v3, 0x487ffff
                                        ; implicit-def: $vgpr4
	v_lshrrev_b32_e32 v3, 20, v3
	s_and_not1_saveexec_b32 s9, s9
	s_cbranch_execnz .LBB48_1660
.LBB48_1514:
	s_or_b32 exec_lo, exec_lo, s9
	v_mov_b32_e32 v5, 0
	s_and_saveexec_b32 s9, s8
.LBB48_1515:
	v_lshrrev_b32_e32 v2, 8, v2
	s_delay_alu instid0(VALU_DEP_1)
	v_and_or_b32 v5, 0x80, v2, v3
.LBB48_1516:
	s_or_b32 exec_lo, exec_lo, s9
.LBB48_1517:
	s_delay_alu instid0(SALU_CYCLE_1)
	s_or_b32 exec_lo, exec_lo, s5
	global_store_b8 v[0:1], v5, off
.LBB48_1518:
	s_mov_b32 s5, 0
.LBB48_1519:
	s_delay_alu instid0(SALU_CYCLE_1)
	s_and_b32 vcc_lo, exec_lo, s5
	s_mov_b32 s5, 0
	s_cbranch_vccz .LBB48_1559
; %bb.1520:
	s_cmp_gt_i32 s4, 22
	s_mov_b32 s8, -1
	s_cbranch_scc0 .LBB48_1552
; %bb.1521:
	s_cmp_lt_i32 s4, 24
	s_cbranch_scc1 .LBB48_1541
; %bb.1522:
	s_cmp_gt_i32 s4, 24
	s_cbranch_scc0 .LBB48_1530
; %bb.1523:
	s_wait_xcnt 0x0
	v_dual_mov_b32 v5, 0x80 :: v_dual_lshlrev_b32 v4, 16, v8
	s_mov_b32 s8, exec_lo
	s_delay_alu instid0(VALU_DEP_1) | instskip(NEXT) | instid1(VALU_DEP_1)
	v_and_b32_e32 v3, 0x7fffffff, v4
	v_cmpx_gt_u32_e32 0x47800000, v3
	s_cbranch_execz .LBB48_1529
; %bb.1524:
	v_and_b32_e32 v2, 0xffff, v8
	v_cmp_lt_u32_e32 vcc_lo, 0x37ffffff, v3
	s_mov_b32 s9, 0
                                        ; implicit-def: $vgpr3
	s_and_saveexec_b32 s10, vcc_lo
	s_delay_alu instid0(SALU_CYCLE_1)
	s_xor_b32 s10, exec_lo, s10
	s_cbranch_execz .LBB48_1785
; %bb.1525:
	v_bfe_u32 v3, v2, 5, 1
	s_mov_b32 s9, exec_lo
	s_delay_alu instid0(VALU_DEP_1) | instskip(NEXT) | instid1(VALU_DEP_1)
	v_add3_u32 v3, v4, v3, 0x88fffff
                                        ; implicit-def: $vgpr4
	v_lshrrev_b32_e32 v3, 21, v3
	s_and_not1_saveexec_b32 s10, s10
	s_cbranch_execnz .LBB48_1786
.LBB48_1526:
	s_or_b32 exec_lo, exec_lo, s10
	v_mov_b32_e32 v5, 0
	s_and_saveexec_b32 s10, s9
.LBB48_1527:
	v_lshrrev_b32_e32 v2, 8, v2
	s_delay_alu instid0(VALU_DEP_1)
	v_and_or_b32 v5, 0x80, v2, v3
.LBB48_1528:
	s_or_b32 exec_lo, exec_lo, s10
.LBB48_1529:
	s_delay_alu instid0(SALU_CYCLE_1)
	s_or_b32 exec_lo, exec_lo, s8
	s_mov_b32 s8, 0
	global_store_b8 v[0:1], v5, off
.LBB48_1530:
	s_and_b32 vcc_lo, exec_lo, s8
	s_cbranch_vccz .LBB48_1540
; %bb.1531:
	v_lshlrev_b32_e32 v4, 16, v8
	s_wait_xcnt 0x0
	v_and_b32_e32 v2, 0xffff, v8
	s_mov_b32 s8, exec_lo
                                        ; implicit-def: $vgpr3
	s_delay_alu instid0(VALU_DEP_2) | instskip(NEXT) | instid1(VALU_DEP_1)
	v_and_b32_e32 v5, 0x7fffffff, v4
	v_cmpx_gt_u32_e32 0x43f00000, v5
	s_xor_b32 s8, exec_lo, s8
	s_cbranch_execz .LBB48_1537
; %bb.1532:
	s_mov_b32 s9, exec_lo
                                        ; implicit-def: $vgpr3
	v_cmpx_lt_u32_e32 0x3c7fffff, v5
	s_xor_b32 s9, exec_lo, s9
; %bb.1533:
	v_bfe_u32 v3, v2, 4, 1
	s_delay_alu instid0(VALU_DEP_1) | instskip(NEXT) | instid1(VALU_DEP_1)
	v_add3_u32 v3, v4, v3, 0x407ffff
	v_and_b32_e32 v4, 0xff00000, v3
	v_lshrrev_b32_e32 v3, 20, v3
	s_delay_alu instid0(VALU_DEP_2) | instskip(NEXT) | instid1(VALU_DEP_2)
	v_cmp_ne_u32_e32 vcc_lo, 0x7f00000, v4
                                        ; implicit-def: $vgpr4
	v_cndmask_b32_e32 v3, 0x7e, v3, vcc_lo
; %bb.1534:
	s_and_not1_saveexec_b32 s9, s9
; %bb.1535:
	v_add_f32_e64 v3, 0x46800000, |v4|
; %bb.1536:
	s_or_b32 exec_lo, exec_lo, s9
                                        ; implicit-def: $vgpr5
.LBB48_1537:
	s_and_not1_saveexec_b32 s8, s8
; %bb.1538:
	v_mov_b32_e32 v3, 0x7f
	v_cmp_lt_u32_e32 vcc_lo, 0x7f800000, v5
	s_delay_alu instid0(VALU_DEP_2)
	v_cndmask_b32_e32 v3, 0x7e, v3, vcc_lo
; %bb.1539:
	s_or_b32 exec_lo, exec_lo, s8
	v_lshrrev_b32_e32 v2, 8, v2
	s_delay_alu instid0(VALU_DEP_1)
	v_and_or_b32 v2, 0x80, v2, v3
	global_store_b8 v[0:1], v2, off
.LBB48_1540:
	s_mov_b32 s8, 0
.LBB48_1541:
	s_delay_alu instid0(SALU_CYCLE_1)
	s_and_not1_b32 vcc_lo, exec_lo, s8
	s_cbranch_vccnz .LBB48_1551
; %bb.1542:
	v_lshlrev_b32_e32 v4, 16, v8
	s_wait_xcnt 0x0
	v_and_b32_e32 v2, 0xffff, v8
	s_mov_b32 s8, exec_lo
                                        ; implicit-def: $vgpr3
	s_delay_alu instid0(VALU_DEP_2) | instskip(NEXT) | instid1(VALU_DEP_1)
	v_and_b32_e32 v5, 0x7fffffff, v4
	v_cmpx_gt_u32_e32 0x47800000, v5
	s_xor_b32 s8, exec_lo, s8
	s_cbranch_execz .LBB48_1548
; %bb.1543:
	s_mov_b32 s9, exec_lo
                                        ; implicit-def: $vgpr3
	v_cmpx_lt_u32_e32 0x387fffff, v5
	s_xor_b32 s9, exec_lo, s9
; %bb.1544:
	v_bfe_u32 v3, v2, 5, 1
	s_delay_alu instid0(VALU_DEP_1) | instskip(NEXT) | instid1(VALU_DEP_1)
	v_add3_u32 v3, v4, v3, 0x80fffff
                                        ; implicit-def: $vgpr4
	v_lshrrev_b32_e32 v3, 21, v3
; %bb.1545:
	s_and_not1_saveexec_b32 s9, s9
; %bb.1546:
	v_add_f32_e64 v3, 0x43000000, |v4|
; %bb.1547:
	s_or_b32 exec_lo, exec_lo, s9
                                        ; implicit-def: $vgpr5
.LBB48_1548:
	s_and_not1_saveexec_b32 s8, s8
; %bb.1549:
	v_mov_b32_e32 v3, 0x7f
	v_cmp_lt_u32_e32 vcc_lo, 0x7f800000, v5
	s_delay_alu instid0(VALU_DEP_2)
	v_cndmask_b32_e32 v3, 0x7c, v3, vcc_lo
; %bb.1550:
	s_or_b32 exec_lo, exec_lo, s8
	v_lshrrev_b32_e32 v2, 8, v2
	s_delay_alu instid0(VALU_DEP_1)
	v_and_or_b32 v2, 0x80, v2, v3
	global_store_b8 v[0:1], v2, off
.LBB48_1551:
	s_mov_b32 s8, 0
.LBB48_1552:
	s_delay_alu instid0(SALU_CYCLE_1)
	s_and_not1_b32 vcc_lo, exec_lo, s8
	s_mov_b32 s9, 0
	s_cbranch_vccnz .LBB48_1560
; %bb.1553:
	s_cmp_gt_i32 s4, 14
	s_mov_b32 s8, -1
	s_cbranch_scc0 .LBB48_1557
; %bb.1554:
	s_cmp_eq_u32 s4, 15
	s_mov_b32 s0, -1
	s_cbranch_scc0 .LBB48_1556
; %bb.1555:
	s_mov_b32 s0, 0
	global_store_b16 v[0:1], v8, off
.LBB48_1556:
	s_mov_b32 s8, 0
.LBB48_1557:
	s_delay_alu instid0(SALU_CYCLE_1)
	s_and_b32 vcc_lo, exec_lo, s8
	s_cbranch_vccz .LBB48_1560
; %bb.1558:
	s_cmp_lg_u32 s4, 11
	s_mov_b32 s9, -1
	s_cselect_b32 s4, -1, 0
	s_and_not1_b32 s0, s0, exec_lo
	s_and_b32 s4, s4, exec_lo
	s_delay_alu instid0(SALU_CYCLE_1)
	s_or_b32 s0, s0, s4
	s_branch .LBB48_1560
.LBB48_1559:
	s_mov_b32 s9, 0
.LBB48_1560:
	s_and_b32 s8, s5, exec_lo
	s_and_not1_b32 s4, s38, exec_lo
	s_and_b32 s5, s0, exec_lo
	s_and_b32 s0, s9, exec_lo
	s_or_b32 s38, s4, s5
	s_wait_xcnt 0x0
	s_or_b32 exec_lo, exec_lo, s7
	s_and_saveexec_b32 s4, s38
	s_cbranch_execz .LBB48_1489
.LBB48_1561:
	s_or_b32 s1, s1, exec_lo
	s_and_not1_b32 s0, s0, exec_lo
	s_trap 2
	s_or_b32 exec_lo, exec_lo, s4
	s_and_saveexec_b32 s4, s0
	s_delay_alu instid0(SALU_CYCLE_1)
	s_xor_b32 s0, exec_lo, s4
	s_cbranch_execnz .LBB48_1490
.LBB48_1562:
	s_or_b32 exec_lo, exec_lo, s0
	s_and_saveexec_b32 s0, s8
	s_delay_alu instid0(SALU_CYCLE_1)
	s_xor_b32 s0, exec_lo, s0
	s_cbranch_execz .LBB48_1600
.LBB48_1563:
	s_sext_i32_i16 s5, s6
	s_mov_b32 s4, -1
	s_cmp_lt_i32 s5, 5
	s_cbranch_scc1 .LBB48_1584
; %bb.1564:
	s_cmp_lt_i32 s5, 8
	s_cbranch_scc1 .LBB48_1574
; %bb.1565:
	;; [unrolled: 3-line block ×3, first 2 shown]
	s_cmp_gt_i32 s5, 9
	s_cbranch_scc0 .LBB48_1568
; %bb.1567:
	s_wait_loadcnt 0x0
	v_dual_lshlrev_b32 v2, 16, v8 :: v_dual_mov_b32 v4, 0
	s_mov_b32 s4, 0
	s_delay_alu instid0(VALU_DEP_1) | instskip(NEXT) | instid1(VALU_DEP_2)
	v_cvt_f64_f32_e32 v[2:3], v2
	v_mov_b32_e32 v5, v4
	global_store_b128 v[0:1], v[2:5], off
.LBB48_1568:
	s_and_not1_b32 vcc_lo, exec_lo, s4
	s_cbranch_vccnz .LBB48_1570
; %bb.1569:
	s_wait_loadcnt 0x0
	v_dual_mov_b32 v3, 0 :: v_dual_lshlrev_b32 v2, 16, v8
	global_store_b64 v[0:1], v[2:3], off
.LBB48_1570:
	s_mov_b32 s4, 0
.LBB48_1571:
	s_delay_alu instid0(SALU_CYCLE_1)
	s_and_not1_b32 vcc_lo, exec_lo, s4
	s_cbranch_vccnz .LBB48_1573
; %bb.1572:
	s_wait_loadcnt 0x0
	v_lshlrev_b32_e32 v2, 16, v8
	s_delay_alu instid0(VALU_DEP_1) | instskip(NEXT) | instid1(VALU_DEP_1)
	v_cvt_f16_f32_e32 v2, v2
	v_and_b32_e32 v2, 0xffff, v2
	global_store_b32 v[0:1], v2, off
.LBB48_1573:
	s_mov_b32 s4, 0
.LBB48_1574:
	s_delay_alu instid0(SALU_CYCLE_1)
	s_and_not1_b32 vcc_lo, exec_lo, s4
	s_cbranch_vccnz .LBB48_1583
; %bb.1575:
	s_sext_i32_i16 s5, s6
	s_mov_b32 s4, -1
	s_cmp_lt_i32 s5, 6
	s_cbranch_scc1 .LBB48_1581
; %bb.1576:
	s_cmp_gt_i32 s5, 6
	s_cbranch_scc0 .LBB48_1578
; %bb.1577:
	s_wait_loadcnt 0x0
	v_lshlrev_b32_e32 v2, 16, v8
	s_mov_b32 s4, 0
	s_delay_alu instid0(VALU_DEP_1)
	v_cvt_f64_f32_e32 v[2:3], v2
	global_store_b64 v[0:1], v[2:3], off
.LBB48_1578:
	s_and_not1_b32 vcc_lo, exec_lo, s4
	s_cbranch_vccnz .LBB48_1580
; %bb.1579:
	s_wait_loadcnt 0x0
	v_lshlrev_b32_e32 v2, 16, v8
	global_store_b32 v[0:1], v2, off
.LBB48_1580:
	s_mov_b32 s4, 0
.LBB48_1581:
	s_delay_alu instid0(SALU_CYCLE_1)
	s_and_not1_b32 vcc_lo, exec_lo, s4
	s_cbranch_vccnz .LBB48_1583
; %bb.1582:
	s_wait_loadcnt 0x0
	v_lshlrev_b32_e32 v2, 16, v8
	s_delay_alu instid0(VALU_DEP_1)
	v_cvt_f16_f32_e32 v2, v2
	global_store_b16 v[0:1], v2, off
.LBB48_1583:
	s_mov_b32 s4, 0
.LBB48_1584:
	s_delay_alu instid0(SALU_CYCLE_1)
	s_and_not1_b32 vcc_lo, exec_lo, s4
	s_cbranch_vccnz .LBB48_1600
; %bb.1585:
	s_sext_i32_i16 s5, s6
	s_mov_b32 s4, -1
	s_cmp_lt_i32 s5, 2
	s_cbranch_scc1 .LBB48_1595
; %bb.1586:
	s_cmp_lt_i32 s5, 3
	s_cbranch_scc1 .LBB48_1592
; %bb.1587:
	s_cmp_gt_i32 s5, 3
	s_cbranch_scc0 .LBB48_1589
; %bb.1588:
	s_wait_loadcnt 0x0
	v_lshlrev_b32_e32 v2, 16, v8
	s_mov_b32 s4, 0
	s_delay_alu instid0(VALU_DEP_1) | instskip(NEXT) | instid1(VALU_DEP_1)
	v_trunc_f32_e32 v2, v2
	v_mul_f32_e64 v3, 0x2f800000, |v2|
	s_delay_alu instid0(VALU_DEP_1) | instskip(NEXT) | instid1(VALU_DEP_1)
	v_floor_f32_e32 v3, v3
	v_fma_f32 v4, 0xcf800000, v3, |v2|
	v_ashrrev_i32_e32 v2, 31, v2
	v_cvt_u32_f32_e32 v5, v3
	s_delay_alu instid0(VALU_DEP_3) | instskip(NEXT) | instid1(VALU_DEP_2)
	v_cvt_u32_f32_e32 v4, v4
	v_dual_mov_b32 v3, v2 :: v_dual_bitop2_b32 v5, v5, v2 bitop3:0x14
	s_delay_alu instid0(VALU_DEP_2) | instskip(NEXT) | instid1(VALU_DEP_1)
	v_xor_b32_e32 v4, v4, v2
	v_sub_nc_u64_e32 v[2:3], v[4:5], v[2:3]
	global_store_b64 v[0:1], v[2:3], off
.LBB48_1589:
	s_and_not1_b32 vcc_lo, exec_lo, s4
	s_cbranch_vccnz .LBB48_1591
; %bb.1590:
	s_wait_loadcnt 0x0
	v_lshlrev_b32_e32 v2, 16, v8
	s_delay_alu instid0(VALU_DEP_1)
	v_cvt_i32_f32_e32 v2, v2
	global_store_b32 v[0:1], v2, off
.LBB48_1591:
	s_mov_b32 s4, 0
.LBB48_1592:
	s_delay_alu instid0(SALU_CYCLE_1)
	s_and_not1_b32 vcc_lo, exec_lo, s4
	s_cbranch_vccnz .LBB48_1594
; %bb.1593:
	s_wait_loadcnt 0x0
	v_lshlrev_b32_e32 v2, 16, v8
	s_delay_alu instid0(VALU_DEP_1)
	v_cvt_i32_f32_e32 v2, v2
	global_store_b16 v[0:1], v2, off
.LBB48_1594:
	s_mov_b32 s4, 0
.LBB48_1595:
	s_delay_alu instid0(SALU_CYCLE_1)
	s_and_not1_b32 vcc_lo, exec_lo, s4
	s_cbranch_vccnz .LBB48_1600
; %bb.1596:
	s_wait_loadcnt 0x0
	v_lshlrev_b32_e32 v2, 16, v8
	s_sext_i32_i16 s4, s6
	s_delay_alu instid0(SALU_CYCLE_1)
	s_cmp_gt_i32 s4, 0
	s_mov_b32 s4, -1
	s_cbranch_scc0 .LBB48_1598
; %bb.1597:
	v_cvt_i32_f32_e32 v3, v2
	s_mov_b32 s4, 0
	global_store_b8 v[0:1], v3, off
.LBB48_1598:
	s_and_not1_b32 vcc_lo, exec_lo, s4
	s_cbranch_vccnz .LBB48_1600
; %bb.1599:
	v_trunc_f32_e32 v2, v2
	s_wait_xcnt 0x0
	s_delay_alu instid0(VALU_DEP_1) | instskip(NEXT) | instid1(VALU_DEP_1)
	v_mul_f32_e64 v3, 0x2f800000, |v2|
	v_floor_f32_e32 v3, v3
	s_delay_alu instid0(VALU_DEP_1) | instskip(SKIP_1) | instid1(VALU_DEP_2)
	v_fma_f32 v3, 0xcf800000, v3, |v2|
	v_ashrrev_i32_e32 v2, 31, v2
	v_cvt_u32_f32_e32 v3, v3
	s_delay_alu instid0(VALU_DEP_1) | instskip(NEXT) | instid1(VALU_DEP_1)
	v_xor_b32_e32 v3, v3, v2
	v_sub_nc_u32_e32 v2, v3, v2
	global_store_b8 v[0:1], v2, off
.LBB48_1600:
	s_wait_xcnt 0x0
	s_or_b32 exec_lo, exec_lo, s0
	s_delay_alu instid0(SALU_CYCLE_1)
	s_and_b32 s8, s1, exec_lo
                                        ; implicit-def: $vgpr1
                                        ; implicit-def: $vgpr0
.LBB48_1601:
	s_or_saveexec_b32 s9, s30
	s_mov_b32 s0, 0
                                        ; implicit-def: $vgpr2_vgpr3
                                        ; implicit-def: $sgpr1
                                        ; implicit-def: $vgpr12
	s_xor_b32 exec_lo, exec_lo, s9
	s_cbranch_execz .LBB48_2776
; %bb.1602:
	s_wait_loadcnt 0x0
	v_cndmask_b32_e64 v3, 0, 1, s29
	s_and_not1_b32 vcc_lo, exec_lo, s29
	s_cbranch_vccnz .LBB48_1608
; %bb.1603:
	s_cmp_lg_u32 s26, 0
	s_mov_b32 s4, 0
	s_cbranch_scc0 .LBB48_1612
; %bb.1604:
	s_min_u32 s5, s27, 15
	v_dual_mov_b32 v6, 0 :: v_dual_mov_b32 v2, v0
	v_dual_mov_b32 v22, 0 :: v_dual_mov_b32 v20, 0
	s_add_co_i32 s6, s5, 1
	s_mov_b64 s[0:1], 0xffffffffffffffe8
	s_and_b32 s6, s6, 30
	s_add_nc_u64 s[0:1], s[2:3], s[0:1]
.LBB48_1605:                            ; =>This Inner Loop Header: Depth=1
	s_clause 0x1
	s_load_b128 s[12:15], s[0:1], 0x1c
	s_load_b64 s[10:11], s[0:1], 0x2c
	s_add_co_i32 s6, s6, -2
	s_delay_alu instid0(SALU_CYCLE_1) | instskip(SKIP_2) | instid1(VALU_DEP_1)
	s_cmp_lg_u32 s6, 0
	s_wait_kmcnt 0x0
	v_mul_hi_u32 v4, s13, v2
	v_add_nc_u32_e32 v4, v2, v4
	s_delay_alu instid0(VALU_DEP_1) | instskip(NEXT) | instid1(VALU_DEP_1)
	v_lshrrev_b32_e32 v4, s14, v4
	v_mul_hi_u32 v5, s10, v4
	v_mul_lo_u32 v7, v4, s12
	s_clause 0x1
	s_load_b128 s[16:19], s[0:1], 0xdc
	s_load_b64 s[12:13], s[0:1], 0xec
	s_wait_xcnt 0x0
	s_add_nc_u64 s[0:1], s[0:1], 24
	s_delay_alu instid0(VALU_DEP_1) | instskip(NEXT) | instid1(VALU_DEP_1)
	v_dual_add_nc_u32 v5, v4, v5 :: v_dual_sub_nc_u32 v7, v2, v7
	v_lshrrev_b32_e32 v2, s11, v5
	s_wait_kmcnt 0x0
	s_delay_alu instid0(VALU_DEP_2) | instskip(NEXT) | instid1(VALU_DEP_2)
	v_mad_u32 v6, v7, s16, v6
	v_mul_lo_u32 v5, v2, s15
	v_mad_u32 v8, v7, s18, v20
	v_mad_u32 v7, v7, s17, v22
	s_delay_alu instid0(VALU_DEP_3) | instskip(NEXT) | instid1(VALU_DEP_1)
	v_sub_nc_u32_e32 v4, v4, v5
	v_mad_u32 v6, v4, s19, v6
	s_delay_alu instid0(VALU_DEP_4) | instskip(NEXT) | instid1(VALU_DEP_4)
	v_mad_u32 v20, v4, s13, v8
	v_mad_u32 v22, v4, s12, v7
	s_cbranch_scc1 .LBB48_1605
; %bb.1606:
	s_bitcmp1_b32 s5, 0
	s_cselect_b32 s5, -1, 0
	s_delay_alu instid0(SALU_CYCLE_1)
	s_and_b32 vcc_lo, exec_lo, s5
	s_cbranch_vccnz .LBB48_1609
; %bb.1607:
	s_clause 0x1
	s_load_b96 s[12:14], s[0:1], 0x1c
	s_load_b96 s[16:18], s[0:1], 0xdc
	s_wait_kmcnt 0x0
	v_mul_hi_u32 v4, s13, v2
	s_delay_alu instid0(VALU_DEP_1) | instskip(NEXT) | instid1(VALU_DEP_1)
	v_add_nc_u32_e32 v4, v2, v4
	v_lshrrev_b32_e32 v4, s14, v4
	s_delay_alu instid0(VALU_DEP_1) | instskip(NEXT) | instid1(VALU_DEP_1)
	v_mul_lo_u32 v4, v4, s12
	v_sub_nc_u32_e32 v2, v2, v4
	s_delay_alu instid0(VALU_DEP_1)
	v_mad_u32 v6, v2, s16, v6
	v_mad_u32 v22, v2, s17, v22
	;; [unrolled: 1-line block ×3, first 2 shown]
	s_and_not1_b32 vcc_lo, exec_lo, s4
	s_cbranch_vccz .LBB48_1610
	s_branch .LBB48_1613
.LBB48_1608:
	s_mov_b32 s4, -1
                                        ; implicit-def: $vgpr20
                                        ; implicit-def: $vgpr22
                                        ; implicit-def: $vgpr6
.LBB48_1609:
	s_delay_alu instid0(SALU_CYCLE_1)
	s_and_not1_b32 vcc_lo, exec_lo, s4
	s_cbranch_vccnz .LBB48_1613
.LBB48_1610:
	s_clause 0x1
	s_load_b96 s[4:6], s[2:3], 0x4
	s_load_b96 s[12:14], s[2:3], 0xc4
	s_cmp_lt_u32 s26, 2
	s_wait_kmcnt 0x0
	v_mul_hi_u32 v2, s5, v0
	s_delay_alu instid0(VALU_DEP_1) | instskip(NEXT) | instid1(VALU_DEP_1)
	v_add_nc_u32_e32 v2, v0, v2
	v_lshrrev_b32_e32 v2, s6, v2
	s_delay_alu instid0(VALU_DEP_1) | instskip(NEXT) | instid1(VALU_DEP_1)
	v_mul_lo_u32 v4, v2, s4
	v_sub_nc_u32_e32 v4, v0, v4
	s_delay_alu instid0(VALU_DEP_1)
	v_mul_lo_u32 v6, v4, s12
	v_mul_lo_u32 v20, v4, s14
	;; [unrolled: 1-line block ×3, first 2 shown]
	s_cbranch_scc1 .LBB48_1613
; %bb.1611:
	s_clause 0x1
	s_load_b96 s[4:6], s[2:3], 0x10
	s_load_b96 s[12:14], s[2:3], 0xd0
	s_wait_kmcnt 0x0
	v_mul_hi_u32 v4, s5, v2
	s_delay_alu instid0(VALU_DEP_1) | instskip(NEXT) | instid1(VALU_DEP_1)
	v_add_nc_u32_e32 v4, v2, v4
	v_lshrrev_b32_e32 v4, s6, v4
	s_delay_alu instid0(VALU_DEP_1) | instskip(NEXT) | instid1(VALU_DEP_1)
	v_mul_lo_u32 v4, v4, s4
	v_sub_nc_u32_e32 v2, v2, v4
	s_delay_alu instid0(VALU_DEP_1)
	v_mad_u32 v6, v2, s12, v6
	v_mad_u32 v22, v2, s13, v22
	;; [unrolled: 1-line block ×3, first 2 shown]
	s_branch .LBB48_1613
.LBB48_1612:
	v_dual_mov_b32 v20, 0 :: v_dual_mov_b32 v22, 0
	v_mov_b32_e32 v6, 0
	s_and_not1_b32 vcc_lo, exec_lo, s4
	s_cbranch_vccz .LBB48_1610
.LBB48_1613:
	v_cmp_ne_u32_e32 vcc_lo, 1, v3
	v_add_nc_u32_e32 v2, 0x80, v0
	s_cbranch_vccnz .LBB48_1619
; %bb.1614:
	s_cmp_lg_u32 s26, 0
	s_mov_b32 s4, 0
	s_cbranch_scc0 .LBB48_1623
; %bb.1615:
	s_min_u32 s5, s27, 15
	v_dual_mov_b32 v4, 0 :: v_dual_mov_b32 v5, v2
	v_dual_mov_b32 v18, 0 :: v_dual_mov_b32 v16, 0
	s_add_co_i32 s6, s5, 1
	s_mov_b64 s[0:1], 0xffffffffffffffe8
	s_and_b32 s6, s6, 30
	s_add_nc_u64 s[0:1], s[2:3], s[0:1]
.LBB48_1616:                            ; =>This Inner Loop Header: Depth=1
	s_clause 0x1
	s_load_b128 s[12:15], s[0:1], 0x1c
	s_load_b64 s[10:11], s[0:1], 0x2c
	s_add_co_i32 s6, s6, -2
	s_delay_alu instid0(SALU_CYCLE_1) | instskip(SKIP_2) | instid1(VALU_DEP_1)
	s_cmp_lg_u32 s6, 0
	s_wait_kmcnt 0x0
	v_mul_hi_u32 v7, s13, v5
	v_add_nc_u32_e32 v7, v5, v7
	s_delay_alu instid0(VALU_DEP_1) | instskip(NEXT) | instid1(VALU_DEP_1)
	v_lshrrev_b32_e32 v7, s14, v7
	v_mul_hi_u32 v8, s10, v7
	v_mul_lo_u32 v9, v7, s12
	s_clause 0x1
	s_load_b128 s[16:19], s[0:1], 0xdc
	s_load_b64 s[12:13], s[0:1], 0xec
	s_wait_xcnt 0x0
	s_add_nc_u64 s[0:1], s[0:1], 24
	s_delay_alu instid0(VALU_DEP_1) | instskip(NEXT) | instid1(VALU_DEP_1)
	v_dual_add_nc_u32 v8, v7, v8 :: v_dual_sub_nc_u32 v9, v5, v9
	v_lshrrev_b32_e32 v5, s11, v8
	s_wait_kmcnt 0x0
	s_delay_alu instid0(VALU_DEP_2) | instskip(NEXT) | instid1(VALU_DEP_2)
	v_mad_u32 v4, v9, s16, v4
	v_mul_lo_u32 v8, v5, s15
	v_mad_u32 v10, v9, s18, v16
	v_mad_u32 v9, v9, s17, v18
	s_delay_alu instid0(VALU_DEP_3) | instskip(NEXT) | instid1(VALU_DEP_1)
	v_sub_nc_u32_e32 v7, v7, v8
	v_mad_u32 v4, v7, s19, v4
	s_delay_alu instid0(VALU_DEP_4) | instskip(NEXT) | instid1(VALU_DEP_4)
	v_mad_u32 v16, v7, s13, v10
	v_mad_u32 v18, v7, s12, v9
	s_cbranch_scc1 .LBB48_1616
; %bb.1617:
	s_bitcmp1_b32 s5, 0
	s_cselect_b32 s5, -1, 0
	s_delay_alu instid0(SALU_CYCLE_1)
	s_and_b32 vcc_lo, exec_lo, s5
	s_cbranch_vccnz .LBB48_1620
; %bb.1618:
	s_clause 0x1
	s_load_b96 s[12:14], s[0:1], 0x1c
	s_load_b96 s[16:18], s[0:1], 0xdc
	s_wait_kmcnt 0x0
	v_mul_hi_u32 v7, s13, v5
	s_delay_alu instid0(VALU_DEP_1) | instskip(NEXT) | instid1(VALU_DEP_1)
	v_add_nc_u32_e32 v7, v5, v7
	v_lshrrev_b32_e32 v7, s14, v7
	s_delay_alu instid0(VALU_DEP_1) | instskip(NEXT) | instid1(VALU_DEP_1)
	v_mul_lo_u32 v7, v7, s12
	v_sub_nc_u32_e32 v5, v5, v7
	s_delay_alu instid0(VALU_DEP_1)
	v_mad_u32 v4, v5, s16, v4
	v_mad_u32 v18, v5, s17, v18
	v_mad_u32 v16, v5, s18, v16
	s_and_not1_b32 vcc_lo, exec_lo, s4
	s_cbranch_vccz .LBB48_1621
	s_branch .LBB48_1624
.LBB48_1619:
	s_mov_b32 s4, -1
                                        ; implicit-def: $vgpr16
                                        ; implicit-def: $vgpr18
                                        ; implicit-def: $vgpr4
.LBB48_1620:
	s_delay_alu instid0(SALU_CYCLE_1)
	s_and_not1_b32 vcc_lo, exec_lo, s4
	s_cbranch_vccnz .LBB48_1624
.LBB48_1621:
	s_clause 0x1
	s_load_b96 s[4:6], s[2:3], 0x4
	s_load_b96 s[12:14], s[2:3], 0xc4
	s_cmp_lt_u32 s26, 2
	s_wait_kmcnt 0x0
	v_mul_hi_u32 v4, s5, v2
	s_delay_alu instid0(VALU_DEP_1) | instskip(NEXT) | instid1(VALU_DEP_1)
	v_add_nc_u32_e32 v4, v2, v4
	v_lshrrev_b32_e32 v5, s6, v4
	s_delay_alu instid0(VALU_DEP_1) | instskip(NEXT) | instid1(VALU_DEP_1)
	v_mul_lo_u32 v4, v5, s4
	v_sub_nc_u32_e32 v2, v2, v4
	s_delay_alu instid0(VALU_DEP_1)
	v_mul_lo_u32 v4, v2, s12
	v_mul_lo_u32 v16, v2, s14
	;; [unrolled: 1-line block ×3, first 2 shown]
	s_cbranch_scc1 .LBB48_1624
; %bb.1622:
	s_clause 0x1
	s_load_b96 s[4:6], s[2:3], 0x10
	s_load_b96 s[12:14], s[2:3], 0xd0
	s_wait_kmcnt 0x0
	v_mul_hi_u32 v2, s5, v5
	s_delay_alu instid0(VALU_DEP_1) | instskip(NEXT) | instid1(VALU_DEP_1)
	v_add_nc_u32_e32 v2, v5, v2
	v_lshrrev_b32_e32 v2, s6, v2
	s_delay_alu instid0(VALU_DEP_1) | instskip(NEXT) | instid1(VALU_DEP_1)
	v_mul_lo_u32 v2, v2, s4
	v_sub_nc_u32_e32 v2, v5, v2
	s_delay_alu instid0(VALU_DEP_1)
	v_mad_u32 v4, v2, s12, v4
	v_mad_u32 v18, v2, s13, v18
	;; [unrolled: 1-line block ×3, first 2 shown]
	s_branch .LBB48_1624
.LBB48_1623:
	v_dual_mov_b32 v16, 0 :: v_dual_mov_b32 v18, 0
	v_mov_b32_e32 v4, 0
	s_and_not1_b32 vcc_lo, exec_lo, s4
	s_cbranch_vccz .LBB48_1621
.LBB48_1624:
	v_cmp_ne_u32_e32 vcc_lo, 1, v3
	v_add_nc_u32_e32 v0, 0x100, v0
	s_cbranch_vccnz .LBB48_1630
; %bb.1625:
	s_cmp_lg_u32 s26, 0
	s_mov_b32 s4, 0
	s_cbranch_scc0 .LBB48_1634
; %bb.1626:
	s_min_u32 s5, s27, 15
	v_dual_mov_b32 v2, 0 :: v_dual_mov_b32 v5, v0
	v_dual_mov_b32 v14, 0 :: v_dual_mov_b32 v12, 0
	s_add_co_i32 s6, s5, 1
	s_mov_b64 s[0:1], 0xffffffffffffffe8
	s_and_b32 s6, s6, 30
	s_add_nc_u64 s[0:1], s[2:3], s[0:1]
.LBB48_1627:                            ; =>This Inner Loop Header: Depth=1
	s_clause 0x1
	s_load_b128 s[12:15], s[0:1], 0x1c
	s_load_b64 s[10:11], s[0:1], 0x2c
	s_add_co_i32 s6, s6, -2
	s_delay_alu instid0(SALU_CYCLE_1) | instskip(SKIP_2) | instid1(VALU_DEP_1)
	s_cmp_lg_u32 s6, 0
	s_wait_kmcnt 0x0
	v_mul_hi_u32 v7, s13, v5
	v_add_nc_u32_e32 v7, v5, v7
	s_delay_alu instid0(VALU_DEP_1) | instskip(NEXT) | instid1(VALU_DEP_1)
	v_lshrrev_b32_e32 v7, s14, v7
	v_mul_hi_u32 v8, s10, v7
	v_mul_lo_u32 v9, v7, s12
	s_clause 0x1
	s_load_b128 s[16:19], s[0:1], 0xdc
	s_load_b64 s[12:13], s[0:1], 0xec
	s_wait_xcnt 0x0
	s_add_nc_u64 s[0:1], s[0:1], 24
	s_delay_alu instid0(VALU_DEP_1) | instskip(NEXT) | instid1(VALU_DEP_1)
	v_dual_add_nc_u32 v8, v7, v8 :: v_dual_sub_nc_u32 v9, v5, v9
	v_lshrrev_b32_e32 v5, s11, v8
	s_wait_kmcnt 0x0
	s_delay_alu instid0(VALU_DEP_2) | instskip(NEXT) | instid1(VALU_DEP_2)
	v_mad_u32 v2, v9, s16, v2
	v_mul_lo_u32 v8, v5, s15
	v_mad_u32 v10, v9, s18, v12
	v_mad_u32 v9, v9, s17, v14
	s_delay_alu instid0(VALU_DEP_3) | instskip(NEXT) | instid1(VALU_DEP_1)
	v_sub_nc_u32_e32 v7, v7, v8
	v_mad_u32 v2, v7, s19, v2
	s_delay_alu instid0(VALU_DEP_4) | instskip(NEXT) | instid1(VALU_DEP_4)
	v_mad_u32 v12, v7, s13, v10
	v_mad_u32 v14, v7, s12, v9
	s_cbranch_scc1 .LBB48_1627
; %bb.1628:
	s_bitcmp1_b32 s5, 0
	s_cselect_b32 s5, -1, 0
	s_delay_alu instid0(SALU_CYCLE_1)
	s_and_b32 vcc_lo, exec_lo, s5
	s_cbranch_vccnz .LBB48_1631
; %bb.1629:
	s_clause 0x1
	s_load_b96 s[12:14], s[0:1], 0x1c
	s_load_b96 s[16:18], s[0:1], 0xdc
	s_wait_kmcnt 0x0
	v_mul_hi_u32 v7, s13, v5
	s_delay_alu instid0(VALU_DEP_1) | instskip(NEXT) | instid1(VALU_DEP_1)
	v_add_nc_u32_e32 v7, v5, v7
	v_lshrrev_b32_e32 v7, s14, v7
	s_delay_alu instid0(VALU_DEP_1) | instskip(NEXT) | instid1(VALU_DEP_1)
	v_mul_lo_u32 v7, v7, s12
	v_sub_nc_u32_e32 v5, v5, v7
	s_delay_alu instid0(VALU_DEP_1)
	v_mad_u32 v2, v5, s16, v2
	v_mad_u32 v14, v5, s17, v14
	;; [unrolled: 1-line block ×3, first 2 shown]
	s_and_not1_b32 vcc_lo, exec_lo, s4
	s_cbranch_vccz .LBB48_1632
	s_branch .LBB48_1635
.LBB48_1630:
	s_mov_b32 s4, -1
                                        ; implicit-def: $vgpr12
                                        ; implicit-def: $vgpr14
                                        ; implicit-def: $vgpr2
.LBB48_1631:
	s_delay_alu instid0(SALU_CYCLE_1)
	s_and_not1_b32 vcc_lo, exec_lo, s4
	s_cbranch_vccnz .LBB48_1635
.LBB48_1632:
	s_clause 0x1
	s_load_b96 s[4:6], s[2:3], 0x4
	s_load_b96 s[12:14], s[2:3], 0xc4
	s_cmp_lt_u32 s26, 2
	s_wait_kmcnt 0x0
	v_mul_hi_u32 v2, s5, v0
	s_delay_alu instid0(VALU_DEP_1) | instskip(NEXT) | instid1(VALU_DEP_1)
	v_add_nc_u32_e32 v2, v0, v2
	v_lshrrev_b32_e32 v5, s6, v2
	s_delay_alu instid0(VALU_DEP_1) | instskip(NEXT) | instid1(VALU_DEP_1)
	v_mul_lo_u32 v2, v5, s4
	v_sub_nc_u32_e32 v0, v0, v2
	s_delay_alu instid0(VALU_DEP_1)
	v_mul_lo_u32 v2, v0, s12
	v_mul_lo_u32 v12, v0, s14
	;; [unrolled: 1-line block ×3, first 2 shown]
	s_cbranch_scc1 .LBB48_1635
; %bb.1633:
	s_clause 0x1
	s_load_b96 s[4:6], s[2:3], 0x10
	s_load_b96 s[12:14], s[2:3], 0xd0
	s_wait_kmcnt 0x0
	v_mul_hi_u32 v0, s5, v5
	s_delay_alu instid0(VALU_DEP_1) | instskip(NEXT) | instid1(VALU_DEP_1)
	v_add_nc_u32_e32 v0, v5, v0
	v_lshrrev_b32_e32 v0, s6, v0
	s_delay_alu instid0(VALU_DEP_1) | instskip(NEXT) | instid1(VALU_DEP_1)
	v_mul_lo_u32 v0, v0, s4
	v_sub_nc_u32_e32 v0, v5, v0
	s_delay_alu instid0(VALU_DEP_1)
	v_mad_u32 v2, v0, s12, v2
	v_mad_u32 v14, v0, s13, v14
	;; [unrolled: 1-line block ×3, first 2 shown]
	s_branch .LBB48_1635
.LBB48_1634:
	v_dual_mov_b32 v12, 0 :: v_dual_mov_b32 v14, 0
	v_mov_b32_e32 v2, 0
	s_and_not1_b32 vcc_lo, exec_lo, s4
	s_cbranch_vccz .LBB48_1632
.LBB48_1635:
	v_cmp_ne_u32_e32 vcc_lo, 1, v3
	s_cbranch_vccnz .LBB48_1641
; %bb.1636:
	s_cmp_lg_u32 s26, 0
	s_mov_b32 s4, 0
	s_cbranch_scc0 .LBB48_1645
; %bb.1637:
	s_min_u32 s5, s27, 15
	v_dual_mov_b32 v0, 0 :: v_dual_mov_b32 v3, v1
	v_dual_mov_b32 v10, 0 :: v_dual_mov_b32 v8, 0
	s_add_co_i32 s6, s5, 1
	s_mov_b64 s[0:1], 0xffffffffffffffe8
	s_and_b32 s6, s6, 30
	s_add_nc_u64 s[0:1], s[2:3], s[0:1]
.LBB48_1638:                            ; =>This Inner Loop Header: Depth=1
	s_clause 0x1
	s_load_b128 s[12:15], s[0:1], 0x1c
	s_load_b64 s[10:11], s[0:1], 0x2c
	s_add_co_i32 s6, s6, -2
	s_delay_alu instid0(SALU_CYCLE_1) | instskip(SKIP_2) | instid1(VALU_DEP_1)
	s_cmp_lg_u32 s6, 0
	s_wait_kmcnt 0x0
	v_mul_hi_u32 v5, s13, v3
	v_add_nc_u32_e32 v5, v3, v5
	s_delay_alu instid0(VALU_DEP_1) | instskip(NEXT) | instid1(VALU_DEP_1)
	v_lshrrev_b32_e32 v5, s14, v5
	v_mul_hi_u32 v7, s10, v5
	v_mul_lo_u32 v9, v5, s12
	s_clause 0x1
	s_load_b128 s[16:19], s[0:1], 0xdc
	s_load_b64 s[12:13], s[0:1], 0xec
	s_wait_xcnt 0x0
	s_add_nc_u64 s[0:1], s[0:1], 24
	s_delay_alu instid0(VALU_DEP_1) | instskip(NEXT) | instid1(VALU_DEP_1)
	v_dual_add_nc_u32 v7, v5, v7 :: v_dual_sub_nc_u32 v9, v3, v9
	v_lshrrev_b32_e32 v3, s11, v7
	s_wait_kmcnt 0x0
	s_delay_alu instid0(VALU_DEP_2) | instskip(NEXT) | instid1(VALU_DEP_2)
	v_mad_u32 v0, v9, s16, v0
	v_mul_lo_u32 v7, v3, s15
	v_mad_u32 v8, v9, s18, v8
	v_mad_u32 v9, v9, s17, v10
	s_delay_alu instid0(VALU_DEP_3) | instskip(NEXT) | instid1(VALU_DEP_1)
	v_sub_nc_u32_e32 v5, v5, v7
	v_mad_u32 v0, v5, s19, v0
	s_delay_alu instid0(VALU_DEP_4) | instskip(NEXT) | instid1(VALU_DEP_4)
	v_mad_u32 v8, v5, s13, v8
	v_mad_u32 v10, v5, s12, v9
	s_cbranch_scc1 .LBB48_1638
; %bb.1639:
	s_bitcmp1_b32 s5, 0
	s_cselect_b32 s5, -1, 0
	s_delay_alu instid0(SALU_CYCLE_1)
	s_and_b32 vcc_lo, exec_lo, s5
	s_cbranch_vccnz .LBB48_1642
; %bb.1640:
	s_clause 0x1
	s_load_b96 s[12:14], s[0:1], 0x1c
	s_load_b96 s[16:18], s[0:1], 0xdc
	s_wait_kmcnt 0x0
	v_mul_hi_u32 v5, s13, v3
	s_delay_alu instid0(VALU_DEP_1) | instskip(NEXT) | instid1(VALU_DEP_1)
	v_add_nc_u32_e32 v5, v3, v5
	v_lshrrev_b32_e32 v5, s14, v5
	s_delay_alu instid0(VALU_DEP_1) | instskip(NEXT) | instid1(VALU_DEP_1)
	v_mul_lo_u32 v5, v5, s12
	v_sub_nc_u32_e32 v3, v3, v5
	s_delay_alu instid0(VALU_DEP_1)
	v_mad_u32 v0, v3, s16, v0
	v_mad_u32 v10, v3, s17, v10
	;; [unrolled: 1-line block ×3, first 2 shown]
	s_and_not1_b32 vcc_lo, exec_lo, s4
	s_cbranch_vccz .LBB48_1643
	s_branch .LBB48_1646
.LBB48_1641:
	s_mov_b32 s4, -1
                                        ; implicit-def: $vgpr8
                                        ; implicit-def: $vgpr10
                                        ; implicit-def: $vgpr0
.LBB48_1642:
	s_delay_alu instid0(SALU_CYCLE_1)
	s_and_not1_b32 vcc_lo, exec_lo, s4
	s_cbranch_vccnz .LBB48_1646
.LBB48_1643:
	s_clause 0x1
	s_load_b96 s[4:6], s[2:3], 0x4
	s_load_b96 s[12:14], s[2:3], 0xc4
	s_cmp_lt_u32 s26, 2
	s_wait_kmcnt 0x0
	v_mul_hi_u32 v0, s5, v1
	s_delay_alu instid0(VALU_DEP_1) | instskip(NEXT) | instid1(VALU_DEP_1)
	v_add_nc_u32_e32 v0, v1, v0
	v_lshrrev_b32_e32 v3, s6, v0
	s_delay_alu instid0(VALU_DEP_1) | instskip(NEXT) | instid1(VALU_DEP_1)
	v_mul_lo_u32 v0, v3, s4
	v_sub_nc_u32_e32 v1, v1, v0
	s_delay_alu instid0(VALU_DEP_1)
	v_mul_lo_u32 v0, v1, s12
	v_mul_lo_u32 v8, v1, s14
	;; [unrolled: 1-line block ×3, first 2 shown]
	s_cbranch_scc1 .LBB48_1646
; %bb.1644:
	s_clause 0x1
	s_load_b96 s[4:6], s[2:3], 0x10
	s_load_b96 s[12:14], s[2:3], 0xd0
	s_wait_kmcnt 0x0
	v_mul_hi_u32 v1, s5, v3
	s_delay_alu instid0(VALU_DEP_1) | instskip(NEXT) | instid1(VALU_DEP_1)
	v_add_nc_u32_e32 v1, v3, v1
	v_lshrrev_b32_e32 v1, s6, v1
	s_delay_alu instid0(VALU_DEP_1) | instskip(NEXT) | instid1(VALU_DEP_1)
	v_mul_lo_u32 v1, v1, s4
	v_sub_nc_u32_e32 v1, v3, v1
	s_delay_alu instid0(VALU_DEP_1)
	v_mad_u32 v0, v1, s12, v0
	v_mad_u32 v10, v1, s13, v10
	;; [unrolled: 1-line block ×3, first 2 shown]
	s_branch .LBB48_1646
.LBB48_1645:
	v_dual_mov_b32 v8, 0 :: v_dual_mov_b32 v10, 0
	v_mov_b32_e32 v0, 0
	s_and_not1_b32 vcc_lo, exec_lo, s4
	s_cbranch_vccz .LBB48_1643
.LBB48_1646:
	v_mov_b32_e32 v23, 0
	s_load_b128 s[4:7], s[2:3], 0x188
	global_load_u8 v1, v23, s[2:3] offset:418
	s_wait_kmcnt 0x0
	v_add_nc_u64_e32 v[22:23], s[6:7], v[22:23]
	s_wait_loadcnt 0x0
	v_and_b32_e32 v3, 0xffff, v1
	v_readfirstlane_b32 s11, v1
	s_delay_alu instid0(VALU_DEP_2)
	v_cmp_gt_i32_e32 vcc_lo, 11, v3
	s_cbranch_vccnz .LBB48_1653
; %bb.1647:
	s_and_b32 s0, 0xffff, s11
	s_mov_b32 s12, 0
	s_cmp_gt_i32 s0, 25
	s_cbranch_scc0 .LBB48_1655
; %bb.1648:
	s_cmp_gt_i32 s0, 28
	s_cbranch_scc0 .LBB48_1656
; %bb.1649:
	s_cmp_gt_i32 s0, 43
	s_cbranch_scc0 .LBB48_1657
; %bb.1650:
	s_cmp_gt_i32 s0, 45
	s_cbranch_scc0 .LBB48_1658
; %bb.1651:
	s_cmp_eq_u32 s0, 46
	s_mov_b32 s10, 0
	s_cbranch_scc0 .LBB48_1661
; %bb.1652:
	global_load_b32 v1, v[22:23], off
	s_mov_b32 s1, 0
	s_mov_b32 s13, -1
	s_branch .LBB48_1663
.LBB48_1653:
	s_mov_b32 s13, 0
	s_mov_b32 s10, s8
                                        ; implicit-def: $vgpr1
	s_cbranch_execnz .LBB48_1726
.LBB48_1654:
	s_and_not1_b32 vcc_lo, exec_lo, s13
	s_cbranch_vccz .LBB48_1771
	s_branch .LBB48_2774
.LBB48_1655:
	s_mov_b32 s13, 0
	s_mov_b32 s1, 0
                                        ; implicit-def: $vgpr1
	s_cbranch_execnz .LBB48_1691
	s_branch .LBB48_1722
.LBB48_1656:
	s_mov_b32 s10, -1
	s_mov_b32 s13, 0
	s_mov_b32 s1, 0
                                        ; implicit-def: $vgpr1
	s_branch .LBB48_1672
.LBB48_1657:
	s_mov_b32 s13, 0
	s_mov_b32 s1, 0
                                        ; implicit-def: $vgpr1
	s_cbranch_execnz .LBB48_1668
	s_branch .LBB48_1671
.LBB48_1658:
	s_mov_b32 s10, -1
	s_mov_b32 s13, 0
	s_mov_b32 s1, 0
	s_branch .LBB48_1662
.LBB48_1659:
	s_and_not1_saveexec_b32 s9, s9
	s_cbranch_execz .LBB48_1514
.LBB48_1660:
	v_add_f32_e64 v3, 0x46000000, |v4|
	s_and_not1_b32 s8, s8, exec_lo
	s_delay_alu instid0(VALU_DEP_1) | instskip(NEXT) | instid1(VALU_DEP_1)
	v_and_b32_e32 v3, 0xff, v3
	v_cmp_ne_u32_e32 vcc_lo, 0, v3
	s_and_b32 s10, vcc_lo, exec_lo
	s_delay_alu instid0(SALU_CYCLE_1)
	s_or_b32 s8, s8, s10
	s_or_b32 exec_lo, exec_lo, s9
	v_mov_b32_e32 v5, 0
	s_and_saveexec_b32 s9, s8
	s_cbranch_execnz .LBB48_1515
	s_branch .LBB48_1516
.LBB48_1661:
	s_mov_b32 s1, -1
	s_mov_b32 s13, 0
.LBB48_1662:
                                        ; implicit-def: $vgpr1
.LBB48_1663:
	s_and_b32 vcc_lo, exec_lo, s10
	s_cbranch_vccz .LBB48_1666
; %bb.1664:
	s_cmp_eq_u32 s0, 44
	s_cbranch_scc0 .LBB48_1667
; %bb.1665:
	s_wait_loadcnt 0x0
	global_load_u8 v1, v[22:23], off
	s_mov_b32 s1, 0
	s_mov_b32 s13, -1
	s_wait_loadcnt 0x0
	v_lshlrev_b32_e32 v3, 23, v1
	v_cmp_ne_u32_e32 vcc_lo, 0xff, v1
	s_delay_alu instid0(VALU_DEP_2) | instskip(SKIP_1) | instid1(VALU_DEP_2)
	v_cndmask_b32_e32 v3, 0x7f800001, v3, vcc_lo
	v_cmp_ne_u32_e32 vcc_lo, 0, v1
	v_cndmask_b32_e32 v1, 0x400000, v3, vcc_lo
	s_delay_alu instid0(VALU_DEP_1) | instskip(SKIP_1) | instid1(VALU_DEP_2)
	v_add_nc_u32_e32 v3, 0x7fff, v1
	v_cmp_o_f32_e32 vcc_lo, v1, v1
	v_lshrrev_b32_e32 v3, 16, v3
	s_delay_alu instid0(VALU_DEP_1)
	v_cndmask_b32_e32 v1, 0x7fc0, v3, vcc_lo
.LBB48_1666:
	s_branch .LBB48_1671
.LBB48_1667:
	s_mov_b32 s1, -1
                                        ; implicit-def: $vgpr1
	s_branch .LBB48_1671
.LBB48_1668:
	s_cmp_eq_u32 s0, 29
	s_cbranch_scc0 .LBB48_1670
; %bb.1669:
	global_load_b64 v[24:25], v[22:23], off
	s_mov_b32 s1, 0
	s_mov_b32 s13, -1
	s_mov_b32 s10, 0
	s_wait_loadcnt 0x0
	v_clz_i32_u32_e32 v1, v25
	s_delay_alu instid0(VALU_DEP_1) | instskip(NEXT) | instid1(VALU_DEP_1)
	v_min_u32_e32 v1, 32, v1
	v_lshlrev_b64_e32 v[24:25], v1, v[24:25]
	v_sub_nc_u32_e32 v1, 32, v1
	s_delay_alu instid0(VALU_DEP_2) | instskip(NEXT) | instid1(VALU_DEP_1)
	v_min_u32_e32 v3, 1, v24
	v_or_b32_e32 v3, v25, v3
	s_delay_alu instid0(VALU_DEP_1) | instskip(NEXT) | instid1(VALU_DEP_1)
	v_cvt_f32_u32_e32 v3, v3
	v_ldexp_f32 v1, v3, v1
	s_delay_alu instid0(VALU_DEP_1) | instskip(NEXT) | instid1(VALU_DEP_1)
	v_bfe_u32 v3, v1, 16, 1
	v_add3_u32 v1, v1, v3, 0x7fff
	s_delay_alu instid0(VALU_DEP_1)
	v_lshrrev_b32_e32 v1, 16, v1
	s_branch .LBB48_1672
.LBB48_1670:
	s_mov_b32 s1, -1
                                        ; implicit-def: $vgpr1
.LBB48_1671:
	s_mov_b32 s10, 0
.LBB48_1672:
	s_delay_alu instid0(SALU_CYCLE_1)
	s_and_b32 vcc_lo, exec_lo, s10
	s_cbranch_vccz .LBB48_1690
; %bb.1673:
	s_cmp_lt_i32 s0, 27
	s_cbranch_scc1 .LBB48_1676
; %bb.1674:
	s_cmp_gt_i32 s0, 27
	s_cbranch_scc0 .LBB48_1677
; %bb.1675:
	s_wait_loadcnt 0x0
	global_load_b32 v1, v[22:23], off
	s_mov_b32 s10, 0
	s_wait_loadcnt 0x0
	v_cvt_f32_u32_e32 v1, v1
	s_delay_alu instid0(VALU_DEP_1) | instskip(NEXT) | instid1(VALU_DEP_1)
	v_bfe_u32 v3, v1, 16, 1
	v_add3_u32 v1, v1, v3, 0x7fff
	s_delay_alu instid0(VALU_DEP_1)
	v_lshrrev_b32_e32 v1, 16, v1
	s_branch .LBB48_1678
.LBB48_1676:
	s_mov_b32 s10, -1
                                        ; implicit-def: $vgpr1
	s_branch .LBB48_1681
.LBB48_1677:
	s_mov_b32 s10, -1
                                        ; implicit-def: $vgpr1
.LBB48_1678:
	s_delay_alu instid0(SALU_CYCLE_1)
	s_and_not1_b32 vcc_lo, exec_lo, s10
	s_cbranch_vccnz .LBB48_1680
; %bb.1679:
	s_wait_loadcnt 0x0
	global_load_u16 v1, v[22:23], off
	s_wait_loadcnt 0x0
	v_cvt_f32_u32_e32 v1, v1
	s_delay_alu instid0(VALU_DEP_1) | instskip(NEXT) | instid1(VALU_DEP_1)
	v_bfe_u32 v3, v1, 16, 1
	v_add3_u32 v1, v1, v3, 0x7fff
	s_delay_alu instid0(VALU_DEP_1)
	v_lshrrev_b32_e32 v1, 16, v1
.LBB48_1680:
	s_mov_b32 s10, 0
.LBB48_1681:
	s_delay_alu instid0(SALU_CYCLE_1)
	s_and_not1_b32 vcc_lo, exec_lo, s10
	s_cbranch_vccnz .LBB48_1689
; %bb.1682:
	s_wait_loadcnt 0x0
	global_load_u8 v1, v[22:23], off
	s_mov_b32 s10, 0
	s_mov_b32 s13, exec_lo
	s_wait_loadcnt 0x0
	v_cmpx_lt_i16_e32 0x7f, v1
	s_xor_b32 s13, exec_lo, s13
	s_cbranch_execz .LBB48_1702
; %bb.1683:
	s_mov_b32 s10, -1
	s_mov_b32 s14, exec_lo
	v_cmpx_eq_u16_e32 0x80, v1
; %bb.1684:
	s_xor_b32 s10, exec_lo, -1
; %bb.1685:
	s_or_b32 exec_lo, exec_lo, s14
	s_delay_alu instid0(SALU_CYCLE_1)
	s_and_b32 s10, s10, exec_lo
	s_or_saveexec_b32 s13, s13
	v_mov_b32_e32 v3, 0x7f800001
	s_xor_b32 exec_lo, exec_lo, s13
	s_cbranch_execnz .LBB48_1703
.LBB48_1686:
	s_or_b32 exec_lo, exec_lo, s13
	s_and_saveexec_b32 s13, s10
	s_cbranch_execz .LBB48_1688
.LBB48_1687:
	v_and_b32_e32 v3, 0xffff, v1
	s_delay_alu instid0(VALU_DEP_1) | instskip(SKIP_1) | instid1(VALU_DEP_2)
	v_dual_lshlrev_b32 v1, 24, v1 :: v_dual_bitop2_b32 v5, 7, v3 bitop3:0x40
	v_bfe_u32 v11, v3, 3, 4
	v_and_b32_e32 v1, 0x80000000, v1
	s_delay_alu instid0(VALU_DEP_3) | instskip(NEXT) | instid1(VALU_DEP_3)
	v_clz_i32_u32_e32 v7, v5
	v_cmp_eq_u32_e32 vcc_lo, 0, v11
	s_delay_alu instid0(VALU_DEP_2) | instskip(NEXT) | instid1(VALU_DEP_1)
	v_min_u32_e32 v7, 32, v7
	v_subrev_nc_u32_e32 v9, 28, v7
	v_sub_nc_u32_e32 v7, 29, v7
	s_delay_alu instid0(VALU_DEP_2) | instskip(NEXT) | instid1(VALU_DEP_2)
	v_lshlrev_b32_e32 v3, v9, v3
	v_cndmask_b32_e32 v7, v11, v7, vcc_lo
	s_delay_alu instid0(VALU_DEP_2) | instskip(NEXT) | instid1(VALU_DEP_1)
	v_and_b32_e32 v3, 7, v3
	v_cndmask_b32_e32 v3, v5, v3, vcc_lo
	s_delay_alu instid0(VALU_DEP_3) | instskip(NEXT) | instid1(VALU_DEP_2)
	v_lshl_add_u32 v5, v7, 23, 0x3b800000
	v_lshlrev_b32_e32 v3, 20, v3
	s_delay_alu instid0(VALU_DEP_1)
	v_or3_b32 v3, v1, v5, v3
.LBB48_1688:
	s_or_b32 exec_lo, exec_lo, s13
	s_delay_alu instid0(VALU_DEP_1) | instskip(SKIP_1) | instid1(VALU_DEP_2)
	v_bfe_u32 v1, v3, 16, 1
	v_cmp_o_f32_e32 vcc_lo, v3, v3
	v_add3_u32 v1, v3, v1, 0x7fff
	s_delay_alu instid0(VALU_DEP_1) | instskip(NEXT) | instid1(VALU_DEP_1)
	v_lshrrev_b32_e32 v1, 16, v1
	v_cndmask_b32_e32 v1, 0x7fc0, v1, vcc_lo
.LBB48_1689:
	s_mov_b32 s13, -1
.LBB48_1690:
	s_branch .LBB48_1722
.LBB48_1691:
	s_cmp_gt_i32 s0, 22
	s_cbranch_scc0 .LBB48_1701
; %bb.1692:
	s_cmp_lt_i32 s0, 24
	s_cbranch_scc1 .LBB48_1704
; %bb.1693:
	s_cmp_gt_i32 s0, 24
	s_cbranch_scc0 .LBB48_1705
; %bb.1694:
	s_wait_loadcnt 0x0
	global_load_u8 v1, v[22:23], off
	s_mov_b32 s10, 0
	s_mov_b32 s12, exec_lo
	s_wait_loadcnt 0x0
	v_cmpx_lt_i16_e32 0x7f, v1
	s_xor_b32 s12, exec_lo, s12
	s_cbranch_execz .LBB48_1716
; %bb.1695:
	s_mov_b32 s10, -1
	s_mov_b32 s13, exec_lo
	v_cmpx_eq_u16_e32 0x80, v1
; %bb.1696:
	s_xor_b32 s10, exec_lo, -1
; %bb.1697:
	s_or_b32 exec_lo, exec_lo, s13
	s_delay_alu instid0(SALU_CYCLE_1)
	s_and_b32 s10, s10, exec_lo
	s_or_saveexec_b32 s12, s12
	v_mov_b32_e32 v3, 0x7f800001
	s_xor_b32 exec_lo, exec_lo, s12
	s_cbranch_execnz .LBB48_1717
.LBB48_1698:
	s_or_b32 exec_lo, exec_lo, s12
	s_and_saveexec_b32 s12, s10
	s_cbranch_execz .LBB48_1700
.LBB48_1699:
	v_and_b32_e32 v3, 0xffff, v1
	s_delay_alu instid0(VALU_DEP_1) | instskip(SKIP_1) | instid1(VALU_DEP_2)
	v_dual_lshlrev_b32 v1, 24, v1 :: v_dual_bitop2_b32 v5, 3, v3 bitop3:0x40
	v_bfe_u32 v11, v3, 2, 5
	v_and_b32_e32 v1, 0x80000000, v1
	s_delay_alu instid0(VALU_DEP_3) | instskip(NEXT) | instid1(VALU_DEP_3)
	v_clz_i32_u32_e32 v7, v5
	v_cmp_eq_u32_e32 vcc_lo, 0, v11
	s_delay_alu instid0(VALU_DEP_2) | instskip(NEXT) | instid1(VALU_DEP_1)
	v_min_u32_e32 v7, 32, v7
	v_subrev_nc_u32_e32 v9, 29, v7
	v_sub_nc_u32_e32 v7, 30, v7
	s_delay_alu instid0(VALU_DEP_2) | instskip(NEXT) | instid1(VALU_DEP_2)
	v_lshlrev_b32_e32 v3, v9, v3
	v_cndmask_b32_e32 v7, v11, v7, vcc_lo
	s_delay_alu instid0(VALU_DEP_2) | instskip(NEXT) | instid1(VALU_DEP_1)
	v_and_b32_e32 v3, 3, v3
	v_cndmask_b32_e32 v3, v5, v3, vcc_lo
	s_delay_alu instid0(VALU_DEP_3) | instskip(NEXT) | instid1(VALU_DEP_2)
	v_lshl_add_u32 v5, v7, 23, 0x37800000
	v_lshlrev_b32_e32 v3, 21, v3
	s_delay_alu instid0(VALU_DEP_1)
	v_or3_b32 v3, v1, v5, v3
.LBB48_1700:
	s_or_b32 exec_lo, exec_lo, s12
	s_delay_alu instid0(VALU_DEP_1) | instskip(SKIP_2) | instid1(VALU_DEP_2)
	v_bfe_u32 v1, v3, 16, 1
	v_cmp_o_f32_e32 vcc_lo, v3, v3
	s_mov_b32 s10, 0
	v_add3_u32 v1, v3, v1, 0x7fff
	s_delay_alu instid0(VALU_DEP_1) | instskip(NEXT) | instid1(VALU_DEP_1)
	v_lshrrev_b32_e32 v1, 16, v1
	v_cndmask_b32_e32 v1, 0x7fc0, v1, vcc_lo
	s_branch .LBB48_1706
.LBB48_1701:
                                        ; implicit-def: $vgpr1
	s_mov_b32 s12, 0
	s_branch .LBB48_1712
.LBB48_1702:
	s_or_saveexec_b32 s13, s13
	v_mov_b32_e32 v3, 0x7f800001
	s_xor_b32 exec_lo, exec_lo, s13
	s_cbranch_execz .LBB48_1686
.LBB48_1703:
	v_cmp_ne_u16_e32 vcc_lo, 0, v1
	v_mov_b32_e32 v3, 0
	s_and_not1_b32 s10, s10, exec_lo
	s_and_b32 s14, vcc_lo, exec_lo
	s_delay_alu instid0(SALU_CYCLE_1)
	s_or_b32 s10, s10, s14
	s_or_b32 exec_lo, exec_lo, s13
	s_and_saveexec_b32 s13, s10
	s_cbranch_execnz .LBB48_1687
	s_branch .LBB48_1688
.LBB48_1704:
	s_mov_b32 s10, -1
                                        ; implicit-def: $vgpr1
	s_branch .LBB48_1709
.LBB48_1705:
	s_mov_b32 s10, -1
                                        ; implicit-def: $vgpr1
.LBB48_1706:
	s_delay_alu instid0(SALU_CYCLE_1)
	s_and_b32 vcc_lo, exec_lo, s10
	s_cbranch_vccz .LBB48_1708
; %bb.1707:
	s_wait_loadcnt 0x0
	global_load_u8 v1, v[22:23], off
	s_wait_loadcnt 0x0
	v_lshlrev_b32_e32 v1, 24, v1
	s_delay_alu instid0(VALU_DEP_1) | instskip(NEXT) | instid1(VALU_DEP_1)
	v_and_b32_e32 v3, 0x7f000000, v1
	v_clz_i32_u32_e32 v5, v3
	v_add_nc_u32_e32 v9, 0x1000000, v3
	v_cmp_ne_u32_e32 vcc_lo, 0, v3
	s_delay_alu instid0(VALU_DEP_3) | instskip(NEXT) | instid1(VALU_DEP_1)
	v_min_u32_e32 v5, 32, v5
	v_sub_nc_u32_e64 v5, v5, 4 clamp
	s_delay_alu instid0(VALU_DEP_1) | instskip(NEXT) | instid1(VALU_DEP_1)
	v_dual_lshlrev_b32 v7, v5, v3 :: v_dual_lshlrev_b32 v5, 23, v5
	v_lshrrev_b32_e32 v7, 4, v7
	s_delay_alu instid0(VALU_DEP_1) | instskip(SKIP_1) | instid1(VALU_DEP_2)
	v_sub_nc_u32_e32 v5, v7, v5
	v_ashrrev_i32_e32 v7, 8, v9
	v_add_nc_u32_e32 v5, 0x3c000000, v5
	s_delay_alu instid0(VALU_DEP_1) | instskip(NEXT) | instid1(VALU_DEP_1)
	v_and_or_b32 v5, 0x7f800000, v7, v5
	v_cndmask_b32_e32 v3, 0, v5, vcc_lo
	s_delay_alu instid0(VALU_DEP_1) | instskip(SKIP_1) | instid1(VALU_DEP_2)
	v_and_or_b32 v1, 0x80000000, v1, v3
	v_bfe_u32 v3, v3, 16, 1
	v_cmp_o_f32_e32 vcc_lo, v1, v1
	s_delay_alu instid0(VALU_DEP_2) | instskip(NEXT) | instid1(VALU_DEP_1)
	v_add3_u32 v3, v1, v3, 0x7fff
	v_lshrrev_b32_e32 v3, 16, v3
	s_delay_alu instid0(VALU_DEP_1)
	v_cndmask_b32_e32 v1, 0x7fc0, v3, vcc_lo
.LBB48_1708:
	s_mov_b32 s10, 0
.LBB48_1709:
	s_delay_alu instid0(SALU_CYCLE_1)
	s_and_not1_b32 vcc_lo, exec_lo, s10
	s_cbranch_vccnz .LBB48_1711
; %bb.1710:
	s_wait_loadcnt 0x0
	global_load_u8 v1, v[22:23], off
	s_wait_loadcnt 0x0
	v_lshlrev_b32_e32 v3, 25, v1
	v_lshlrev_b16 v1, 8, v1
	s_delay_alu instid0(VALU_DEP_1) | instskip(SKIP_1) | instid1(VALU_DEP_2)
	v_and_or_b32 v7, 0x7f00, v1, 0.5
	v_bfe_i32 v1, v1, 0, 16
	v_add_f32_e32 v7, -0.5, v7
	v_lshrrev_b32_e32 v5, 4, v3
	v_cmp_gt_u32_e32 vcc_lo, 0x8000000, v3
	s_delay_alu instid0(VALU_DEP_2) | instskip(NEXT) | instid1(VALU_DEP_1)
	v_or_b32_e32 v5, 0x70000000, v5
	v_mul_f32_e32 v5, 0x7800000, v5
	s_delay_alu instid0(VALU_DEP_1) | instskip(NEXT) | instid1(VALU_DEP_1)
	v_cndmask_b32_e32 v3, v5, v7, vcc_lo
	v_and_or_b32 v1, 0x80000000, v1, v3
	v_bfe_u32 v3, v3, 16, 1
	s_delay_alu instid0(VALU_DEP_2) | instskip(NEXT) | instid1(VALU_DEP_2)
	v_cmp_o_f32_e32 vcc_lo, v1, v1
	v_add3_u32 v3, v1, v3, 0x7fff
	s_delay_alu instid0(VALU_DEP_1) | instskip(NEXT) | instid1(VALU_DEP_1)
	v_lshrrev_b32_e32 v3, 16, v3
	v_cndmask_b32_e32 v1, 0x7fc0, v3, vcc_lo
.LBB48_1711:
	s_mov_b32 s13, -1
	s_mov_b32 s12, 0
	s_cbranch_execnz .LBB48_1722
.LBB48_1712:
	s_cmp_gt_i32 s0, 14
	s_cbranch_scc0 .LBB48_1715
; %bb.1713:
	s_cmp_eq_u32 s0, 15
	s_cbranch_scc0 .LBB48_1718
; %bb.1714:
	s_wait_loadcnt 0x0
	global_load_u16 v1, v[22:23], off
	s_mov_b32 s1, 0
	s_mov_b32 s13, -1
	s_branch .LBB48_1719
.LBB48_1715:
	s_mov_b32 s10, -1
                                        ; implicit-def: $vgpr1
	s_branch .LBB48_1720
.LBB48_1716:
	s_or_saveexec_b32 s12, s12
	v_mov_b32_e32 v3, 0x7f800001
	s_xor_b32 exec_lo, exec_lo, s12
	s_cbranch_execz .LBB48_1698
.LBB48_1717:
	v_cmp_ne_u16_e32 vcc_lo, 0, v1
	v_mov_b32_e32 v3, 0
	s_and_not1_b32 s10, s10, exec_lo
	s_and_b32 s13, vcc_lo, exec_lo
	s_delay_alu instid0(SALU_CYCLE_1)
	s_or_b32 s10, s10, s13
	s_or_b32 exec_lo, exec_lo, s12
	s_and_saveexec_b32 s12, s10
	s_cbranch_execnz .LBB48_1699
	s_branch .LBB48_1700
.LBB48_1718:
	s_mov_b32 s1, -1
                                        ; implicit-def: $vgpr1
.LBB48_1719:
	s_mov_b32 s10, 0
.LBB48_1720:
	s_delay_alu instid0(SALU_CYCLE_1)
	s_and_b32 vcc_lo, exec_lo, s10
	s_cbranch_vccz .LBB48_1722
; %bb.1721:
	s_cmp_lg_u32 s0, 11
	s_mov_b32 s12, -1
	s_cselect_b32 s1, -1, 0
.LBB48_1722:
	s_delay_alu instid0(SALU_CYCLE_1)
	s_and_b32 vcc_lo, exec_lo, s1
	s_mov_b32 s10, s8
	s_cbranch_vccnz .LBB48_1783
; %bb.1723:
	s_and_not1_b32 vcc_lo, exec_lo, s12
	s_cbranch_vccnz .LBB48_1725
.LBB48_1724:
	s_wait_loadcnt 0x0
	global_load_u8 v1, v[22:23], off
	s_mov_b32 s13, -1
	s_wait_loadcnt 0x0
	v_cmp_ne_u16_e32 vcc_lo, 0, v1
	v_cndmask_b32_e64 v1, 0, 1.0, vcc_lo
	s_delay_alu instid0(VALU_DEP_1)
	v_lshrrev_b32_e32 v1, 16, v1
.LBB48_1725:
	s_branch .LBB48_1654
.LBB48_1726:
	s_and_b32 s0, 0xffff, s11
	s_delay_alu instid0(SALU_CYCLE_1)
	s_cmp_lt_i32 s0, 5
	s_cbranch_scc1 .LBB48_1731
; %bb.1727:
	s_cmp_lt_i32 s0, 8
	s_cbranch_scc1 .LBB48_1732
; %bb.1728:
	;; [unrolled: 3-line block ×3, first 2 shown]
	s_cmp_gt_i32 s0, 9
	s_cbranch_scc0 .LBB48_1734
; %bb.1730:
	global_load_b64 v[24:25], v[22:23], off
	s_mov_b32 s1, 0
	s_wait_loadcnt 0x0
	v_cvt_f32_f64_e32 v1, v[24:25]
	s_delay_alu instid0(VALU_DEP_1) | instskip(SKIP_1) | instid1(VALU_DEP_2)
	v_bfe_u32 v3, v1, 16, 1
	v_cmp_o_f32_e32 vcc_lo, v1, v1
	v_add3_u32 v3, v1, v3, 0x7fff
	s_delay_alu instid0(VALU_DEP_1) | instskip(NEXT) | instid1(VALU_DEP_1)
	v_lshrrev_b32_e32 v3, 16, v3
	v_cndmask_b32_e32 v1, 0x7fc0, v3, vcc_lo
	s_branch .LBB48_1735
.LBB48_1731:
                                        ; implicit-def: $vgpr1
	s_branch .LBB48_1752
.LBB48_1732:
                                        ; implicit-def: $vgpr1
	s_branch .LBB48_1741
.LBB48_1733:
	s_mov_b32 s1, -1
                                        ; implicit-def: $vgpr1
	s_branch .LBB48_1738
.LBB48_1734:
	s_mov_b32 s1, -1
                                        ; implicit-def: $vgpr1
.LBB48_1735:
	s_delay_alu instid0(SALU_CYCLE_1)
	s_and_not1_b32 vcc_lo, exec_lo, s1
	s_cbranch_vccnz .LBB48_1737
; %bb.1736:
	s_wait_loadcnt 0x0
	global_load_b32 v1, v[22:23], off
	s_wait_loadcnt 0x0
	v_bfe_u32 v3, v1, 16, 1
	v_cmp_o_f32_e32 vcc_lo, v1, v1
	s_delay_alu instid0(VALU_DEP_2) | instskip(NEXT) | instid1(VALU_DEP_1)
	v_add3_u32 v3, v1, v3, 0x7fff
	v_lshrrev_b32_e32 v3, 16, v3
	s_delay_alu instid0(VALU_DEP_1)
	v_cndmask_b32_e32 v1, 0x7fc0, v3, vcc_lo
.LBB48_1737:
	s_mov_b32 s1, 0
.LBB48_1738:
	s_delay_alu instid0(SALU_CYCLE_1)
	s_and_not1_b32 vcc_lo, exec_lo, s1
	s_cbranch_vccnz .LBB48_1740
; %bb.1739:
	s_wait_loadcnt 0x0
	global_load_b32 v1, v[22:23], off
	s_wait_loadcnt 0x0
	v_cvt_f32_f16_e32 v3, v1
	v_cmp_o_f16_e32 vcc_lo, v1, v1
	s_delay_alu instid0(VALU_DEP_2) | instskip(NEXT) | instid1(VALU_DEP_1)
	v_bfe_u32 v5, v3, 16, 1
	v_add3_u32 v3, v3, v5, 0x7fff
	s_delay_alu instid0(VALU_DEP_1) | instskip(NEXT) | instid1(VALU_DEP_1)
	v_lshrrev_b32_e32 v3, 16, v3
	v_cndmask_b32_e32 v1, 0x7fc0, v3, vcc_lo
.LBB48_1740:
	s_cbranch_execnz .LBB48_1751
.LBB48_1741:
	s_cmp_lt_i32 s0, 6
	s_cbranch_scc1 .LBB48_1744
; %bb.1742:
	s_cmp_gt_i32 s0, 6
	s_cbranch_scc0 .LBB48_1745
; %bb.1743:
	global_load_b64 v[24:25], v[22:23], off
	s_mov_b32 s1, 0
	s_wait_loadcnt 0x0
	v_cvt_f32_f64_e32 v1, v[24:25]
	s_delay_alu instid0(VALU_DEP_1) | instskip(SKIP_1) | instid1(VALU_DEP_2)
	v_bfe_u32 v3, v1, 16, 1
	v_cmp_o_f32_e32 vcc_lo, v1, v1
	v_add3_u32 v3, v1, v3, 0x7fff
	s_delay_alu instid0(VALU_DEP_1) | instskip(NEXT) | instid1(VALU_DEP_1)
	v_lshrrev_b32_e32 v3, 16, v3
	v_cndmask_b32_e32 v1, 0x7fc0, v3, vcc_lo
	s_branch .LBB48_1746
.LBB48_1744:
	s_mov_b32 s1, -1
                                        ; implicit-def: $vgpr1
	s_branch .LBB48_1749
.LBB48_1745:
	s_mov_b32 s1, -1
                                        ; implicit-def: $vgpr1
.LBB48_1746:
	s_delay_alu instid0(SALU_CYCLE_1)
	s_and_not1_b32 vcc_lo, exec_lo, s1
	s_cbranch_vccnz .LBB48_1748
; %bb.1747:
	s_wait_loadcnt 0x0
	global_load_b32 v1, v[22:23], off
	s_wait_loadcnt 0x0
	v_bfe_u32 v3, v1, 16, 1
	v_cmp_o_f32_e32 vcc_lo, v1, v1
	s_delay_alu instid0(VALU_DEP_2) | instskip(NEXT) | instid1(VALU_DEP_1)
	v_add3_u32 v3, v1, v3, 0x7fff
	v_lshrrev_b32_e32 v3, 16, v3
	s_delay_alu instid0(VALU_DEP_1)
	v_cndmask_b32_e32 v1, 0x7fc0, v3, vcc_lo
.LBB48_1748:
	s_mov_b32 s1, 0
.LBB48_1749:
	s_delay_alu instid0(SALU_CYCLE_1)
	s_and_not1_b32 vcc_lo, exec_lo, s1
	s_cbranch_vccnz .LBB48_1751
; %bb.1750:
	s_wait_loadcnt 0x0
	global_load_u16 v1, v[22:23], off
	s_wait_loadcnt 0x0
	v_cvt_f32_f16_e32 v3, v1
	v_cmp_o_f16_e32 vcc_lo, v1, v1
	s_delay_alu instid0(VALU_DEP_2) | instskip(NEXT) | instid1(VALU_DEP_1)
	v_bfe_u32 v5, v3, 16, 1
	v_add3_u32 v3, v3, v5, 0x7fff
	s_delay_alu instid0(VALU_DEP_1) | instskip(NEXT) | instid1(VALU_DEP_1)
	v_lshrrev_b32_e32 v3, 16, v3
	v_cndmask_b32_e32 v1, 0x7fc0, v3, vcc_lo
.LBB48_1751:
	s_cbranch_execnz .LBB48_1770
.LBB48_1752:
	s_cmp_lt_i32 s0, 2
	s_cbranch_scc1 .LBB48_1756
; %bb.1753:
	s_cmp_lt_i32 s0, 3
	s_cbranch_scc1 .LBB48_1757
; %bb.1754:
	s_cmp_gt_i32 s0, 3
	s_cbranch_scc0 .LBB48_1758
; %bb.1755:
	global_load_b64 v[24:25], v[22:23], off
	s_mov_b32 s1, 0
	s_wait_loadcnt 0x0
	v_xor_b32_e32 v1, v24, v25
	v_cls_i32_e32 v3, v25
	s_delay_alu instid0(VALU_DEP_2) | instskip(NEXT) | instid1(VALU_DEP_1)
	v_ashrrev_i32_e32 v1, 31, v1
	v_add_nc_u32_e32 v1, 32, v1
	s_delay_alu instid0(VALU_DEP_1) | instskip(NEXT) | instid1(VALU_DEP_1)
	v_add_min_u32_e64 v1, v3, -1, v1
	v_lshlrev_b64_e32 v[24:25], v1, v[24:25]
	v_sub_nc_u32_e32 v1, 32, v1
	s_delay_alu instid0(VALU_DEP_2) | instskip(NEXT) | instid1(VALU_DEP_1)
	v_min_u32_e32 v3, 1, v24
	v_or_b32_e32 v3, v25, v3
	s_delay_alu instid0(VALU_DEP_1) | instskip(NEXT) | instid1(VALU_DEP_1)
	v_cvt_f32_i32_e32 v3, v3
	v_ldexp_f32 v1, v3, v1
	s_delay_alu instid0(VALU_DEP_1) | instskip(NEXT) | instid1(VALU_DEP_1)
	v_bfe_u32 v3, v1, 16, 1
	v_add3_u32 v1, v1, v3, 0x7fff
	s_delay_alu instid0(VALU_DEP_1)
	v_lshrrev_b32_e32 v1, 16, v1
	s_branch .LBB48_1759
.LBB48_1756:
                                        ; implicit-def: $vgpr1
	s_branch .LBB48_1765
.LBB48_1757:
	s_mov_b32 s1, -1
                                        ; implicit-def: $vgpr1
	s_branch .LBB48_1762
.LBB48_1758:
	s_mov_b32 s1, -1
                                        ; implicit-def: $vgpr1
.LBB48_1759:
	s_delay_alu instid0(SALU_CYCLE_1)
	s_and_not1_b32 vcc_lo, exec_lo, s1
	s_cbranch_vccnz .LBB48_1761
; %bb.1760:
	s_wait_loadcnt 0x0
	global_load_b32 v1, v[22:23], off
	s_wait_loadcnt 0x0
	v_cvt_f32_i32_e32 v1, v1
	s_delay_alu instid0(VALU_DEP_1) | instskip(NEXT) | instid1(VALU_DEP_1)
	v_bfe_u32 v3, v1, 16, 1
	v_add3_u32 v1, v1, v3, 0x7fff
	s_delay_alu instid0(VALU_DEP_1)
	v_lshrrev_b32_e32 v1, 16, v1
.LBB48_1761:
	s_mov_b32 s1, 0
.LBB48_1762:
	s_delay_alu instid0(SALU_CYCLE_1)
	s_and_not1_b32 vcc_lo, exec_lo, s1
	s_cbranch_vccnz .LBB48_1764
; %bb.1763:
	s_wait_loadcnt 0x0
	global_load_i16 v1, v[22:23], off
	s_wait_loadcnt 0x0
	v_cvt_f32_i32_e32 v1, v1
	s_delay_alu instid0(VALU_DEP_1) | instskip(NEXT) | instid1(VALU_DEP_1)
	v_bfe_u32 v3, v1, 16, 1
	v_add3_u32 v1, v1, v3, 0x7fff
	s_delay_alu instid0(VALU_DEP_1)
	v_lshrrev_b32_e32 v1, 16, v1
.LBB48_1764:
	s_cbranch_execnz .LBB48_1770
.LBB48_1765:
	s_cmp_gt_i32 s0, 0
	s_mov_b32 s0, 0
	s_cbranch_scc0 .LBB48_1767
; %bb.1766:
	s_wait_loadcnt 0x0
	global_load_i8 v1, v[22:23], off
	s_wait_loadcnt 0x0
	v_cvt_f32_i32_e32 v1, v1
	s_delay_alu instid0(VALU_DEP_1) | instskip(NEXT) | instid1(VALU_DEP_1)
	v_bfe_u32 v3, v1, 16, 1
	v_add3_u32 v1, v1, v3, 0x7fff
	s_delay_alu instid0(VALU_DEP_1)
	v_lshrrev_b32_e32 v1, 16, v1
	s_branch .LBB48_1768
.LBB48_1767:
	s_mov_b32 s0, -1
                                        ; implicit-def: $vgpr1
.LBB48_1768:
	s_delay_alu instid0(SALU_CYCLE_1)
	s_and_not1_b32 vcc_lo, exec_lo, s0
	s_cbranch_vccnz .LBB48_1770
; %bb.1769:
	s_wait_loadcnt 0x0
	global_load_u8 v1, v[22:23], off
	s_wait_loadcnt 0x0
	v_cvt_f32_ubyte0_e32 v1, v1
	s_delay_alu instid0(VALU_DEP_1) | instskip(NEXT) | instid1(VALU_DEP_1)
	v_bfe_u32 v3, v1, 16, 1
	v_add3_u32 v1, v1, v3, 0x7fff
	s_delay_alu instid0(VALU_DEP_1)
	v_lshrrev_b32_e32 v1, 16, v1
.LBB48_1770:
.LBB48_1771:
	v_mov_b32_e32 v21, 0
	s_load_b64 s[0:1], s[2:3], 0x198
	global_load_u8 v3, v21, s[2:3] offset:419
	s_wait_kmcnt 0x0
	v_add_nc_u64_e32 v[20:21], s[0:1], v[20:21]
	s_wait_loadcnt 0x0
	v_and_b32_e32 v5, 0xffff, v3
	v_readfirstlane_b32 s12, v3
	s_delay_alu instid0(VALU_DEP_2)
	v_cmp_gt_i32_e32 vcc_lo, 11, v5
	s_cbranch_vccnz .LBB48_1778
; %bb.1772:
	s_and_b32 s13, 0xffff, s12
	s_mov_b32 s15, 0
	s_cmp_gt_i32 s13, 25
	s_cbranch_scc0 .LBB48_1780
; %bb.1773:
	s_cmp_gt_i32 s13, 28
	s_cbranch_scc0 .LBB48_1781
; %bb.1774:
	;; [unrolled: 3-line block ×4, first 2 shown]
	s_cmp_eq_u32 s13, 46
	s_mov_b32 s17, 0
	s_cbranch_scc0 .LBB48_1787
; %bb.1777:
	global_load_b32 v3, v[20:21], off
	s_mov_b32 s14, 0
	s_mov_b32 s16, -1
	s_branch .LBB48_1789
.LBB48_1778:
	s_mov_b32 s16, 0
                                        ; implicit-def: $vgpr3
	s_cbranch_execnz .LBB48_1854
.LBB48_1779:
	s_and_not1_b32 vcc_lo, exec_lo, s16
	s_cbranch_vccnz .LBB48_2774
	s_branch .LBB48_1901
.LBB48_1780:
	s_mov_b32 s16, 0
	s_mov_b32 s14, 0
                                        ; implicit-def: $vgpr3
	s_cbranch_execnz .LBB48_1818
	s_branch .LBB48_1850
.LBB48_1781:
	s_mov_b32 s17, -1
	s_mov_b32 s16, 0
	s_mov_b32 s14, 0
                                        ; implicit-def: $vgpr3
	s_branch .LBB48_1799
.LBB48_1782:
	s_mov_b32 s17, -1
	s_mov_b32 s16, 0
	s_mov_b32 s14, 0
                                        ; implicit-def: $vgpr3
	s_branch .LBB48_1794
.LBB48_1783:
	s_or_b32 s10, s8, exec_lo
	s_trap 2
	s_cbranch_execz .LBB48_1724
	s_branch .LBB48_1725
.LBB48_1784:
	s_mov_b32 s17, -1
	s_mov_b32 s16, 0
	s_mov_b32 s14, 0
	s_branch .LBB48_1788
.LBB48_1785:
	s_and_not1_saveexec_b32 s10, s10
	s_cbranch_execz .LBB48_1526
.LBB48_1786:
	v_add_f32_e64 v3, 0x42800000, |v4|
	s_and_not1_b32 s9, s9, exec_lo
	s_delay_alu instid0(VALU_DEP_1) | instskip(NEXT) | instid1(VALU_DEP_1)
	v_and_b32_e32 v3, 0xff, v3
	v_cmp_ne_u32_e32 vcc_lo, 0, v3
	s_and_b32 s11, vcc_lo, exec_lo
	s_delay_alu instid0(SALU_CYCLE_1)
	s_or_b32 s9, s9, s11
	s_or_b32 exec_lo, exec_lo, s10
	v_mov_b32_e32 v5, 0
	s_and_saveexec_b32 s10, s9
	s_cbranch_execnz .LBB48_1527
	s_branch .LBB48_1528
.LBB48_1787:
	s_mov_b32 s14, -1
	s_mov_b32 s16, 0
.LBB48_1788:
                                        ; implicit-def: $vgpr3
.LBB48_1789:
	s_and_b32 vcc_lo, exec_lo, s17
	s_cbranch_vccz .LBB48_1793
; %bb.1790:
	s_cmp_eq_u32 s13, 44
	s_cbranch_scc0 .LBB48_1792
; %bb.1791:
	s_wait_loadcnt 0x0
	global_load_u8 v3, v[20:21], off
	s_mov_b32 s14, 0
	s_mov_b32 s16, -1
	s_wait_loadcnt 0x0
	v_lshlrev_b32_e32 v5, 23, v3
	v_cmp_ne_u32_e32 vcc_lo, 0xff, v3
	s_delay_alu instid0(VALU_DEP_2) | instskip(SKIP_1) | instid1(VALU_DEP_2)
	v_cndmask_b32_e32 v5, 0x7f800001, v5, vcc_lo
	v_cmp_ne_u32_e32 vcc_lo, 0, v3
	v_cndmask_b32_e32 v3, 0x400000, v5, vcc_lo
	s_delay_alu instid0(VALU_DEP_1) | instskip(SKIP_1) | instid1(VALU_DEP_2)
	v_add_nc_u32_e32 v5, 0x7fff, v3
	v_cmp_o_f32_e32 vcc_lo, v3, v3
	v_lshrrev_b32_e32 v5, 16, v5
	s_delay_alu instid0(VALU_DEP_1)
	v_cndmask_b32_e32 v3, 0x7fc0, v5, vcc_lo
	s_branch .LBB48_1793
.LBB48_1792:
	s_mov_b32 s14, -1
                                        ; implicit-def: $vgpr3
.LBB48_1793:
	s_mov_b32 s17, 0
.LBB48_1794:
	s_delay_alu instid0(SALU_CYCLE_1)
	s_and_b32 vcc_lo, exec_lo, s17
	s_cbranch_vccz .LBB48_1798
; %bb.1795:
	s_cmp_eq_u32 s13, 29
	s_cbranch_scc0 .LBB48_1797
; %bb.1796:
	global_load_b64 v[22:23], v[20:21], off
	s_mov_b32 s14, 0
	s_mov_b32 s16, -1
	s_mov_b32 s17, 0
	s_wait_loadcnt 0x0
	v_clz_i32_u32_e32 v3, v23
	s_delay_alu instid0(VALU_DEP_1) | instskip(NEXT) | instid1(VALU_DEP_1)
	v_min_u32_e32 v3, 32, v3
	v_lshlrev_b64_e32 v[22:23], v3, v[22:23]
	v_sub_nc_u32_e32 v3, 32, v3
	s_delay_alu instid0(VALU_DEP_2) | instskip(NEXT) | instid1(VALU_DEP_1)
	v_min_u32_e32 v5, 1, v22
	v_or_b32_e32 v5, v23, v5
	s_delay_alu instid0(VALU_DEP_1) | instskip(NEXT) | instid1(VALU_DEP_1)
	v_cvt_f32_u32_e32 v5, v5
	v_ldexp_f32 v3, v5, v3
	s_delay_alu instid0(VALU_DEP_1) | instskip(NEXT) | instid1(VALU_DEP_1)
	v_bfe_u32 v5, v3, 16, 1
	v_add3_u32 v3, v3, v5, 0x7fff
	s_delay_alu instid0(VALU_DEP_1)
	v_lshrrev_b32_e32 v3, 16, v3
	s_branch .LBB48_1799
.LBB48_1797:
	s_mov_b32 s14, -1
                                        ; implicit-def: $vgpr3
.LBB48_1798:
	s_mov_b32 s17, 0
.LBB48_1799:
	s_delay_alu instid0(SALU_CYCLE_1)
	s_and_b32 vcc_lo, exec_lo, s17
	s_cbranch_vccz .LBB48_1817
; %bb.1800:
	s_cmp_lt_i32 s13, 27
	s_cbranch_scc1 .LBB48_1803
; %bb.1801:
	s_cmp_gt_i32 s13, 27
	s_cbranch_scc0 .LBB48_1804
; %bb.1802:
	s_wait_loadcnt 0x0
	global_load_b32 v3, v[20:21], off
	s_mov_b32 s16, 0
	s_wait_loadcnt 0x0
	v_cvt_f32_u32_e32 v3, v3
	s_delay_alu instid0(VALU_DEP_1) | instskip(NEXT) | instid1(VALU_DEP_1)
	v_bfe_u32 v5, v3, 16, 1
	v_add3_u32 v3, v3, v5, 0x7fff
	s_delay_alu instid0(VALU_DEP_1)
	v_lshrrev_b32_e32 v3, 16, v3
	s_branch .LBB48_1805
.LBB48_1803:
	s_mov_b32 s16, -1
                                        ; implicit-def: $vgpr3
	s_branch .LBB48_1808
.LBB48_1804:
	s_mov_b32 s16, -1
                                        ; implicit-def: $vgpr3
.LBB48_1805:
	s_delay_alu instid0(SALU_CYCLE_1)
	s_and_not1_b32 vcc_lo, exec_lo, s16
	s_cbranch_vccnz .LBB48_1807
; %bb.1806:
	s_wait_loadcnt 0x0
	global_load_u16 v3, v[20:21], off
	s_wait_loadcnt 0x0
	v_cvt_f32_u32_e32 v3, v3
	s_delay_alu instid0(VALU_DEP_1) | instskip(NEXT) | instid1(VALU_DEP_1)
	v_bfe_u32 v5, v3, 16, 1
	v_add3_u32 v3, v3, v5, 0x7fff
	s_delay_alu instid0(VALU_DEP_1)
	v_lshrrev_b32_e32 v3, 16, v3
.LBB48_1807:
	s_mov_b32 s16, 0
.LBB48_1808:
	s_delay_alu instid0(SALU_CYCLE_1)
	s_and_not1_b32 vcc_lo, exec_lo, s16
	s_cbranch_vccnz .LBB48_1816
; %bb.1809:
	s_wait_loadcnt 0x0
	global_load_u8 v3, v[20:21], off
	s_mov_b32 s16, 0
	s_mov_b32 s17, exec_lo
	s_wait_loadcnt 0x0
	v_cmpx_lt_i16_e32 0x7f, v3
	s_xor_b32 s17, exec_lo, s17
	s_cbranch_execz .LBB48_1829
; %bb.1810:
	s_mov_b32 s16, -1
	s_mov_b32 s18, exec_lo
	v_cmpx_eq_u16_e32 0x80, v3
; %bb.1811:
	s_xor_b32 s16, exec_lo, -1
; %bb.1812:
	s_or_b32 exec_lo, exec_lo, s18
	s_delay_alu instid0(SALU_CYCLE_1)
	s_and_b32 s16, s16, exec_lo
	s_or_saveexec_b32 s17, s17
	v_mov_b32_e32 v5, 0x7f800001
	s_xor_b32 exec_lo, exec_lo, s17
	s_cbranch_execnz .LBB48_1830
.LBB48_1813:
	s_or_b32 exec_lo, exec_lo, s17
	s_and_saveexec_b32 s17, s16
	s_cbranch_execz .LBB48_1815
.LBB48_1814:
	v_and_b32_e32 v5, 0xffff, v3
	s_delay_alu instid0(VALU_DEP_1) | instskip(SKIP_1) | instid1(VALU_DEP_2)
	v_dual_lshlrev_b32 v3, 24, v3 :: v_dual_bitop2_b32 v7, 7, v5 bitop3:0x40
	v_bfe_u32 v13, v5, 3, 4
	v_and_b32_e32 v3, 0x80000000, v3
	s_delay_alu instid0(VALU_DEP_3) | instskip(NEXT) | instid1(VALU_DEP_3)
	v_clz_i32_u32_e32 v9, v7
	v_cmp_eq_u32_e32 vcc_lo, 0, v13
	s_delay_alu instid0(VALU_DEP_2) | instskip(NEXT) | instid1(VALU_DEP_1)
	v_min_u32_e32 v9, 32, v9
	v_subrev_nc_u32_e32 v11, 28, v9
	v_sub_nc_u32_e32 v9, 29, v9
	s_delay_alu instid0(VALU_DEP_2) | instskip(NEXT) | instid1(VALU_DEP_2)
	v_lshlrev_b32_e32 v5, v11, v5
	v_cndmask_b32_e32 v9, v13, v9, vcc_lo
	s_delay_alu instid0(VALU_DEP_2) | instskip(NEXT) | instid1(VALU_DEP_1)
	v_and_b32_e32 v5, 7, v5
	v_cndmask_b32_e32 v5, v7, v5, vcc_lo
	s_delay_alu instid0(VALU_DEP_3) | instskip(NEXT) | instid1(VALU_DEP_2)
	v_lshl_add_u32 v7, v9, 23, 0x3b800000
	v_lshlrev_b32_e32 v5, 20, v5
	s_delay_alu instid0(VALU_DEP_1)
	v_or3_b32 v5, v3, v7, v5
.LBB48_1815:
	s_or_b32 exec_lo, exec_lo, s17
	s_delay_alu instid0(VALU_DEP_1) | instskip(SKIP_1) | instid1(VALU_DEP_2)
	v_bfe_u32 v3, v5, 16, 1
	v_cmp_o_f32_e32 vcc_lo, v5, v5
	v_add3_u32 v3, v5, v3, 0x7fff
	s_delay_alu instid0(VALU_DEP_1) | instskip(NEXT) | instid1(VALU_DEP_1)
	v_lshrrev_b32_e32 v3, 16, v3
	v_cndmask_b32_e32 v3, 0x7fc0, v3, vcc_lo
.LBB48_1816:
	s_mov_b32 s16, -1
.LBB48_1817:
	s_branch .LBB48_1850
.LBB48_1818:
	s_cmp_gt_i32 s13, 22
	s_cbranch_scc0 .LBB48_1828
; %bb.1819:
	s_cmp_lt_i32 s13, 24
	s_cbranch_scc1 .LBB48_1831
; %bb.1820:
	s_cmp_gt_i32 s13, 24
	s_cbranch_scc0 .LBB48_1832
; %bb.1821:
	s_wait_loadcnt 0x0
	global_load_u8 v3, v[20:21], off
	s_mov_b32 s16, exec_lo
	s_wait_loadcnt 0x0
	v_cmpx_lt_i16_e32 0x7f, v3
	s_xor_b32 s16, exec_lo, s16
	s_cbranch_execz .LBB48_1844
; %bb.1822:
	s_mov_b32 s15, -1
	s_mov_b32 s17, exec_lo
	v_cmpx_eq_u16_e32 0x80, v3
; %bb.1823:
	s_xor_b32 s15, exec_lo, -1
; %bb.1824:
	s_or_b32 exec_lo, exec_lo, s17
	s_delay_alu instid0(SALU_CYCLE_1)
	s_and_b32 s15, s15, exec_lo
	s_or_saveexec_b32 s16, s16
	v_mov_b32_e32 v5, 0x7f800001
	s_xor_b32 exec_lo, exec_lo, s16
	s_cbranch_execnz .LBB48_1845
.LBB48_1825:
	s_or_b32 exec_lo, exec_lo, s16
	s_and_saveexec_b32 s16, s15
	s_cbranch_execz .LBB48_1827
.LBB48_1826:
	v_and_b32_e32 v5, 0xffff, v3
	s_delay_alu instid0(VALU_DEP_1) | instskip(SKIP_1) | instid1(VALU_DEP_2)
	v_dual_lshlrev_b32 v3, 24, v3 :: v_dual_bitop2_b32 v7, 3, v5 bitop3:0x40
	v_bfe_u32 v13, v5, 2, 5
	v_and_b32_e32 v3, 0x80000000, v3
	s_delay_alu instid0(VALU_DEP_3) | instskip(NEXT) | instid1(VALU_DEP_3)
	v_clz_i32_u32_e32 v9, v7
	v_cmp_eq_u32_e32 vcc_lo, 0, v13
	s_delay_alu instid0(VALU_DEP_2) | instskip(NEXT) | instid1(VALU_DEP_1)
	v_min_u32_e32 v9, 32, v9
	v_subrev_nc_u32_e32 v11, 29, v9
	v_sub_nc_u32_e32 v9, 30, v9
	s_delay_alu instid0(VALU_DEP_2) | instskip(NEXT) | instid1(VALU_DEP_2)
	v_lshlrev_b32_e32 v5, v11, v5
	v_cndmask_b32_e32 v9, v13, v9, vcc_lo
	s_delay_alu instid0(VALU_DEP_2) | instskip(NEXT) | instid1(VALU_DEP_1)
	v_and_b32_e32 v5, 3, v5
	v_cndmask_b32_e32 v5, v7, v5, vcc_lo
	s_delay_alu instid0(VALU_DEP_3) | instskip(NEXT) | instid1(VALU_DEP_2)
	v_lshl_add_u32 v7, v9, 23, 0x37800000
	v_lshlrev_b32_e32 v5, 21, v5
	s_delay_alu instid0(VALU_DEP_1)
	v_or3_b32 v5, v3, v7, v5
.LBB48_1827:
	s_or_b32 exec_lo, exec_lo, s16
	s_delay_alu instid0(VALU_DEP_1) | instskip(SKIP_2) | instid1(VALU_DEP_2)
	v_bfe_u32 v3, v5, 16, 1
	v_cmp_o_f32_e32 vcc_lo, v5, v5
	s_mov_b32 s15, 0
	v_add3_u32 v3, v5, v3, 0x7fff
	s_delay_alu instid0(VALU_DEP_1) | instskip(NEXT) | instid1(VALU_DEP_1)
	v_lshrrev_b32_e32 v3, 16, v3
	v_cndmask_b32_e32 v3, 0x7fc0, v3, vcc_lo
	s_branch .LBB48_1833
.LBB48_1828:
	s_mov_b32 s15, -1
                                        ; implicit-def: $vgpr3
	s_branch .LBB48_1839
.LBB48_1829:
	s_or_saveexec_b32 s17, s17
	v_mov_b32_e32 v5, 0x7f800001
	s_xor_b32 exec_lo, exec_lo, s17
	s_cbranch_execz .LBB48_1813
.LBB48_1830:
	v_cmp_ne_u16_e32 vcc_lo, 0, v3
	v_mov_b32_e32 v5, 0
	s_and_not1_b32 s16, s16, exec_lo
	s_and_b32 s18, vcc_lo, exec_lo
	s_delay_alu instid0(SALU_CYCLE_1)
	s_or_b32 s16, s16, s18
	s_or_b32 exec_lo, exec_lo, s17
	s_and_saveexec_b32 s17, s16
	s_cbranch_execnz .LBB48_1814
	s_branch .LBB48_1815
.LBB48_1831:
	s_mov_b32 s15, -1
                                        ; implicit-def: $vgpr3
	s_branch .LBB48_1836
.LBB48_1832:
	s_mov_b32 s15, -1
                                        ; implicit-def: $vgpr3
.LBB48_1833:
	s_delay_alu instid0(SALU_CYCLE_1)
	s_and_b32 vcc_lo, exec_lo, s15
	s_cbranch_vccz .LBB48_1835
; %bb.1834:
	s_wait_loadcnt 0x0
	global_load_u8 v3, v[20:21], off
	s_wait_loadcnt 0x0
	v_lshlrev_b32_e32 v3, 24, v3
	s_delay_alu instid0(VALU_DEP_1) | instskip(NEXT) | instid1(VALU_DEP_1)
	v_and_b32_e32 v5, 0x7f000000, v3
	v_clz_i32_u32_e32 v7, v5
	v_add_nc_u32_e32 v11, 0x1000000, v5
	v_cmp_ne_u32_e32 vcc_lo, 0, v5
	s_delay_alu instid0(VALU_DEP_3) | instskip(NEXT) | instid1(VALU_DEP_1)
	v_min_u32_e32 v7, 32, v7
	v_sub_nc_u32_e64 v7, v7, 4 clamp
	s_delay_alu instid0(VALU_DEP_1) | instskip(NEXT) | instid1(VALU_DEP_1)
	v_dual_lshlrev_b32 v9, v7, v5 :: v_dual_lshlrev_b32 v7, 23, v7
	v_lshrrev_b32_e32 v9, 4, v9
	s_delay_alu instid0(VALU_DEP_1) | instskip(SKIP_1) | instid1(VALU_DEP_2)
	v_sub_nc_u32_e32 v7, v9, v7
	v_ashrrev_i32_e32 v9, 8, v11
	v_add_nc_u32_e32 v7, 0x3c000000, v7
	s_delay_alu instid0(VALU_DEP_1) | instskip(NEXT) | instid1(VALU_DEP_1)
	v_and_or_b32 v7, 0x7f800000, v9, v7
	v_cndmask_b32_e32 v5, 0, v7, vcc_lo
	s_delay_alu instid0(VALU_DEP_1) | instskip(SKIP_1) | instid1(VALU_DEP_2)
	v_and_or_b32 v3, 0x80000000, v3, v5
	v_bfe_u32 v5, v5, 16, 1
	v_cmp_o_f32_e32 vcc_lo, v3, v3
	s_delay_alu instid0(VALU_DEP_2) | instskip(NEXT) | instid1(VALU_DEP_1)
	v_add3_u32 v5, v3, v5, 0x7fff
	v_lshrrev_b32_e32 v5, 16, v5
	s_delay_alu instid0(VALU_DEP_1)
	v_cndmask_b32_e32 v3, 0x7fc0, v5, vcc_lo
.LBB48_1835:
	s_mov_b32 s15, 0
.LBB48_1836:
	s_delay_alu instid0(SALU_CYCLE_1)
	s_and_not1_b32 vcc_lo, exec_lo, s15
	s_cbranch_vccnz .LBB48_1838
; %bb.1837:
	s_wait_loadcnt 0x0
	global_load_u8 v3, v[20:21], off
	s_wait_loadcnt 0x0
	v_lshlrev_b32_e32 v5, 25, v3
	v_lshlrev_b16 v3, 8, v3
	s_delay_alu instid0(VALU_DEP_1) | instskip(SKIP_1) | instid1(VALU_DEP_2)
	v_and_or_b32 v9, 0x7f00, v3, 0.5
	v_bfe_i32 v3, v3, 0, 16
	v_add_f32_e32 v9, -0.5, v9
	v_lshrrev_b32_e32 v7, 4, v5
	v_cmp_gt_u32_e32 vcc_lo, 0x8000000, v5
	s_delay_alu instid0(VALU_DEP_2) | instskip(NEXT) | instid1(VALU_DEP_1)
	v_or_b32_e32 v7, 0x70000000, v7
	v_mul_f32_e32 v7, 0x7800000, v7
	s_delay_alu instid0(VALU_DEP_1) | instskip(NEXT) | instid1(VALU_DEP_1)
	v_cndmask_b32_e32 v5, v7, v9, vcc_lo
	v_and_or_b32 v3, 0x80000000, v3, v5
	v_bfe_u32 v5, v5, 16, 1
	s_delay_alu instid0(VALU_DEP_2) | instskip(NEXT) | instid1(VALU_DEP_2)
	v_cmp_o_f32_e32 vcc_lo, v3, v3
	v_add3_u32 v5, v3, v5, 0x7fff
	s_delay_alu instid0(VALU_DEP_1) | instskip(NEXT) | instid1(VALU_DEP_1)
	v_lshrrev_b32_e32 v5, 16, v5
	v_cndmask_b32_e32 v3, 0x7fc0, v5, vcc_lo
.LBB48_1838:
	s_mov_b32 s15, 0
	s_mov_b32 s16, -1
.LBB48_1839:
	s_and_not1_b32 vcc_lo, exec_lo, s15
	s_mov_b32 s15, 0
	s_cbranch_vccnz .LBB48_1850
; %bb.1840:
	s_cmp_gt_i32 s13, 14
	s_cbranch_scc0 .LBB48_1843
; %bb.1841:
	s_cmp_eq_u32 s13, 15
	s_cbranch_scc0 .LBB48_1846
; %bb.1842:
	s_wait_loadcnt 0x0
	global_load_u16 v3, v[20:21], off
	s_mov_b32 s14, 0
	s_mov_b32 s16, -1
	s_branch .LBB48_1848
.LBB48_1843:
	s_mov_b32 s15, -1
	s_branch .LBB48_1847
.LBB48_1844:
	s_or_saveexec_b32 s16, s16
	v_mov_b32_e32 v5, 0x7f800001
	s_xor_b32 exec_lo, exec_lo, s16
	s_cbranch_execz .LBB48_1825
.LBB48_1845:
	v_cmp_ne_u16_e32 vcc_lo, 0, v3
	v_mov_b32_e32 v5, 0
	s_and_not1_b32 s15, s15, exec_lo
	s_and_b32 s17, vcc_lo, exec_lo
	s_delay_alu instid0(SALU_CYCLE_1)
	s_or_b32 s15, s15, s17
	s_or_b32 exec_lo, exec_lo, s16
	s_and_saveexec_b32 s16, s15
	s_cbranch_execnz .LBB48_1826
	s_branch .LBB48_1827
.LBB48_1846:
	s_mov_b32 s14, -1
.LBB48_1847:
                                        ; implicit-def: $vgpr3
.LBB48_1848:
	s_and_b32 vcc_lo, exec_lo, s15
	s_mov_b32 s15, 0
	s_cbranch_vccz .LBB48_1850
; %bb.1849:
	s_cmp_lg_u32 s13, 11
	s_mov_b32 s15, -1
	s_cselect_b32 s14, -1, 0
.LBB48_1850:
	s_delay_alu instid0(SALU_CYCLE_1)
	s_and_b32 vcc_lo, exec_lo, s14
	s_cbranch_vccnz .LBB48_1915
; %bb.1851:
	s_and_not1_b32 vcc_lo, exec_lo, s15
	s_cbranch_vccnz .LBB48_1853
.LBB48_1852:
	s_wait_loadcnt 0x0
	global_load_u8 v3, v[20:21], off
	s_mov_b32 s16, -1
	s_wait_loadcnt 0x0
	v_cmp_ne_u16_e32 vcc_lo, 0, v3
	v_cndmask_b32_e64 v3, 0, 1.0, vcc_lo
	s_delay_alu instid0(VALU_DEP_1)
	v_lshrrev_b32_e32 v3, 16, v3
.LBB48_1853:
	s_branch .LBB48_1779
.LBB48_1854:
	s_and_b32 s13, 0xffff, s12
	s_delay_alu instid0(SALU_CYCLE_1)
	s_cmp_lt_i32 s13, 5
	s_cbranch_scc1 .LBB48_1859
; %bb.1855:
	s_cmp_lt_i32 s13, 8
	s_cbranch_scc1 .LBB48_1860
; %bb.1856:
	;; [unrolled: 3-line block ×3, first 2 shown]
	s_cmp_gt_i32 s13, 9
	s_cbranch_scc0 .LBB48_1862
; %bb.1858:
	global_load_b64 v[22:23], v[20:21], off
	s_mov_b32 s14, 0
	s_wait_loadcnt 0x0
	v_cvt_f32_f64_e32 v3, v[22:23]
	s_delay_alu instid0(VALU_DEP_1) | instskip(SKIP_1) | instid1(VALU_DEP_2)
	v_bfe_u32 v5, v3, 16, 1
	v_cmp_o_f32_e32 vcc_lo, v3, v3
	v_add3_u32 v5, v3, v5, 0x7fff
	s_delay_alu instid0(VALU_DEP_1) | instskip(NEXT) | instid1(VALU_DEP_1)
	v_lshrrev_b32_e32 v5, 16, v5
	v_cndmask_b32_e32 v3, 0x7fc0, v5, vcc_lo
	s_branch .LBB48_1863
.LBB48_1859:
                                        ; implicit-def: $vgpr3
	s_branch .LBB48_1881
.LBB48_1860:
	s_mov_b32 s14, -1
                                        ; implicit-def: $vgpr3
	s_branch .LBB48_1869
.LBB48_1861:
	s_mov_b32 s14, -1
                                        ; implicit-def: $vgpr3
	s_branch .LBB48_1866
.LBB48_1862:
	s_mov_b32 s14, -1
                                        ; implicit-def: $vgpr3
.LBB48_1863:
	s_delay_alu instid0(SALU_CYCLE_1)
	s_and_not1_b32 vcc_lo, exec_lo, s14
	s_cbranch_vccnz .LBB48_1865
; %bb.1864:
	s_wait_loadcnt 0x0
	global_load_b32 v3, v[20:21], off
	s_wait_loadcnt 0x0
	v_bfe_u32 v5, v3, 16, 1
	v_cmp_o_f32_e32 vcc_lo, v3, v3
	s_delay_alu instid0(VALU_DEP_2) | instskip(NEXT) | instid1(VALU_DEP_1)
	v_add3_u32 v5, v3, v5, 0x7fff
	v_lshrrev_b32_e32 v5, 16, v5
	s_delay_alu instid0(VALU_DEP_1)
	v_cndmask_b32_e32 v3, 0x7fc0, v5, vcc_lo
.LBB48_1865:
	s_mov_b32 s14, 0
.LBB48_1866:
	s_delay_alu instid0(SALU_CYCLE_1)
	s_and_not1_b32 vcc_lo, exec_lo, s14
	s_cbranch_vccnz .LBB48_1868
; %bb.1867:
	s_wait_loadcnt 0x0
	global_load_b32 v3, v[20:21], off
	s_wait_loadcnt 0x0
	v_cvt_f32_f16_e32 v5, v3
	v_cmp_o_f16_e32 vcc_lo, v3, v3
	s_delay_alu instid0(VALU_DEP_2) | instskip(NEXT) | instid1(VALU_DEP_1)
	v_bfe_u32 v7, v5, 16, 1
	v_add3_u32 v5, v5, v7, 0x7fff
	s_delay_alu instid0(VALU_DEP_1) | instskip(NEXT) | instid1(VALU_DEP_1)
	v_lshrrev_b32_e32 v5, 16, v5
	v_cndmask_b32_e32 v3, 0x7fc0, v5, vcc_lo
.LBB48_1868:
	s_mov_b32 s14, 0
.LBB48_1869:
	s_delay_alu instid0(SALU_CYCLE_1)
	s_and_not1_b32 vcc_lo, exec_lo, s14
	s_cbranch_vccnz .LBB48_1880
; %bb.1870:
	s_cmp_lt_i32 s13, 6
	s_cbranch_scc1 .LBB48_1873
; %bb.1871:
	s_cmp_gt_i32 s13, 6
	s_cbranch_scc0 .LBB48_1874
; %bb.1872:
	global_load_b64 v[22:23], v[20:21], off
	s_mov_b32 s14, 0
	s_wait_loadcnt 0x0
	v_cvt_f32_f64_e32 v3, v[22:23]
	s_delay_alu instid0(VALU_DEP_1) | instskip(SKIP_1) | instid1(VALU_DEP_2)
	v_bfe_u32 v5, v3, 16, 1
	v_cmp_o_f32_e32 vcc_lo, v3, v3
	v_add3_u32 v5, v3, v5, 0x7fff
	s_delay_alu instid0(VALU_DEP_1) | instskip(NEXT) | instid1(VALU_DEP_1)
	v_lshrrev_b32_e32 v5, 16, v5
	v_cndmask_b32_e32 v3, 0x7fc0, v5, vcc_lo
	s_branch .LBB48_1875
.LBB48_1873:
	s_mov_b32 s14, -1
                                        ; implicit-def: $vgpr3
	s_branch .LBB48_1878
.LBB48_1874:
	s_mov_b32 s14, -1
                                        ; implicit-def: $vgpr3
.LBB48_1875:
	s_delay_alu instid0(SALU_CYCLE_1)
	s_and_not1_b32 vcc_lo, exec_lo, s14
	s_cbranch_vccnz .LBB48_1877
; %bb.1876:
	s_wait_loadcnt 0x0
	global_load_b32 v3, v[20:21], off
	s_wait_loadcnt 0x0
	v_bfe_u32 v5, v3, 16, 1
	v_cmp_o_f32_e32 vcc_lo, v3, v3
	s_delay_alu instid0(VALU_DEP_2) | instskip(NEXT) | instid1(VALU_DEP_1)
	v_add3_u32 v5, v3, v5, 0x7fff
	v_lshrrev_b32_e32 v5, 16, v5
	s_delay_alu instid0(VALU_DEP_1)
	v_cndmask_b32_e32 v3, 0x7fc0, v5, vcc_lo
.LBB48_1877:
	s_mov_b32 s14, 0
.LBB48_1878:
	s_delay_alu instid0(SALU_CYCLE_1)
	s_and_not1_b32 vcc_lo, exec_lo, s14
	s_cbranch_vccnz .LBB48_1880
; %bb.1879:
	s_wait_loadcnt 0x0
	global_load_u16 v3, v[20:21], off
	s_wait_loadcnt 0x0
	v_cvt_f32_f16_e32 v5, v3
	v_cmp_o_f16_e32 vcc_lo, v3, v3
	s_delay_alu instid0(VALU_DEP_2) | instskip(NEXT) | instid1(VALU_DEP_1)
	v_bfe_u32 v7, v5, 16, 1
	v_add3_u32 v5, v5, v7, 0x7fff
	s_delay_alu instid0(VALU_DEP_1) | instskip(NEXT) | instid1(VALU_DEP_1)
	v_lshrrev_b32_e32 v5, 16, v5
	v_cndmask_b32_e32 v3, 0x7fc0, v5, vcc_lo
.LBB48_1880:
	s_cbranch_execnz .LBB48_1900
.LBB48_1881:
	s_cmp_lt_i32 s13, 2
	s_cbranch_scc1 .LBB48_1885
; %bb.1882:
	s_cmp_lt_i32 s13, 3
	s_cbranch_scc1 .LBB48_1886
; %bb.1883:
	s_cmp_gt_i32 s13, 3
	s_cbranch_scc0 .LBB48_1887
; %bb.1884:
	global_load_b64 v[22:23], v[20:21], off
	s_mov_b32 s14, 0
	s_wait_loadcnt 0x0
	v_xor_b32_e32 v3, v22, v23
	v_cls_i32_e32 v5, v23
	s_delay_alu instid0(VALU_DEP_2) | instskip(NEXT) | instid1(VALU_DEP_1)
	v_ashrrev_i32_e32 v3, 31, v3
	v_add_nc_u32_e32 v3, 32, v3
	s_delay_alu instid0(VALU_DEP_1) | instskip(NEXT) | instid1(VALU_DEP_1)
	v_add_min_u32_e64 v3, v5, -1, v3
	v_lshlrev_b64_e32 v[22:23], v3, v[22:23]
	v_sub_nc_u32_e32 v3, 32, v3
	s_delay_alu instid0(VALU_DEP_2) | instskip(NEXT) | instid1(VALU_DEP_1)
	v_min_u32_e32 v5, 1, v22
	v_or_b32_e32 v5, v23, v5
	s_delay_alu instid0(VALU_DEP_1) | instskip(NEXT) | instid1(VALU_DEP_1)
	v_cvt_f32_i32_e32 v5, v5
	v_ldexp_f32 v3, v5, v3
	s_delay_alu instid0(VALU_DEP_1) | instskip(NEXT) | instid1(VALU_DEP_1)
	v_bfe_u32 v5, v3, 16, 1
	v_add3_u32 v3, v3, v5, 0x7fff
	s_delay_alu instid0(VALU_DEP_1)
	v_lshrrev_b32_e32 v3, 16, v3
	s_branch .LBB48_1888
.LBB48_1885:
	s_mov_b32 s14, -1
                                        ; implicit-def: $vgpr3
	s_branch .LBB48_1894
.LBB48_1886:
	s_mov_b32 s14, -1
                                        ; implicit-def: $vgpr3
	s_branch .LBB48_1891
.LBB48_1887:
	s_mov_b32 s14, -1
                                        ; implicit-def: $vgpr3
.LBB48_1888:
	s_delay_alu instid0(SALU_CYCLE_1)
	s_and_not1_b32 vcc_lo, exec_lo, s14
	s_cbranch_vccnz .LBB48_1890
; %bb.1889:
	s_wait_loadcnt 0x0
	global_load_b32 v3, v[20:21], off
	s_wait_loadcnt 0x0
	v_cvt_f32_i32_e32 v3, v3
	s_delay_alu instid0(VALU_DEP_1) | instskip(NEXT) | instid1(VALU_DEP_1)
	v_bfe_u32 v5, v3, 16, 1
	v_add3_u32 v3, v3, v5, 0x7fff
	s_delay_alu instid0(VALU_DEP_1)
	v_lshrrev_b32_e32 v3, 16, v3
.LBB48_1890:
	s_mov_b32 s14, 0
.LBB48_1891:
	s_delay_alu instid0(SALU_CYCLE_1)
	s_and_not1_b32 vcc_lo, exec_lo, s14
	s_cbranch_vccnz .LBB48_1893
; %bb.1892:
	s_wait_loadcnt 0x0
	global_load_i16 v3, v[20:21], off
	s_wait_loadcnt 0x0
	v_cvt_f32_i32_e32 v3, v3
	s_delay_alu instid0(VALU_DEP_1) | instskip(NEXT) | instid1(VALU_DEP_1)
	v_bfe_u32 v5, v3, 16, 1
	v_add3_u32 v3, v3, v5, 0x7fff
	s_delay_alu instid0(VALU_DEP_1)
	v_lshrrev_b32_e32 v3, 16, v3
.LBB48_1893:
	s_mov_b32 s14, 0
.LBB48_1894:
	s_delay_alu instid0(SALU_CYCLE_1)
	s_and_not1_b32 vcc_lo, exec_lo, s14
	s_cbranch_vccnz .LBB48_1900
; %bb.1895:
	s_cmp_gt_i32 s13, 0
	s_mov_b32 s13, 0
	s_cbranch_scc0 .LBB48_1897
; %bb.1896:
	s_wait_loadcnt 0x0
	global_load_i8 v3, v[20:21], off
	s_wait_loadcnt 0x0
	v_cvt_f32_i32_e32 v3, v3
	s_delay_alu instid0(VALU_DEP_1) | instskip(NEXT) | instid1(VALU_DEP_1)
	v_bfe_u32 v5, v3, 16, 1
	v_add3_u32 v3, v3, v5, 0x7fff
	s_delay_alu instid0(VALU_DEP_1)
	v_lshrrev_b32_e32 v3, 16, v3
	s_branch .LBB48_1898
.LBB48_1897:
	s_mov_b32 s13, -1
                                        ; implicit-def: $vgpr3
.LBB48_1898:
	s_delay_alu instid0(SALU_CYCLE_1)
	s_and_not1_b32 vcc_lo, exec_lo, s13
	s_cbranch_vccnz .LBB48_1900
; %bb.1899:
	s_wait_loadcnt 0x0
	global_load_u8 v3, v[20:21], off
	s_wait_loadcnt 0x0
	v_cvt_f32_ubyte0_e32 v3, v3
	s_delay_alu instid0(VALU_DEP_1) | instskip(NEXT) | instid1(VALU_DEP_1)
	v_bfe_u32 v5, v3, 16, 1
	v_add3_u32 v3, v3, v5, 0x7fff
	s_delay_alu instid0(VALU_DEP_1)
	v_lshrrev_b32_e32 v3, 16, v3
.LBB48_1900:
.LBB48_1901:
	v_lshlrev_b32_e32 v5, 16, v1
	s_mov_b32 s13, exec_lo
	s_wait_xcnt 0x0
	s_delay_alu instid0(VALU_DEP_1)
	v_cmpx_nlt_f32_e32 0, v5
	s_cbranch_execz .LBB48_1903
; %bb.1902:
	s_wait_loadcnt 0x0
	v_lshlrev_b32_e32 v1, 16, v3
	s_delay_alu instid0(VALU_DEP_1) | instskip(NEXT) | instid1(VALU_DEP_1)
	v_mul_f32_e32 v1, v5, v1
	v_bfe_u32 v3, v1, 16, 1
	v_cmp_o_f32_e32 vcc_lo, v1, v1
	s_delay_alu instid0(VALU_DEP_2) | instskip(NEXT) | instid1(VALU_DEP_1)
	v_add3_u32 v3, v1, v3, 0x7fff
	v_lshrrev_b32_e32 v3, 16, v3
	s_delay_alu instid0(VALU_DEP_1)
	v_cndmask_b32_e32 v1, 0x7fc0, v3, vcc_lo
.LBB48_1903:
	s_or_b32 exec_lo, exec_lo, s13
	v_mov_b32_e32 v19, 0
	s_and_b32 s11, 0xffff, s11
	s_delay_alu instid0(SALU_CYCLE_1) | instskip(NEXT) | instid1(VALU_DEP_1)
	s_cmp_lt_i32 s11, 11
	v_add_nc_u64_e32 v[18:19], s[6:7], v[18:19]
	s_cbranch_scc1 .LBB48_1910
; %bb.1904:
	s_cmp_gt_i32 s11, 25
	s_mov_b32 s14, 0
	s_cbranch_scc0 .LBB48_1912
; %bb.1905:
	s_cmp_gt_i32 s11, 28
	s_cbranch_scc0 .LBB48_1913
; %bb.1906:
	s_cmp_gt_i32 s11, 43
	;; [unrolled: 3-line block ×3, first 2 shown]
	s_cbranch_scc0 .LBB48_1916
; %bb.1908:
	s_cmp_eq_u32 s11, 46
	s_mov_b32 s16, 0
	s_cbranch_scc0 .LBB48_1917
; %bb.1909:
	s_wait_loadcnt 0x0
	global_load_b32 v3, v[18:19], off
	s_mov_b32 s13, 0
	s_mov_b32 s15, -1
	s_branch .LBB48_1919
.LBB48_1910:
	s_mov_b32 s15, 0
                                        ; implicit-def: $vgpr3
	s_cbranch_execnz .LBB48_1985
.LBB48_1911:
	s_and_not1_b32 vcc_lo, exec_lo, s15
	s_cbranch_vccnz .LBB48_2774
	s_branch .LBB48_2033
.LBB48_1912:
	s_mov_b32 s16, -1
	s_mov_b32 s15, 0
	s_mov_b32 s13, 0
                                        ; implicit-def: $vgpr3
	s_branch .LBB48_1948
.LBB48_1913:
	s_mov_b32 s16, -1
	s_mov_b32 s15, 0
	s_mov_b32 s13, 0
                                        ; implicit-def: $vgpr3
	s_branch .LBB48_1929
.LBB48_1914:
	s_mov_b32 s16, -1
	s_mov_b32 s15, 0
	s_mov_b32 s13, 0
                                        ; implicit-def: $vgpr3
	s_branch .LBB48_1924
.LBB48_1915:
	s_or_b32 s10, s10, exec_lo
	s_trap 2
	s_cbranch_execz .LBB48_1852
	s_branch .LBB48_1853
.LBB48_1916:
	s_mov_b32 s16, -1
	s_mov_b32 s15, 0
	s_mov_b32 s13, 0
	s_branch .LBB48_1918
.LBB48_1917:
	s_mov_b32 s13, -1
	s_mov_b32 s15, 0
.LBB48_1918:
                                        ; implicit-def: $vgpr3
.LBB48_1919:
	s_and_b32 vcc_lo, exec_lo, s16
	s_cbranch_vccz .LBB48_1923
; %bb.1920:
	s_cmp_eq_u32 s11, 44
	s_cbranch_scc0 .LBB48_1922
; %bb.1921:
	s_wait_loadcnt 0x0
	global_load_u8 v3, v[18:19], off
	s_mov_b32 s13, 0
	s_mov_b32 s15, -1
	s_wait_loadcnt 0x0
	v_lshlrev_b32_e32 v5, 23, v3
	v_cmp_ne_u32_e32 vcc_lo, 0xff, v3
	s_delay_alu instid0(VALU_DEP_2) | instskip(SKIP_1) | instid1(VALU_DEP_2)
	v_cndmask_b32_e32 v5, 0x7f800001, v5, vcc_lo
	v_cmp_ne_u32_e32 vcc_lo, 0, v3
	v_cndmask_b32_e32 v3, 0x400000, v5, vcc_lo
	s_delay_alu instid0(VALU_DEP_1) | instskip(SKIP_1) | instid1(VALU_DEP_2)
	v_add_nc_u32_e32 v5, 0x7fff, v3
	v_cmp_o_f32_e32 vcc_lo, v3, v3
	v_lshrrev_b32_e32 v5, 16, v5
	s_delay_alu instid0(VALU_DEP_1)
	v_cndmask_b32_e32 v3, 0x7fc0, v5, vcc_lo
	s_branch .LBB48_1923
.LBB48_1922:
	s_mov_b32 s13, -1
                                        ; implicit-def: $vgpr3
.LBB48_1923:
	s_mov_b32 s16, 0
.LBB48_1924:
	s_delay_alu instid0(SALU_CYCLE_1)
	s_and_b32 vcc_lo, exec_lo, s16
	s_cbranch_vccz .LBB48_1928
; %bb.1925:
	s_cmp_eq_u32 s11, 29
	s_cbranch_scc0 .LBB48_1927
; %bb.1926:
	global_load_b64 v[20:21], v[18:19], off
	s_mov_b32 s13, 0
	s_mov_b32 s15, -1
	s_mov_b32 s16, 0
	s_wait_loadcnt 0x0
	v_clz_i32_u32_e32 v3, v21
	s_delay_alu instid0(VALU_DEP_1) | instskip(NEXT) | instid1(VALU_DEP_1)
	v_min_u32_e32 v3, 32, v3
	v_lshlrev_b64_e32 v[20:21], v3, v[20:21]
	v_sub_nc_u32_e32 v3, 32, v3
	s_delay_alu instid0(VALU_DEP_2) | instskip(NEXT) | instid1(VALU_DEP_1)
	v_min_u32_e32 v5, 1, v20
	v_or_b32_e32 v5, v21, v5
	s_delay_alu instid0(VALU_DEP_1) | instskip(NEXT) | instid1(VALU_DEP_1)
	v_cvt_f32_u32_e32 v5, v5
	v_ldexp_f32 v3, v5, v3
	s_delay_alu instid0(VALU_DEP_1) | instskip(NEXT) | instid1(VALU_DEP_1)
	v_bfe_u32 v5, v3, 16, 1
	v_add3_u32 v3, v3, v5, 0x7fff
	s_delay_alu instid0(VALU_DEP_1)
	v_lshrrev_b32_e32 v3, 16, v3
	s_branch .LBB48_1929
.LBB48_1927:
	s_mov_b32 s13, -1
                                        ; implicit-def: $vgpr3
.LBB48_1928:
	s_mov_b32 s16, 0
.LBB48_1929:
	s_delay_alu instid0(SALU_CYCLE_1)
	s_and_b32 vcc_lo, exec_lo, s16
	s_cbranch_vccz .LBB48_1947
; %bb.1930:
	s_cmp_lt_i32 s11, 27
	s_cbranch_scc1 .LBB48_1933
; %bb.1931:
	s_cmp_gt_i32 s11, 27
	s_cbranch_scc0 .LBB48_1934
; %bb.1932:
	s_wait_loadcnt 0x0
	global_load_b32 v3, v[18:19], off
	s_mov_b32 s15, 0
	s_wait_loadcnt 0x0
	v_cvt_f32_u32_e32 v3, v3
	s_delay_alu instid0(VALU_DEP_1) | instskip(NEXT) | instid1(VALU_DEP_1)
	v_bfe_u32 v5, v3, 16, 1
	v_add3_u32 v3, v3, v5, 0x7fff
	s_delay_alu instid0(VALU_DEP_1)
	v_lshrrev_b32_e32 v3, 16, v3
	s_branch .LBB48_1935
.LBB48_1933:
	s_mov_b32 s15, -1
                                        ; implicit-def: $vgpr3
	s_branch .LBB48_1938
.LBB48_1934:
	s_mov_b32 s15, -1
                                        ; implicit-def: $vgpr3
.LBB48_1935:
	s_delay_alu instid0(SALU_CYCLE_1)
	s_and_not1_b32 vcc_lo, exec_lo, s15
	s_cbranch_vccnz .LBB48_1937
; %bb.1936:
	s_wait_loadcnt 0x0
	global_load_u16 v3, v[18:19], off
	s_wait_loadcnt 0x0
	v_cvt_f32_u32_e32 v3, v3
	s_delay_alu instid0(VALU_DEP_1) | instskip(NEXT) | instid1(VALU_DEP_1)
	v_bfe_u32 v5, v3, 16, 1
	v_add3_u32 v3, v3, v5, 0x7fff
	s_delay_alu instid0(VALU_DEP_1)
	v_lshrrev_b32_e32 v3, 16, v3
.LBB48_1937:
	s_mov_b32 s15, 0
.LBB48_1938:
	s_delay_alu instid0(SALU_CYCLE_1)
	s_and_not1_b32 vcc_lo, exec_lo, s15
	s_cbranch_vccnz .LBB48_1946
; %bb.1939:
	s_wait_loadcnt 0x0
	global_load_u8 v3, v[18:19], off
	s_mov_b32 s15, 0
	s_mov_b32 s16, exec_lo
	s_wait_loadcnt 0x0
	v_cmpx_lt_i16_e32 0x7f, v3
	s_xor_b32 s16, exec_lo, s16
	s_cbranch_execz .LBB48_1960
; %bb.1940:
	s_mov_b32 s15, -1
	s_mov_b32 s17, exec_lo
	v_cmpx_eq_u16_e32 0x80, v3
; %bb.1941:
	s_xor_b32 s15, exec_lo, -1
; %bb.1942:
	s_or_b32 exec_lo, exec_lo, s17
	s_delay_alu instid0(SALU_CYCLE_1)
	s_and_b32 s15, s15, exec_lo
	s_or_saveexec_b32 s16, s16
	v_mov_b32_e32 v5, 0x7f800001
	s_xor_b32 exec_lo, exec_lo, s16
	s_cbranch_execnz .LBB48_1961
.LBB48_1943:
	s_or_b32 exec_lo, exec_lo, s16
	s_and_saveexec_b32 s16, s15
	s_cbranch_execz .LBB48_1945
.LBB48_1944:
	v_and_b32_e32 v5, 0xffff, v3
	s_delay_alu instid0(VALU_DEP_1) | instskip(SKIP_1) | instid1(VALU_DEP_2)
	v_dual_lshlrev_b32 v3, 24, v3 :: v_dual_bitop2_b32 v7, 7, v5 bitop3:0x40
	v_bfe_u32 v13, v5, 3, 4
	v_and_b32_e32 v3, 0x80000000, v3
	s_delay_alu instid0(VALU_DEP_3) | instskip(NEXT) | instid1(VALU_DEP_3)
	v_clz_i32_u32_e32 v9, v7
	v_cmp_eq_u32_e32 vcc_lo, 0, v13
	s_delay_alu instid0(VALU_DEP_2) | instskip(NEXT) | instid1(VALU_DEP_1)
	v_min_u32_e32 v9, 32, v9
	v_subrev_nc_u32_e32 v11, 28, v9
	v_sub_nc_u32_e32 v9, 29, v9
	s_delay_alu instid0(VALU_DEP_2) | instskip(NEXT) | instid1(VALU_DEP_2)
	v_lshlrev_b32_e32 v5, v11, v5
	v_cndmask_b32_e32 v9, v13, v9, vcc_lo
	s_delay_alu instid0(VALU_DEP_2) | instskip(NEXT) | instid1(VALU_DEP_1)
	v_and_b32_e32 v5, 7, v5
	v_cndmask_b32_e32 v5, v7, v5, vcc_lo
	s_delay_alu instid0(VALU_DEP_3) | instskip(NEXT) | instid1(VALU_DEP_2)
	v_lshl_add_u32 v7, v9, 23, 0x3b800000
	v_lshlrev_b32_e32 v5, 20, v5
	s_delay_alu instid0(VALU_DEP_1)
	v_or3_b32 v5, v3, v7, v5
.LBB48_1945:
	s_or_b32 exec_lo, exec_lo, s16
	s_delay_alu instid0(VALU_DEP_1) | instskip(SKIP_1) | instid1(VALU_DEP_2)
	v_bfe_u32 v3, v5, 16, 1
	v_cmp_o_f32_e32 vcc_lo, v5, v5
	v_add3_u32 v3, v5, v3, 0x7fff
	s_delay_alu instid0(VALU_DEP_1) | instskip(NEXT) | instid1(VALU_DEP_1)
	v_lshrrev_b32_e32 v3, 16, v3
	v_cndmask_b32_e32 v3, 0x7fc0, v3, vcc_lo
.LBB48_1946:
	s_mov_b32 s15, -1
.LBB48_1947:
	s_mov_b32 s16, 0
.LBB48_1948:
	s_delay_alu instid0(SALU_CYCLE_1)
	s_and_b32 vcc_lo, exec_lo, s16
	s_cbranch_vccz .LBB48_1981
; %bb.1949:
	s_cmp_gt_i32 s11, 22
	s_cbranch_scc0 .LBB48_1959
; %bb.1950:
	s_cmp_lt_i32 s11, 24
	s_cbranch_scc1 .LBB48_1962
; %bb.1951:
	s_cmp_gt_i32 s11, 24
	s_cbranch_scc0 .LBB48_1963
; %bb.1952:
	s_wait_loadcnt 0x0
	global_load_u8 v3, v[18:19], off
	s_mov_b32 s15, exec_lo
	s_wait_loadcnt 0x0
	v_cmpx_lt_i16_e32 0x7f, v3
	s_xor_b32 s15, exec_lo, s15
	s_cbranch_execz .LBB48_1975
; %bb.1953:
	s_mov_b32 s14, -1
	s_mov_b32 s16, exec_lo
	v_cmpx_eq_u16_e32 0x80, v3
; %bb.1954:
	s_xor_b32 s14, exec_lo, -1
; %bb.1955:
	s_or_b32 exec_lo, exec_lo, s16
	s_delay_alu instid0(SALU_CYCLE_1)
	s_and_b32 s14, s14, exec_lo
	s_or_saveexec_b32 s15, s15
	v_mov_b32_e32 v5, 0x7f800001
	s_xor_b32 exec_lo, exec_lo, s15
	s_cbranch_execnz .LBB48_1976
.LBB48_1956:
	s_or_b32 exec_lo, exec_lo, s15
	s_and_saveexec_b32 s15, s14
	s_cbranch_execz .LBB48_1958
.LBB48_1957:
	v_and_b32_e32 v5, 0xffff, v3
	s_delay_alu instid0(VALU_DEP_1) | instskip(SKIP_1) | instid1(VALU_DEP_2)
	v_dual_lshlrev_b32 v3, 24, v3 :: v_dual_bitop2_b32 v7, 3, v5 bitop3:0x40
	v_bfe_u32 v13, v5, 2, 5
	v_and_b32_e32 v3, 0x80000000, v3
	s_delay_alu instid0(VALU_DEP_3) | instskip(NEXT) | instid1(VALU_DEP_3)
	v_clz_i32_u32_e32 v9, v7
	v_cmp_eq_u32_e32 vcc_lo, 0, v13
	s_delay_alu instid0(VALU_DEP_2) | instskip(NEXT) | instid1(VALU_DEP_1)
	v_min_u32_e32 v9, 32, v9
	v_subrev_nc_u32_e32 v11, 29, v9
	v_sub_nc_u32_e32 v9, 30, v9
	s_delay_alu instid0(VALU_DEP_2) | instskip(NEXT) | instid1(VALU_DEP_2)
	v_lshlrev_b32_e32 v5, v11, v5
	v_cndmask_b32_e32 v9, v13, v9, vcc_lo
	s_delay_alu instid0(VALU_DEP_2) | instskip(NEXT) | instid1(VALU_DEP_1)
	v_and_b32_e32 v5, 3, v5
	v_cndmask_b32_e32 v5, v7, v5, vcc_lo
	s_delay_alu instid0(VALU_DEP_3) | instskip(NEXT) | instid1(VALU_DEP_2)
	v_lshl_add_u32 v7, v9, 23, 0x37800000
	v_lshlrev_b32_e32 v5, 21, v5
	s_delay_alu instid0(VALU_DEP_1)
	v_or3_b32 v5, v3, v7, v5
.LBB48_1958:
	s_or_b32 exec_lo, exec_lo, s15
	s_delay_alu instid0(VALU_DEP_1) | instskip(SKIP_2) | instid1(VALU_DEP_2)
	v_bfe_u32 v3, v5, 16, 1
	v_cmp_o_f32_e32 vcc_lo, v5, v5
	s_mov_b32 s14, 0
	v_add3_u32 v3, v5, v3, 0x7fff
	s_delay_alu instid0(VALU_DEP_1) | instskip(NEXT) | instid1(VALU_DEP_1)
	v_lshrrev_b32_e32 v3, 16, v3
	v_cndmask_b32_e32 v3, 0x7fc0, v3, vcc_lo
	s_branch .LBB48_1964
.LBB48_1959:
	s_mov_b32 s14, -1
                                        ; implicit-def: $vgpr3
	s_branch .LBB48_1970
.LBB48_1960:
	s_or_saveexec_b32 s16, s16
	v_mov_b32_e32 v5, 0x7f800001
	s_xor_b32 exec_lo, exec_lo, s16
	s_cbranch_execz .LBB48_1943
.LBB48_1961:
	v_cmp_ne_u16_e32 vcc_lo, 0, v3
	v_mov_b32_e32 v5, 0
	s_and_not1_b32 s15, s15, exec_lo
	s_and_b32 s17, vcc_lo, exec_lo
	s_delay_alu instid0(SALU_CYCLE_1)
	s_or_b32 s15, s15, s17
	s_or_b32 exec_lo, exec_lo, s16
	s_and_saveexec_b32 s16, s15
	s_cbranch_execnz .LBB48_1944
	s_branch .LBB48_1945
.LBB48_1962:
	s_mov_b32 s14, -1
                                        ; implicit-def: $vgpr3
	s_branch .LBB48_1967
.LBB48_1963:
	s_mov_b32 s14, -1
                                        ; implicit-def: $vgpr3
.LBB48_1964:
	s_delay_alu instid0(SALU_CYCLE_1)
	s_and_b32 vcc_lo, exec_lo, s14
	s_cbranch_vccz .LBB48_1966
; %bb.1965:
	s_wait_loadcnt 0x0
	global_load_u8 v3, v[18:19], off
	s_wait_loadcnt 0x0
	v_lshlrev_b32_e32 v3, 24, v3
	s_delay_alu instid0(VALU_DEP_1) | instskip(NEXT) | instid1(VALU_DEP_1)
	v_and_b32_e32 v5, 0x7f000000, v3
	v_clz_i32_u32_e32 v7, v5
	v_add_nc_u32_e32 v11, 0x1000000, v5
	v_cmp_ne_u32_e32 vcc_lo, 0, v5
	s_delay_alu instid0(VALU_DEP_3) | instskip(NEXT) | instid1(VALU_DEP_1)
	v_min_u32_e32 v7, 32, v7
	v_sub_nc_u32_e64 v7, v7, 4 clamp
	s_delay_alu instid0(VALU_DEP_1) | instskip(NEXT) | instid1(VALU_DEP_1)
	v_dual_lshlrev_b32 v9, v7, v5 :: v_dual_lshlrev_b32 v7, 23, v7
	v_lshrrev_b32_e32 v9, 4, v9
	s_delay_alu instid0(VALU_DEP_1) | instskip(SKIP_1) | instid1(VALU_DEP_2)
	v_sub_nc_u32_e32 v7, v9, v7
	v_ashrrev_i32_e32 v9, 8, v11
	v_add_nc_u32_e32 v7, 0x3c000000, v7
	s_delay_alu instid0(VALU_DEP_1) | instskip(NEXT) | instid1(VALU_DEP_1)
	v_and_or_b32 v7, 0x7f800000, v9, v7
	v_cndmask_b32_e32 v5, 0, v7, vcc_lo
	s_delay_alu instid0(VALU_DEP_1) | instskip(SKIP_1) | instid1(VALU_DEP_2)
	v_and_or_b32 v3, 0x80000000, v3, v5
	v_bfe_u32 v5, v5, 16, 1
	v_cmp_o_f32_e32 vcc_lo, v3, v3
	s_delay_alu instid0(VALU_DEP_2) | instskip(NEXT) | instid1(VALU_DEP_1)
	v_add3_u32 v5, v3, v5, 0x7fff
	v_lshrrev_b32_e32 v5, 16, v5
	s_delay_alu instid0(VALU_DEP_1)
	v_cndmask_b32_e32 v3, 0x7fc0, v5, vcc_lo
.LBB48_1966:
	s_mov_b32 s14, 0
.LBB48_1967:
	s_delay_alu instid0(SALU_CYCLE_1)
	s_and_not1_b32 vcc_lo, exec_lo, s14
	s_cbranch_vccnz .LBB48_1969
; %bb.1968:
	s_wait_loadcnt 0x0
	global_load_u8 v3, v[18:19], off
	s_wait_loadcnt 0x0
	v_lshlrev_b32_e32 v5, 25, v3
	v_lshlrev_b16 v3, 8, v3
	s_delay_alu instid0(VALU_DEP_1) | instskip(SKIP_1) | instid1(VALU_DEP_2)
	v_and_or_b32 v9, 0x7f00, v3, 0.5
	v_bfe_i32 v3, v3, 0, 16
	v_add_f32_e32 v9, -0.5, v9
	v_lshrrev_b32_e32 v7, 4, v5
	v_cmp_gt_u32_e32 vcc_lo, 0x8000000, v5
	s_delay_alu instid0(VALU_DEP_2) | instskip(NEXT) | instid1(VALU_DEP_1)
	v_or_b32_e32 v7, 0x70000000, v7
	v_mul_f32_e32 v7, 0x7800000, v7
	s_delay_alu instid0(VALU_DEP_1) | instskip(NEXT) | instid1(VALU_DEP_1)
	v_cndmask_b32_e32 v5, v7, v9, vcc_lo
	v_and_or_b32 v3, 0x80000000, v3, v5
	v_bfe_u32 v5, v5, 16, 1
	s_delay_alu instid0(VALU_DEP_2) | instskip(NEXT) | instid1(VALU_DEP_2)
	v_cmp_o_f32_e32 vcc_lo, v3, v3
	v_add3_u32 v5, v3, v5, 0x7fff
	s_delay_alu instid0(VALU_DEP_1) | instskip(NEXT) | instid1(VALU_DEP_1)
	v_lshrrev_b32_e32 v5, 16, v5
	v_cndmask_b32_e32 v3, 0x7fc0, v5, vcc_lo
.LBB48_1969:
	s_mov_b32 s14, 0
	s_mov_b32 s15, -1
.LBB48_1970:
	s_and_not1_b32 vcc_lo, exec_lo, s14
	s_mov_b32 s14, 0
	s_cbranch_vccnz .LBB48_1981
; %bb.1971:
	s_cmp_gt_i32 s11, 14
	s_cbranch_scc0 .LBB48_1974
; %bb.1972:
	s_cmp_eq_u32 s11, 15
	s_cbranch_scc0 .LBB48_1977
; %bb.1973:
	s_wait_loadcnt 0x0
	global_load_u16 v3, v[18:19], off
	s_mov_b32 s13, 0
	s_mov_b32 s15, -1
	s_branch .LBB48_1979
.LBB48_1974:
	s_mov_b32 s14, -1
	s_branch .LBB48_1978
.LBB48_1975:
	s_or_saveexec_b32 s15, s15
	v_mov_b32_e32 v5, 0x7f800001
	s_xor_b32 exec_lo, exec_lo, s15
	s_cbranch_execz .LBB48_1956
.LBB48_1976:
	v_cmp_ne_u16_e32 vcc_lo, 0, v3
	v_mov_b32_e32 v5, 0
	s_and_not1_b32 s14, s14, exec_lo
	s_and_b32 s16, vcc_lo, exec_lo
	s_delay_alu instid0(SALU_CYCLE_1)
	s_or_b32 s14, s14, s16
	s_or_b32 exec_lo, exec_lo, s15
	s_and_saveexec_b32 s15, s14
	s_cbranch_execnz .LBB48_1957
	s_branch .LBB48_1958
.LBB48_1977:
	s_mov_b32 s13, -1
.LBB48_1978:
                                        ; implicit-def: $vgpr3
.LBB48_1979:
	s_and_b32 vcc_lo, exec_lo, s14
	s_mov_b32 s14, 0
	s_cbranch_vccz .LBB48_1981
; %bb.1980:
	s_cmp_lg_u32 s11, 11
	s_mov_b32 s14, -1
	s_cselect_b32 s13, -1, 0
.LBB48_1981:
	s_delay_alu instid0(SALU_CYCLE_1)
	s_and_b32 vcc_lo, exec_lo, s13
	s_cbranch_vccnz .LBB48_2044
; %bb.1982:
	s_and_not1_b32 vcc_lo, exec_lo, s14
	s_cbranch_vccnz .LBB48_1984
.LBB48_1983:
	s_wait_loadcnt 0x0
	global_load_u8 v3, v[18:19], off
	s_mov_b32 s15, -1
	s_wait_loadcnt 0x0
	v_cmp_ne_u16_e32 vcc_lo, 0, v3
	v_cndmask_b32_e64 v3, 0, 1.0, vcc_lo
	s_delay_alu instid0(VALU_DEP_1)
	v_lshrrev_b32_e32 v3, 16, v3
.LBB48_1984:
	s_branch .LBB48_1911
.LBB48_1985:
	s_cmp_lt_i32 s11, 5
	s_cbranch_scc1 .LBB48_1990
; %bb.1986:
	s_cmp_lt_i32 s11, 8
	s_cbranch_scc1 .LBB48_1991
; %bb.1987:
	;; [unrolled: 3-line block ×3, first 2 shown]
	s_cmp_gt_i32 s11, 9
	s_cbranch_scc0 .LBB48_1993
; %bb.1989:
	global_load_b64 v[20:21], v[18:19], off
	s_mov_b32 s13, 0
	s_wait_loadcnt 0x0
	v_cvt_f32_f64_e32 v3, v[20:21]
	s_delay_alu instid0(VALU_DEP_1) | instskip(SKIP_1) | instid1(VALU_DEP_2)
	v_bfe_u32 v5, v3, 16, 1
	v_cmp_o_f32_e32 vcc_lo, v3, v3
	v_add3_u32 v5, v3, v5, 0x7fff
	s_delay_alu instid0(VALU_DEP_1) | instskip(NEXT) | instid1(VALU_DEP_1)
	v_lshrrev_b32_e32 v5, 16, v5
	v_cndmask_b32_e32 v3, 0x7fc0, v5, vcc_lo
	s_branch .LBB48_1994
.LBB48_1990:
	s_mov_b32 s13, -1
                                        ; implicit-def: $vgpr3
	s_branch .LBB48_2012
.LBB48_1991:
	s_mov_b32 s13, -1
                                        ; implicit-def: $vgpr3
	s_branch .LBB48_2000
.LBB48_1992:
	s_mov_b32 s13, -1
                                        ; implicit-def: $vgpr3
	s_branch .LBB48_1997
.LBB48_1993:
	s_mov_b32 s13, -1
                                        ; implicit-def: $vgpr3
.LBB48_1994:
	s_delay_alu instid0(SALU_CYCLE_1)
	s_and_not1_b32 vcc_lo, exec_lo, s13
	s_cbranch_vccnz .LBB48_1996
; %bb.1995:
	s_wait_loadcnt 0x0
	global_load_b32 v3, v[18:19], off
	s_wait_loadcnt 0x0
	v_bfe_u32 v5, v3, 16, 1
	v_cmp_o_f32_e32 vcc_lo, v3, v3
	s_delay_alu instid0(VALU_DEP_2) | instskip(NEXT) | instid1(VALU_DEP_1)
	v_add3_u32 v5, v3, v5, 0x7fff
	v_lshrrev_b32_e32 v5, 16, v5
	s_delay_alu instid0(VALU_DEP_1)
	v_cndmask_b32_e32 v3, 0x7fc0, v5, vcc_lo
.LBB48_1996:
	s_mov_b32 s13, 0
.LBB48_1997:
	s_delay_alu instid0(SALU_CYCLE_1)
	s_and_not1_b32 vcc_lo, exec_lo, s13
	s_cbranch_vccnz .LBB48_1999
; %bb.1998:
	s_wait_loadcnt 0x0
	global_load_b32 v3, v[18:19], off
	s_wait_loadcnt 0x0
	v_cvt_f32_f16_e32 v5, v3
	v_cmp_o_f16_e32 vcc_lo, v3, v3
	s_delay_alu instid0(VALU_DEP_2) | instskip(NEXT) | instid1(VALU_DEP_1)
	v_bfe_u32 v7, v5, 16, 1
	v_add3_u32 v5, v5, v7, 0x7fff
	s_delay_alu instid0(VALU_DEP_1) | instskip(NEXT) | instid1(VALU_DEP_1)
	v_lshrrev_b32_e32 v5, 16, v5
	v_cndmask_b32_e32 v3, 0x7fc0, v5, vcc_lo
.LBB48_1999:
	s_mov_b32 s13, 0
.LBB48_2000:
	s_delay_alu instid0(SALU_CYCLE_1)
	s_and_not1_b32 vcc_lo, exec_lo, s13
	s_cbranch_vccnz .LBB48_2011
; %bb.2001:
	s_cmp_lt_i32 s11, 6
	s_cbranch_scc1 .LBB48_2004
; %bb.2002:
	s_cmp_gt_i32 s11, 6
	s_cbranch_scc0 .LBB48_2005
; %bb.2003:
	global_load_b64 v[20:21], v[18:19], off
	s_mov_b32 s13, 0
	s_wait_loadcnt 0x0
	v_cvt_f32_f64_e32 v3, v[20:21]
	s_delay_alu instid0(VALU_DEP_1) | instskip(SKIP_1) | instid1(VALU_DEP_2)
	v_bfe_u32 v5, v3, 16, 1
	v_cmp_o_f32_e32 vcc_lo, v3, v3
	v_add3_u32 v5, v3, v5, 0x7fff
	s_delay_alu instid0(VALU_DEP_1) | instskip(NEXT) | instid1(VALU_DEP_1)
	v_lshrrev_b32_e32 v5, 16, v5
	v_cndmask_b32_e32 v3, 0x7fc0, v5, vcc_lo
	s_branch .LBB48_2006
.LBB48_2004:
	s_mov_b32 s13, -1
                                        ; implicit-def: $vgpr3
	s_branch .LBB48_2009
.LBB48_2005:
	s_mov_b32 s13, -1
                                        ; implicit-def: $vgpr3
.LBB48_2006:
	s_delay_alu instid0(SALU_CYCLE_1)
	s_and_not1_b32 vcc_lo, exec_lo, s13
	s_cbranch_vccnz .LBB48_2008
; %bb.2007:
	s_wait_loadcnt 0x0
	global_load_b32 v3, v[18:19], off
	s_wait_loadcnt 0x0
	v_bfe_u32 v5, v3, 16, 1
	v_cmp_o_f32_e32 vcc_lo, v3, v3
	s_delay_alu instid0(VALU_DEP_2) | instskip(NEXT) | instid1(VALU_DEP_1)
	v_add3_u32 v5, v3, v5, 0x7fff
	v_lshrrev_b32_e32 v5, 16, v5
	s_delay_alu instid0(VALU_DEP_1)
	v_cndmask_b32_e32 v3, 0x7fc0, v5, vcc_lo
.LBB48_2008:
	s_mov_b32 s13, 0
.LBB48_2009:
	s_delay_alu instid0(SALU_CYCLE_1)
	s_and_not1_b32 vcc_lo, exec_lo, s13
	s_cbranch_vccnz .LBB48_2011
; %bb.2010:
	s_wait_loadcnt 0x0
	global_load_u16 v3, v[18:19], off
	s_wait_loadcnt 0x0
	v_cvt_f32_f16_e32 v5, v3
	v_cmp_o_f16_e32 vcc_lo, v3, v3
	s_delay_alu instid0(VALU_DEP_2) | instskip(NEXT) | instid1(VALU_DEP_1)
	v_bfe_u32 v7, v5, 16, 1
	v_add3_u32 v5, v5, v7, 0x7fff
	s_delay_alu instid0(VALU_DEP_1) | instskip(NEXT) | instid1(VALU_DEP_1)
	v_lshrrev_b32_e32 v5, 16, v5
	v_cndmask_b32_e32 v3, 0x7fc0, v5, vcc_lo
.LBB48_2011:
	s_mov_b32 s13, 0
.LBB48_2012:
	s_delay_alu instid0(SALU_CYCLE_1)
	s_and_not1_b32 vcc_lo, exec_lo, s13
	s_cbranch_vccnz .LBB48_2032
; %bb.2013:
	s_cmp_lt_i32 s11, 2
	s_cbranch_scc1 .LBB48_2017
; %bb.2014:
	s_cmp_lt_i32 s11, 3
	s_cbranch_scc1 .LBB48_2018
; %bb.2015:
	s_cmp_gt_i32 s11, 3
	s_cbranch_scc0 .LBB48_2019
; %bb.2016:
	global_load_b64 v[20:21], v[18:19], off
	s_mov_b32 s13, 0
	s_wait_loadcnt 0x0
	v_xor_b32_e32 v3, v20, v21
	v_cls_i32_e32 v5, v21
	s_delay_alu instid0(VALU_DEP_2) | instskip(NEXT) | instid1(VALU_DEP_1)
	v_ashrrev_i32_e32 v3, 31, v3
	v_add_nc_u32_e32 v3, 32, v3
	s_delay_alu instid0(VALU_DEP_1) | instskip(NEXT) | instid1(VALU_DEP_1)
	v_add_min_u32_e64 v3, v5, -1, v3
	v_lshlrev_b64_e32 v[20:21], v3, v[20:21]
	v_sub_nc_u32_e32 v3, 32, v3
	s_delay_alu instid0(VALU_DEP_2) | instskip(NEXT) | instid1(VALU_DEP_1)
	v_min_u32_e32 v5, 1, v20
	v_or_b32_e32 v5, v21, v5
	s_delay_alu instid0(VALU_DEP_1) | instskip(NEXT) | instid1(VALU_DEP_1)
	v_cvt_f32_i32_e32 v5, v5
	v_ldexp_f32 v3, v5, v3
	s_delay_alu instid0(VALU_DEP_1) | instskip(NEXT) | instid1(VALU_DEP_1)
	v_bfe_u32 v5, v3, 16, 1
	v_add3_u32 v3, v3, v5, 0x7fff
	s_delay_alu instid0(VALU_DEP_1)
	v_lshrrev_b32_e32 v3, 16, v3
	s_branch .LBB48_2020
.LBB48_2017:
	s_mov_b32 s13, -1
                                        ; implicit-def: $vgpr3
	s_branch .LBB48_2026
.LBB48_2018:
	s_mov_b32 s13, -1
                                        ; implicit-def: $vgpr3
	s_branch .LBB48_2023
.LBB48_2019:
	s_mov_b32 s13, -1
                                        ; implicit-def: $vgpr3
.LBB48_2020:
	s_delay_alu instid0(SALU_CYCLE_1)
	s_and_not1_b32 vcc_lo, exec_lo, s13
	s_cbranch_vccnz .LBB48_2022
; %bb.2021:
	s_wait_loadcnt 0x0
	global_load_b32 v3, v[18:19], off
	s_wait_loadcnt 0x0
	v_cvt_f32_i32_e32 v3, v3
	s_delay_alu instid0(VALU_DEP_1) | instskip(NEXT) | instid1(VALU_DEP_1)
	v_bfe_u32 v5, v3, 16, 1
	v_add3_u32 v3, v3, v5, 0x7fff
	s_delay_alu instid0(VALU_DEP_1)
	v_lshrrev_b32_e32 v3, 16, v3
.LBB48_2022:
	s_mov_b32 s13, 0
.LBB48_2023:
	s_delay_alu instid0(SALU_CYCLE_1)
	s_and_not1_b32 vcc_lo, exec_lo, s13
	s_cbranch_vccnz .LBB48_2025
; %bb.2024:
	s_wait_loadcnt 0x0
	global_load_i16 v3, v[18:19], off
	s_wait_loadcnt 0x0
	v_cvt_f32_i32_e32 v3, v3
	s_delay_alu instid0(VALU_DEP_1) | instskip(NEXT) | instid1(VALU_DEP_1)
	v_bfe_u32 v5, v3, 16, 1
	v_add3_u32 v3, v3, v5, 0x7fff
	s_delay_alu instid0(VALU_DEP_1)
	v_lshrrev_b32_e32 v3, 16, v3
.LBB48_2025:
	s_mov_b32 s13, 0
.LBB48_2026:
	s_delay_alu instid0(SALU_CYCLE_1)
	s_and_not1_b32 vcc_lo, exec_lo, s13
	s_cbranch_vccnz .LBB48_2032
; %bb.2027:
	s_cmp_gt_i32 s11, 0
	s_mov_b32 s13, 0
	s_cbranch_scc0 .LBB48_2029
; %bb.2028:
	s_wait_loadcnt 0x0
	global_load_i8 v3, v[18:19], off
	s_wait_loadcnt 0x0
	v_cvt_f32_i32_e32 v3, v3
	s_delay_alu instid0(VALU_DEP_1) | instskip(NEXT) | instid1(VALU_DEP_1)
	v_bfe_u32 v5, v3, 16, 1
	v_add3_u32 v3, v3, v5, 0x7fff
	s_delay_alu instid0(VALU_DEP_1)
	v_lshrrev_b32_e32 v3, 16, v3
	s_branch .LBB48_2030
.LBB48_2029:
	s_mov_b32 s13, -1
                                        ; implicit-def: $vgpr3
.LBB48_2030:
	s_delay_alu instid0(SALU_CYCLE_1)
	s_and_not1_b32 vcc_lo, exec_lo, s13
	s_cbranch_vccnz .LBB48_2032
; %bb.2031:
	s_wait_loadcnt 0x0
	global_load_u8 v3, v[18:19], off
	s_wait_loadcnt 0x0
	v_cvt_f32_ubyte0_e32 v3, v3
	s_delay_alu instid0(VALU_DEP_1) | instskip(NEXT) | instid1(VALU_DEP_1)
	v_bfe_u32 v5, v3, 16, 1
	v_add3_u32 v3, v3, v5, 0x7fff
	s_delay_alu instid0(VALU_DEP_1)
	v_lshrrev_b32_e32 v3, 16, v3
.LBB48_2032:
.LBB48_2033:
	v_mov_b32_e32 v17, 0
	s_and_b32 s12, 0xffff, s12
	s_delay_alu instid0(SALU_CYCLE_1) | instskip(NEXT) | instid1(VALU_DEP_1)
	s_cmp_lt_i32 s12, 11
	v_add_nc_u64_e32 v[16:17], s[0:1], v[16:17]
	s_cbranch_scc1 .LBB48_2040
; %bb.2034:
	s_cmp_gt_i32 s12, 25
	s_mov_b32 s14, 0
	s_cbranch_scc0 .LBB48_2041
; %bb.2035:
	s_cmp_gt_i32 s12, 28
	s_cbranch_scc0 .LBB48_2042
; %bb.2036:
	s_cmp_gt_i32 s12, 43
	;; [unrolled: 3-line block ×3, first 2 shown]
	s_cbranch_scc0 .LBB48_2045
; %bb.2038:
	s_cmp_eq_u32 s12, 46
	s_mov_b32 s16, 0
	s_cbranch_scc0 .LBB48_2046
; %bb.2039:
	global_load_b32 v5, v[16:17], off
	s_mov_b32 s13, 0
	s_mov_b32 s15, -1
	s_branch .LBB48_2048
.LBB48_2040:
	s_mov_b32 s13, -1
	s_mov_b32 s15, 0
                                        ; implicit-def: $vgpr5
	s_branch .LBB48_2114
.LBB48_2041:
	s_mov_b32 s16, -1
	s_mov_b32 s15, 0
	s_mov_b32 s13, 0
                                        ; implicit-def: $vgpr5
	s_branch .LBB48_2077
.LBB48_2042:
	s_mov_b32 s16, -1
	s_mov_b32 s15, 0
	s_mov_b32 s13, 0
                                        ; implicit-def: $vgpr5
	s_branch .LBB48_2058
.LBB48_2043:
	s_mov_b32 s16, -1
	s_mov_b32 s15, 0
	s_mov_b32 s13, 0
                                        ; implicit-def: $vgpr5
	s_branch .LBB48_2053
.LBB48_2044:
	s_or_b32 s10, s10, exec_lo
	s_trap 2
	s_cbranch_execz .LBB48_1983
	s_branch .LBB48_1984
.LBB48_2045:
	s_mov_b32 s16, -1
	s_mov_b32 s15, 0
	s_mov_b32 s13, 0
	s_branch .LBB48_2047
.LBB48_2046:
	s_mov_b32 s13, -1
	s_mov_b32 s15, 0
.LBB48_2047:
                                        ; implicit-def: $vgpr5
.LBB48_2048:
	s_and_b32 vcc_lo, exec_lo, s16
	s_cbranch_vccz .LBB48_2052
; %bb.2049:
	s_cmp_eq_u32 s12, 44
	s_cbranch_scc0 .LBB48_2051
; %bb.2050:
	s_wait_loadcnt 0x0
	global_load_u8 v5, v[16:17], off
	s_mov_b32 s13, 0
	s_mov_b32 s15, -1
	s_wait_loadcnt 0x0
	v_lshlrev_b32_e32 v7, 23, v5
	v_cmp_ne_u32_e32 vcc_lo, 0xff, v5
	s_delay_alu instid0(VALU_DEP_2) | instskip(SKIP_1) | instid1(VALU_DEP_2)
	v_cndmask_b32_e32 v7, 0x7f800001, v7, vcc_lo
	v_cmp_ne_u32_e32 vcc_lo, 0, v5
	v_cndmask_b32_e32 v5, 0x400000, v7, vcc_lo
	s_delay_alu instid0(VALU_DEP_1) | instskip(SKIP_1) | instid1(VALU_DEP_2)
	v_add_nc_u32_e32 v7, 0x7fff, v5
	v_cmp_o_f32_e32 vcc_lo, v5, v5
	v_lshrrev_b32_e32 v7, 16, v7
	s_delay_alu instid0(VALU_DEP_1)
	v_cndmask_b32_e32 v5, 0x7fc0, v7, vcc_lo
	s_branch .LBB48_2052
.LBB48_2051:
	s_mov_b32 s13, -1
                                        ; implicit-def: $vgpr5
.LBB48_2052:
	s_mov_b32 s16, 0
.LBB48_2053:
	s_delay_alu instid0(SALU_CYCLE_1)
	s_and_b32 vcc_lo, exec_lo, s16
	s_cbranch_vccz .LBB48_2057
; %bb.2054:
	s_cmp_eq_u32 s12, 29
	s_cbranch_scc0 .LBB48_2056
; %bb.2055:
	global_load_b64 v[18:19], v[16:17], off
	s_mov_b32 s13, 0
	s_mov_b32 s15, -1
	s_mov_b32 s16, 0
	s_wait_loadcnt 0x0
	v_clz_i32_u32_e32 v5, v19
	s_delay_alu instid0(VALU_DEP_1) | instskip(NEXT) | instid1(VALU_DEP_1)
	v_min_u32_e32 v5, 32, v5
	v_lshlrev_b64_e32 v[18:19], v5, v[18:19]
	v_sub_nc_u32_e32 v5, 32, v5
	s_delay_alu instid0(VALU_DEP_2) | instskip(NEXT) | instid1(VALU_DEP_1)
	v_min_u32_e32 v7, 1, v18
	v_or_b32_e32 v7, v19, v7
	s_delay_alu instid0(VALU_DEP_1) | instskip(NEXT) | instid1(VALU_DEP_1)
	v_cvt_f32_u32_e32 v7, v7
	v_ldexp_f32 v5, v7, v5
	s_delay_alu instid0(VALU_DEP_1) | instskip(NEXT) | instid1(VALU_DEP_1)
	v_bfe_u32 v7, v5, 16, 1
	v_add3_u32 v5, v5, v7, 0x7fff
	s_delay_alu instid0(VALU_DEP_1)
	v_lshrrev_b32_e32 v5, 16, v5
	s_branch .LBB48_2058
.LBB48_2056:
	s_mov_b32 s13, -1
                                        ; implicit-def: $vgpr5
.LBB48_2057:
	s_mov_b32 s16, 0
.LBB48_2058:
	s_delay_alu instid0(SALU_CYCLE_1)
	s_and_b32 vcc_lo, exec_lo, s16
	s_cbranch_vccz .LBB48_2076
; %bb.2059:
	s_cmp_lt_i32 s12, 27
	s_cbranch_scc1 .LBB48_2062
; %bb.2060:
	s_cmp_gt_i32 s12, 27
	s_cbranch_scc0 .LBB48_2063
; %bb.2061:
	s_wait_loadcnt 0x0
	global_load_b32 v5, v[16:17], off
	s_mov_b32 s15, 0
	s_wait_loadcnt 0x0
	v_cvt_f32_u32_e32 v5, v5
	s_delay_alu instid0(VALU_DEP_1) | instskip(NEXT) | instid1(VALU_DEP_1)
	v_bfe_u32 v7, v5, 16, 1
	v_add3_u32 v5, v5, v7, 0x7fff
	s_delay_alu instid0(VALU_DEP_1)
	v_lshrrev_b32_e32 v5, 16, v5
	s_branch .LBB48_2064
.LBB48_2062:
	s_mov_b32 s15, -1
                                        ; implicit-def: $vgpr5
	s_branch .LBB48_2067
.LBB48_2063:
	s_mov_b32 s15, -1
                                        ; implicit-def: $vgpr5
.LBB48_2064:
	s_delay_alu instid0(SALU_CYCLE_1)
	s_and_not1_b32 vcc_lo, exec_lo, s15
	s_cbranch_vccnz .LBB48_2066
; %bb.2065:
	s_wait_loadcnt 0x0
	global_load_u16 v5, v[16:17], off
	s_wait_loadcnt 0x0
	v_cvt_f32_u32_e32 v5, v5
	s_delay_alu instid0(VALU_DEP_1) | instskip(NEXT) | instid1(VALU_DEP_1)
	v_bfe_u32 v7, v5, 16, 1
	v_add3_u32 v5, v5, v7, 0x7fff
	s_delay_alu instid0(VALU_DEP_1)
	v_lshrrev_b32_e32 v5, 16, v5
.LBB48_2066:
	s_mov_b32 s15, 0
.LBB48_2067:
	s_delay_alu instid0(SALU_CYCLE_1)
	s_and_not1_b32 vcc_lo, exec_lo, s15
	s_cbranch_vccnz .LBB48_2075
; %bb.2068:
	s_wait_loadcnt 0x0
	global_load_u8 v5, v[16:17], off
	s_mov_b32 s15, 0
	s_mov_b32 s16, exec_lo
	s_wait_loadcnt 0x0
	v_cmpx_lt_i16_e32 0x7f, v5
	s_xor_b32 s16, exec_lo, s16
	s_cbranch_execz .LBB48_2089
; %bb.2069:
	s_mov_b32 s15, -1
	s_mov_b32 s17, exec_lo
	v_cmpx_eq_u16_e32 0x80, v5
; %bb.2070:
	s_xor_b32 s15, exec_lo, -1
; %bb.2071:
	s_or_b32 exec_lo, exec_lo, s17
	s_delay_alu instid0(SALU_CYCLE_1)
	s_and_b32 s15, s15, exec_lo
	s_or_saveexec_b32 s16, s16
	v_mov_b32_e32 v7, 0x7f800001
	s_xor_b32 exec_lo, exec_lo, s16
	s_cbranch_execnz .LBB48_2090
.LBB48_2072:
	s_or_b32 exec_lo, exec_lo, s16
	s_and_saveexec_b32 s16, s15
	s_cbranch_execz .LBB48_2074
.LBB48_2073:
	v_and_b32_e32 v7, 0xffff, v5
	s_delay_alu instid0(VALU_DEP_1) | instskip(SKIP_1) | instid1(VALU_DEP_2)
	v_dual_lshlrev_b32 v5, 24, v5 :: v_dual_bitop2_b32 v9, 7, v7 bitop3:0x40
	v_bfe_u32 v15, v7, 3, 4
	v_and_b32_e32 v5, 0x80000000, v5
	s_delay_alu instid0(VALU_DEP_3) | instskip(NEXT) | instid1(VALU_DEP_3)
	v_clz_i32_u32_e32 v11, v9
	v_cmp_eq_u32_e32 vcc_lo, 0, v15
	s_delay_alu instid0(VALU_DEP_2) | instskip(NEXT) | instid1(VALU_DEP_1)
	v_min_u32_e32 v11, 32, v11
	v_subrev_nc_u32_e32 v13, 28, v11
	v_sub_nc_u32_e32 v11, 29, v11
	s_delay_alu instid0(VALU_DEP_2) | instskip(NEXT) | instid1(VALU_DEP_2)
	v_lshlrev_b32_e32 v7, v13, v7
	v_cndmask_b32_e32 v11, v15, v11, vcc_lo
	s_delay_alu instid0(VALU_DEP_2) | instskip(NEXT) | instid1(VALU_DEP_1)
	v_and_b32_e32 v7, 7, v7
	v_cndmask_b32_e32 v7, v9, v7, vcc_lo
	s_delay_alu instid0(VALU_DEP_3) | instskip(NEXT) | instid1(VALU_DEP_2)
	v_lshl_add_u32 v9, v11, 23, 0x3b800000
	v_lshlrev_b32_e32 v7, 20, v7
	s_delay_alu instid0(VALU_DEP_1)
	v_or3_b32 v7, v5, v9, v7
.LBB48_2074:
	s_or_b32 exec_lo, exec_lo, s16
	s_delay_alu instid0(VALU_DEP_1) | instskip(SKIP_1) | instid1(VALU_DEP_2)
	v_bfe_u32 v5, v7, 16, 1
	v_cmp_o_f32_e32 vcc_lo, v7, v7
	v_add3_u32 v5, v7, v5, 0x7fff
	s_delay_alu instid0(VALU_DEP_1) | instskip(NEXT) | instid1(VALU_DEP_1)
	v_lshrrev_b32_e32 v5, 16, v5
	v_cndmask_b32_e32 v5, 0x7fc0, v5, vcc_lo
.LBB48_2075:
	s_mov_b32 s15, -1
.LBB48_2076:
	s_mov_b32 s16, 0
.LBB48_2077:
	s_delay_alu instid0(SALU_CYCLE_1)
	s_and_b32 vcc_lo, exec_lo, s16
	s_cbranch_vccz .LBB48_2110
; %bb.2078:
	s_cmp_gt_i32 s12, 22
	s_cbranch_scc0 .LBB48_2088
; %bb.2079:
	s_cmp_lt_i32 s12, 24
	s_cbranch_scc1 .LBB48_2091
; %bb.2080:
	s_cmp_gt_i32 s12, 24
	s_cbranch_scc0 .LBB48_2092
; %bb.2081:
	s_wait_loadcnt 0x0
	global_load_u8 v5, v[16:17], off
	s_mov_b32 s15, exec_lo
	s_wait_loadcnt 0x0
	v_cmpx_lt_i16_e32 0x7f, v5
	s_xor_b32 s15, exec_lo, s15
	s_cbranch_execz .LBB48_2104
; %bb.2082:
	s_mov_b32 s14, -1
	s_mov_b32 s16, exec_lo
	v_cmpx_eq_u16_e32 0x80, v5
; %bb.2083:
	s_xor_b32 s14, exec_lo, -1
; %bb.2084:
	s_or_b32 exec_lo, exec_lo, s16
	s_delay_alu instid0(SALU_CYCLE_1)
	s_and_b32 s14, s14, exec_lo
	s_or_saveexec_b32 s15, s15
	v_mov_b32_e32 v7, 0x7f800001
	s_xor_b32 exec_lo, exec_lo, s15
	s_cbranch_execnz .LBB48_2105
.LBB48_2085:
	s_or_b32 exec_lo, exec_lo, s15
	s_and_saveexec_b32 s15, s14
	s_cbranch_execz .LBB48_2087
.LBB48_2086:
	v_and_b32_e32 v7, 0xffff, v5
	s_delay_alu instid0(VALU_DEP_1) | instskip(SKIP_1) | instid1(VALU_DEP_2)
	v_dual_lshlrev_b32 v5, 24, v5 :: v_dual_bitop2_b32 v9, 3, v7 bitop3:0x40
	v_bfe_u32 v15, v7, 2, 5
	v_and_b32_e32 v5, 0x80000000, v5
	s_delay_alu instid0(VALU_DEP_3) | instskip(NEXT) | instid1(VALU_DEP_3)
	v_clz_i32_u32_e32 v11, v9
	v_cmp_eq_u32_e32 vcc_lo, 0, v15
	s_delay_alu instid0(VALU_DEP_2) | instskip(NEXT) | instid1(VALU_DEP_1)
	v_min_u32_e32 v11, 32, v11
	v_subrev_nc_u32_e32 v13, 29, v11
	v_sub_nc_u32_e32 v11, 30, v11
	s_delay_alu instid0(VALU_DEP_2) | instskip(NEXT) | instid1(VALU_DEP_2)
	v_lshlrev_b32_e32 v7, v13, v7
	v_cndmask_b32_e32 v11, v15, v11, vcc_lo
	s_delay_alu instid0(VALU_DEP_2) | instskip(NEXT) | instid1(VALU_DEP_1)
	v_and_b32_e32 v7, 3, v7
	v_cndmask_b32_e32 v7, v9, v7, vcc_lo
	s_delay_alu instid0(VALU_DEP_3) | instskip(NEXT) | instid1(VALU_DEP_2)
	v_lshl_add_u32 v9, v11, 23, 0x37800000
	v_lshlrev_b32_e32 v7, 21, v7
	s_delay_alu instid0(VALU_DEP_1)
	v_or3_b32 v7, v5, v9, v7
.LBB48_2087:
	s_or_b32 exec_lo, exec_lo, s15
	s_delay_alu instid0(VALU_DEP_1) | instskip(SKIP_2) | instid1(VALU_DEP_2)
	v_bfe_u32 v5, v7, 16, 1
	v_cmp_o_f32_e32 vcc_lo, v7, v7
	s_mov_b32 s14, 0
	v_add3_u32 v5, v7, v5, 0x7fff
	s_delay_alu instid0(VALU_DEP_1) | instskip(NEXT) | instid1(VALU_DEP_1)
	v_lshrrev_b32_e32 v5, 16, v5
	v_cndmask_b32_e32 v5, 0x7fc0, v5, vcc_lo
	s_branch .LBB48_2093
.LBB48_2088:
	s_mov_b32 s14, -1
                                        ; implicit-def: $vgpr5
	s_branch .LBB48_2099
.LBB48_2089:
	s_or_saveexec_b32 s16, s16
	v_mov_b32_e32 v7, 0x7f800001
	s_xor_b32 exec_lo, exec_lo, s16
	s_cbranch_execz .LBB48_2072
.LBB48_2090:
	v_cmp_ne_u16_e32 vcc_lo, 0, v5
	v_mov_b32_e32 v7, 0
	s_and_not1_b32 s15, s15, exec_lo
	s_and_b32 s17, vcc_lo, exec_lo
	s_delay_alu instid0(SALU_CYCLE_1)
	s_or_b32 s15, s15, s17
	s_or_b32 exec_lo, exec_lo, s16
	s_and_saveexec_b32 s16, s15
	s_cbranch_execnz .LBB48_2073
	s_branch .LBB48_2074
.LBB48_2091:
	s_mov_b32 s14, -1
                                        ; implicit-def: $vgpr5
	s_branch .LBB48_2096
.LBB48_2092:
	s_mov_b32 s14, -1
                                        ; implicit-def: $vgpr5
.LBB48_2093:
	s_delay_alu instid0(SALU_CYCLE_1)
	s_and_b32 vcc_lo, exec_lo, s14
	s_cbranch_vccz .LBB48_2095
; %bb.2094:
	s_wait_loadcnt 0x0
	global_load_u8 v5, v[16:17], off
	s_wait_loadcnt 0x0
	v_lshlrev_b32_e32 v5, 24, v5
	s_delay_alu instid0(VALU_DEP_1) | instskip(NEXT) | instid1(VALU_DEP_1)
	v_and_b32_e32 v7, 0x7f000000, v5
	v_clz_i32_u32_e32 v9, v7
	v_add_nc_u32_e32 v13, 0x1000000, v7
	v_cmp_ne_u32_e32 vcc_lo, 0, v7
	s_delay_alu instid0(VALU_DEP_3) | instskip(NEXT) | instid1(VALU_DEP_1)
	v_min_u32_e32 v9, 32, v9
	v_sub_nc_u32_e64 v9, v9, 4 clamp
	s_delay_alu instid0(VALU_DEP_1) | instskip(NEXT) | instid1(VALU_DEP_1)
	v_dual_lshlrev_b32 v11, v9, v7 :: v_dual_lshlrev_b32 v9, 23, v9
	v_lshrrev_b32_e32 v11, 4, v11
	s_delay_alu instid0(VALU_DEP_1) | instskip(SKIP_1) | instid1(VALU_DEP_2)
	v_sub_nc_u32_e32 v9, v11, v9
	v_ashrrev_i32_e32 v11, 8, v13
	v_add_nc_u32_e32 v9, 0x3c000000, v9
	s_delay_alu instid0(VALU_DEP_1) | instskip(NEXT) | instid1(VALU_DEP_1)
	v_and_or_b32 v9, 0x7f800000, v11, v9
	v_cndmask_b32_e32 v7, 0, v9, vcc_lo
	s_delay_alu instid0(VALU_DEP_1) | instskip(SKIP_1) | instid1(VALU_DEP_2)
	v_and_or_b32 v5, 0x80000000, v5, v7
	v_bfe_u32 v7, v7, 16, 1
	v_cmp_o_f32_e32 vcc_lo, v5, v5
	s_delay_alu instid0(VALU_DEP_2) | instskip(NEXT) | instid1(VALU_DEP_1)
	v_add3_u32 v7, v5, v7, 0x7fff
	v_lshrrev_b32_e32 v7, 16, v7
	s_delay_alu instid0(VALU_DEP_1)
	v_cndmask_b32_e32 v5, 0x7fc0, v7, vcc_lo
.LBB48_2095:
	s_mov_b32 s14, 0
.LBB48_2096:
	s_delay_alu instid0(SALU_CYCLE_1)
	s_and_not1_b32 vcc_lo, exec_lo, s14
	s_cbranch_vccnz .LBB48_2098
; %bb.2097:
	s_wait_loadcnt 0x0
	global_load_u8 v5, v[16:17], off
	s_wait_loadcnt 0x0
	v_lshlrev_b32_e32 v7, 25, v5
	v_lshlrev_b16 v5, 8, v5
	s_delay_alu instid0(VALU_DEP_1) | instskip(SKIP_1) | instid1(VALU_DEP_2)
	v_and_or_b32 v11, 0x7f00, v5, 0.5
	v_bfe_i32 v5, v5, 0, 16
	v_add_f32_e32 v11, -0.5, v11
	v_lshrrev_b32_e32 v9, 4, v7
	v_cmp_gt_u32_e32 vcc_lo, 0x8000000, v7
	s_delay_alu instid0(VALU_DEP_2) | instskip(NEXT) | instid1(VALU_DEP_1)
	v_or_b32_e32 v9, 0x70000000, v9
	v_mul_f32_e32 v9, 0x7800000, v9
	s_delay_alu instid0(VALU_DEP_1) | instskip(NEXT) | instid1(VALU_DEP_1)
	v_cndmask_b32_e32 v7, v9, v11, vcc_lo
	v_and_or_b32 v5, 0x80000000, v5, v7
	v_bfe_u32 v7, v7, 16, 1
	s_delay_alu instid0(VALU_DEP_2) | instskip(NEXT) | instid1(VALU_DEP_2)
	v_cmp_o_f32_e32 vcc_lo, v5, v5
	v_add3_u32 v7, v5, v7, 0x7fff
	s_delay_alu instid0(VALU_DEP_1) | instskip(NEXT) | instid1(VALU_DEP_1)
	v_lshrrev_b32_e32 v7, 16, v7
	v_cndmask_b32_e32 v5, 0x7fc0, v7, vcc_lo
.LBB48_2098:
	s_mov_b32 s14, 0
	s_mov_b32 s15, -1
.LBB48_2099:
	s_and_not1_b32 vcc_lo, exec_lo, s14
	s_mov_b32 s14, 0
	s_cbranch_vccnz .LBB48_2110
; %bb.2100:
	s_cmp_gt_i32 s12, 14
	s_cbranch_scc0 .LBB48_2103
; %bb.2101:
	s_cmp_eq_u32 s12, 15
	s_cbranch_scc0 .LBB48_2106
; %bb.2102:
	s_wait_loadcnt 0x0
	global_load_u16 v5, v[16:17], off
	s_mov_b32 s13, 0
	s_mov_b32 s15, -1
	s_branch .LBB48_2108
.LBB48_2103:
	s_mov_b32 s14, -1
	s_branch .LBB48_2107
.LBB48_2104:
	s_or_saveexec_b32 s15, s15
	v_mov_b32_e32 v7, 0x7f800001
	s_xor_b32 exec_lo, exec_lo, s15
	s_cbranch_execz .LBB48_2085
.LBB48_2105:
	v_cmp_ne_u16_e32 vcc_lo, 0, v5
	v_mov_b32_e32 v7, 0
	s_and_not1_b32 s14, s14, exec_lo
	s_and_b32 s16, vcc_lo, exec_lo
	s_delay_alu instid0(SALU_CYCLE_1)
	s_or_b32 s14, s14, s16
	s_or_b32 exec_lo, exec_lo, s15
	s_and_saveexec_b32 s15, s14
	s_cbranch_execnz .LBB48_2086
	s_branch .LBB48_2087
.LBB48_2106:
	s_mov_b32 s13, -1
.LBB48_2107:
                                        ; implicit-def: $vgpr5
.LBB48_2108:
	s_and_b32 vcc_lo, exec_lo, s14
	s_mov_b32 s14, 0
	s_cbranch_vccz .LBB48_2110
; %bb.2109:
	s_cmp_lg_u32 s12, 11
	s_mov_b32 s14, -1
	s_cselect_b32 s13, -1, 0
.LBB48_2110:
	s_delay_alu instid0(SALU_CYCLE_1)
	s_and_b32 vcc_lo, exec_lo, s13
	s_cbranch_vccnz .LBB48_2177
; %bb.2111:
	s_and_not1_b32 vcc_lo, exec_lo, s14
	s_cbranch_vccnz .LBB48_2113
.LBB48_2112:
	s_wait_loadcnt 0x0
	global_load_u8 v5, v[16:17], off
	s_mov_b32 s15, -1
	s_wait_loadcnt 0x0
	v_cmp_ne_u16_e32 vcc_lo, 0, v5
	v_cndmask_b32_e64 v5, 0, 1.0, vcc_lo
	s_delay_alu instid0(VALU_DEP_1)
	v_lshrrev_b32_e32 v5, 16, v5
.LBB48_2113:
	s_mov_b32 s13, 0
.LBB48_2114:
	s_delay_alu instid0(SALU_CYCLE_1)
	s_and_b32 vcc_lo, exec_lo, s13
	s_cbranch_vccz .LBB48_2163
; %bb.2115:
	s_cmp_lt_i32 s12, 5
	s_cbranch_scc1 .LBB48_2120
; %bb.2116:
	s_cmp_lt_i32 s12, 8
	s_cbranch_scc1 .LBB48_2121
	;; [unrolled: 3-line block ×3, first 2 shown]
; %bb.2118:
	s_cmp_gt_i32 s12, 9
	s_cbranch_scc0 .LBB48_2123
; %bb.2119:
	global_load_b64 v[18:19], v[16:17], off
	s_mov_b32 s13, 0
	s_wait_loadcnt 0x0
	v_cvt_f32_f64_e32 v5, v[18:19]
	s_delay_alu instid0(VALU_DEP_1) | instskip(SKIP_1) | instid1(VALU_DEP_2)
	v_bfe_u32 v7, v5, 16, 1
	v_cmp_o_f32_e32 vcc_lo, v5, v5
	v_add3_u32 v7, v5, v7, 0x7fff
	s_delay_alu instid0(VALU_DEP_1) | instskip(NEXT) | instid1(VALU_DEP_1)
	v_lshrrev_b32_e32 v7, 16, v7
	v_cndmask_b32_e32 v5, 0x7fc0, v7, vcc_lo
	s_branch .LBB48_2124
.LBB48_2120:
	s_mov_b32 s13, -1
                                        ; implicit-def: $vgpr5
	s_branch .LBB48_2142
.LBB48_2121:
	s_mov_b32 s13, -1
                                        ; implicit-def: $vgpr5
	s_branch .LBB48_2130
.LBB48_2122:
	s_mov_b32 s13, -1
                                        ; implicit-def: $vgpr5
	s_branch .LBB48_2127
.LBB48_2123:
	s_mov_b32 s13, -1
                                        ; implicit-def: $vgpr5
.LBB48_2124:
	s_delay_alu instid0(SALU_CYCLE_1)
	s_and_not1_b32 vcc_lo, exec_lo, s13
	s_cbranch_vccnz .LBB48_2126
; %bb.2125:
	s_wait_loadcnt 0x0
	global_load_b32 v5, v[16:17], off
	s_wait_loadcnt 0x0
	v_bfe_u32 v7, v5, 16, 1
	v_cmp_o_f32_e32 vcc_lo, v5, v5
	s_delay_alu instid0(VALU_DEP_2) | instskip(NEXT) | instid1(VALU_DEP_1)
	v_add3_u32 v7, v5, v7, 0x7fff
	v_lshrrev_b32_e32 v7, 16, v7
	s_delay_alu instid0(VALU_DEP_1)
	v_cndmask_b32_e32 v5, 0x7fc0, v7, vcc_lo
.LBB48_2126:
	s_mov_b32 s13, 0
.LBB48_2127:
	s_delay_alu instid0(SALU_CYCLE_1)
	s_and_not1_b32 vcc_lo, exec_lo, s13
	s_cbranch_vccnz .LBB48_2129
; %bb.2128:
	s_wait_loadcnt 0x0
	global_load_b32 v5, v[16:17], off
	s_wait_loadcnt 0x0
	v_cvt_f32_f16_e32 v7, v5
	v_cmp_o_f16_e32 vcc_lo, v5, v5
	s_delay_alu instid0(VALU_DEP_2) | instskip(NEXT) | instid1(VALU_DEP_1)
	v_bfe_u32 v9, v7, 16, 1
	v_add3_u32 v7, v7, v9, 0x7fff
	s_delay_alu instid0(VALU_DEP_1) | instskip(NEXT) | instid1(VALU_DEP_1)
	v_lshrrev_b32_e32 v7, 16, v7
	v_cndmask_b32_e32 v5, 0x7fc0, v7, vcc_lo
.LBB48_2129:
	s_mov_b32 s13, 0
.LBB48_2130:
	s_delay_alu instid0(SALU_CYCLE_1)
	s_and_not1_b32 vcc_lo, exec_lo, s13
	s_cbranch_vccnz .LBB48_2141
; %bb.2131:
	s_cmp_lt_i32 s12, 6
	s_cbranch_scc1 .LBB48_2134
; %bb.2132:
	s_cmp_gt_i32 s12, 6
	s_cbranch_scc0 .LBB48_2135
; %bb.2133:
	global_load_b64 v[18:19], v[16:17], off
	s_mov_b32 s13, 0
	s_wait_loadcnt 0x0
	v_cvt_f32_f64_e32 v5, v[18:19]
	s_delay_alu instid0(VALU_DEP_1) | instskip(SKIP_1) | instid1(VALU_DEP_2)
	v_bfe_u32 v7, v5, 16, 1
	v_cmp_o_f32_e32 vcc_lo, v5, v5
	v_add3_u32 v7, v5, v7, 0x7fff
	s_delay_alu instid0(VALU_DEP_1) | instskip(NEXT) | instid1(VALU_DEP_1)
	v_lshrrev_b32_e32 v7, 16, v7
	v_cndmask_b32_e32 v5, 0x7fc0, v7, vcc_lo
	s_branch .LBB48_2136
.LBB48_2134:
	s_mov_b32 s13, -1
                                        ; implicit-def: $vgpr5
	s_branch .LBB48_2139
.LBB48_2135:
	s_mov_b32 s13, -1
                                        ; implicit-def: $vgpr5
.LBB48_2136:
	s_delay_alu instid0(SALU_CYCLE_1)
	s_and_not1_b32 vcc_lo, exec_lo, s13
	s_cbranch_vccnz .LBB48_2138
; %bb.2137:
	s_wait_loadcnt 0x0
	global_load_b32 v5, v[16:17], off
	s_wait_loadcnt 0x0
	v_bfe_u32 v7, v5, 16, 1
	v_cmp_o_f32_e32 vcc_lo, v5, v5
	s_delay_alu instid0(VALU_DEP_2) | instskip(NEXT) | instid1(VALU_DEP_1)
	v_add3_u32 v7, v5, v7, 0x7fff
	v_lshrrev_b32_e32 v7, 16, v7
	s_delay_alu instid0(VALU_DEP_1)
	v_cndmask_b32_e32 v5, 0x7fc0, v7, vcc_lo
.LBB48_2138:
	s_mov_b32 s13, 0
.LBB48_2139:
	s_delay_alu instid0(SALU_CYCLE_1)
	s_and_not1_b32 vcc_lo, exec_lo, s13
	s_cbranch_vccnz .LBB48_2141
; %bb.2140:
	s_wait_loadcnt 0x0
	global_load_u16 v5, v[16:17], off
	s_wait_loadcnt 0x0
	v_cvt_f32_f16_e32 v7, v5
	v_cmp_o_f16_e32 vcc_lo, v5, v5
	s_delay_alu instid0(VALU_DEP_2) | instskip(NEXT) | instid1(VALU_DEP_1)
	v_bfe_u32 v9, v7, 16, 1
	v_add3_u32 v7, v7, v9, 0x7fff
	s_delay_alu instid0(VALU_DEP_1) | instskip(NEXT) | instid1(VALU_DEP_1)
	v_lshrrev_b32_e32 v7, 16, v7
	v_cndmask_b32_e32 v5, 0x7fc0, v7, vcc_lo
.LBB48_2141:
	s_mov_b32 s13, 0
.LBB48_2142:
	s_delay_alu instid0(SALU_CYCLE_1)
	s_and_not1_b32 vcc_lo, exec_lo, s13
	s_cbranch_vccnz .LBB48_2162
; %bb.2143:
	s_cmp_lt_i32 s12, 2
	s_cbranch_scc1 .LBB48_2147
; %bb.2144:
	s_cmp_lt_i32 s12, 3
	s_cbranch_scc1 .LBB48_2148
; %bb.2145:
	s_cmp_gt_i32 s12, 3
	s_cbranch_scc0 .LBB48_2149
; %bb.2146:
	global_load_b64 v[18:19], v[16:17], off
	s_mov_b32 s13, 0
	s_wait_loadcnt 0x0
	v_xor_b32_e32 v5, v18, v19
	v_cls_i32_e32 v7, v19
	s_delay_alu instid0(VALU_DEP_2) | instskip(NEXT) | instid1(VALU_DEP_1)
	v_ashrrev_i32_e32 v5, 31, v5
	v_add_nc_u32_e32 v5, 32, v5
	s_delay_alu instid0(VALU_DEP_1) | instskip(NEXT) | instid1(VALU_DEP_1)
	v_add_min_u32_e64 v5, v7, -1, v5
	v_lshlrev_b64_e32 v[18:19], v5, v[18:19]
	v_sub_nc_u32_e32 v5, 32, v5
	s_delay_alu instid0(VALU_DEP_2) | instskip(NEXT) | instid1(VALU_DEP_1)
	v_min_u32_e32 v7, 1, v18
	v_or_b32_e32 v7, v19, v7
	s_delay_alu instid0(VALU_DEP_1) | instskip(NEXT) | instid1(VALU_DEP_1)
	v_cvt_f32_i32_e32 v7, v7
	v_ldexp_f32 v5, v7, v5
	s_delay_alu instid0(VALU_DEP_1) | instskip(NEXT) | instid1(VALU_DEP_1)
	v_bfe_u32 v7, v5, 16, 1
	v_add3_u32 v5, v5, v7, 0x7fff
	s_delay_alu instid0(VALU_DEP_1)
	v_lshrrev_b32_e32 v5, 16, v5
	s_branch .LBB48_2150
.LBB48_2147:
	s_mov_b32 s13, -1
                                        ; implicit-def: $vgpr5
	s_branch .LBB48_2156
.LBB48_2148:
	s_mov_b32 s13, -1
                                        ; implicit-def: $vgpr5
	s_branch .LBB48_2153
.LBB48_2149:
	s_mov_b32 s13, -1
                                        ; implicit-def: $vgpr5
.LBB48_2150:
	s_delay_alu instid0(SALU_CYCLE_1)
	s_and_not1_b32 vcc_lo, exec_lo, s13
	s_cbranch_vccnz .LBB48_2152
; %bb.2151:
	s_wait_loadcnt 0x0
	global_load_b32 v5, v[16:17], off
	s_wait_loadcnt 0x0
	v_cvt_f32_i32_e32 v5, v5
	s_delay_alu instid0(VALU_DEP_1) | instskip(NEXT) | instid1(VALU_DEP_1)
	v_bfe_u32 v7, v5, 16, 1
	v_add3_u32 v5, v5, v7, 0x7fff
	s_delay_alu instid0(VALU_DEP_1)
	v_lshrrev_b32_e32 v5, 16, v5
.LBB48_2152:
	s_mov_b32 s13, 0
.LBB48_2153:
	s_delay_alu instid0(SALU_CYCLE_1)
	s_and_not1_b32 vcc_lo, exec_lo, s13
	s_cbranch_vccnz .LBB48_2155
; %bb.2154:
	s_wait_loadcnt 0x0
	global_load_i16 v5, v[16:17], off
	s_wait_loadcnt 0x0
	v_cvt_f32_i32_e32 v5, v5
	s_delay_alu instid0(VALU_DEP_1) | instskip(NEXT) | instid1(VALU_DEP_1)
	v_bfe_u32 v7, v5, 16, 1
	v_add3_u32 v5, v5, v7, 0x7fff
	s_delay_alu instid0(VALU_DEP_1)
	v_lshrrev_b32_e32 v5, 16, v5
.LBB48_2155:
	s_mov_b32 s13, 0
.LBB48_2156:
	s_delay_alu instid0(SALU_CYCLE_1)
	s_and_not1_b32 vcc_lo, exec_lo, s13
	s_cbranch_vccnz .LBB48_2162
; %bb.2157:
	s_cmp_gt_i32 s12, 0
	s_mov_b32 s13, 0
	s_cbranch_scc0 .LBB48_2159
; %bb.2158:
	s_wait_loadcnt 0x0
	global_load_i8 v5, v[16:17], off
	s_wait_loadcnt 0x0
	v_cvt_f32_i32_e32 v5, v5
	s_delay_alu instid0(VALU_DEP_1) | instskip(NEXT) | instid1(VALU_DEP_1)
	v_bfe_u32 v7, v5, 16, 1
	v_add3_u32 v5, v5, v7, 0x7fff
	s_delay_alu instid0(VALU_DEP_1)
	v_lshrrev_b32_e32 v5, 16, v5
	s_branch .LBB48_2160
.LBB48_2159:
	s_mov_b32 s13, -1
                                        ; implicit-def: $vgpr5
.LBB48_2160:
	s_delay_alu instid0(SALU_CYCLE_1)
	s_and_not1_b32 vcc_lo, exec_lo, s13
	s_cbranch_vccnz .LBB48_2162
; %bb.2161:
	s_wait_loadcnt 0x0
	global_load_u8 v5, v[16:17], off
	s_wait_loadcnt 0x0
	v_cvt_f32_ubyte0_e32 v5, v5
	s_delay_alu instid0(VALU_DEP_1) | instskip(NEXT) | instid1(VALU_DEP_1)
	v_bfe_u32 v7, v5, 16, 1
	v_add3_u32 v5, v5, v7, 0x7fff
	s_delay_alu instid0(VALU_DEP_1)
	v_lshrrev_b32_e32 v5, 16, v5
.LBB48_2162:
	s_mov_b32 s15, -1
.LBB48_2163:
	s_delay_alu instid0(SALU_CYCLE_1)
	s_and_not1_b32 vcc_lo, exec_lo, s15
	s_cbranch_vccnz .LBB48_2774
; %bb.2164:
	s_wait_loadcnt 0x0
	v_lshlrev_b32_e32 v7, 16, v3
	s_mov_b32 s13, exec_lo
	s_wait_xcnt 0x0
	s_delay_alu instid0(VALU_DEP_1)
	v_cmpx_nlt_f32_e32 0, v7
	s_cbranch_execz .LBB48_2166
; %bb.2165:
	v_lshlrev_b32_e32 v3, 16, v5
	s_delay_alu instid0(VALU_DEP_1) | instskip(NEXT) | instid1(VALU_DEP_1)
	v_mul_f32_e32 v3, v7, v3
	v_bfe_u32 v5, v3, 16, 1
	v_cmp_o_f32_e32 vcc_lo, v3, v3
	s_delay_alu instid0(VALU_DEP_2) | instskip(NEXT) | instid1(VALU_DEP_1)
	v_add3_u32 v5, v3, v5, 0x7fff
	v_lshrrev_b32_e32 v5, 16, v5
	s_delay_alu instid0(VALU_DEP_1)
	v_cndmask_b32_e32 v3, 0x7fc0, v5, vcc_lo
.LBB48_2166:
	s_or_b32 exec_lo, exec_lo, s13
	v_mov_b32_e32 v15, 0
	s_cmp_lt_i32 s11, 11
	s_delay_alu instid0(VALU_DEP_1)
	v_add_nc_u64_e32 v[14:15], s[6:7], v[14:15]
	s_cbranch_scc1 .LBB48_2173
; %bb.2167:
	s_cmp_gt_i32 s11, 25
	s_mov_b32 s14, 0
	s_cbranch_scc0 .LBB48_2174
; %bb.2168:
	s_cmp_gt_i32 s11, 28
	s_cbranch_scc0 .LBB48_2175
; %bb.2169:
	s_cmp_gt_i32 s11, 43
	;; [unrolled: 3-line block ×3, first 2 shown]
	s_cbranch_scc0 .LBB48_2178
; %bb.2171:
	s_cmp_eq_u32 s11, 46
	s_mov_b32 s16, 0
	s_cbranch_scc0 .LBB48_2179
; %bb.2172:
	global_load_b32 v16, v[14:15], off
	s_mov_b32 s13, 0
	s_mov_b32 s15, -1
	s_branch .LBB48_2181
.LBB48_2173:
	s_mov_b32 s13, -1
	s_mov_b32 s15, 0
                                        ; implicit-def: $vgpr16
	s_branch .LBB48_2247
.LBB48_2174:
	s_mov_b32 s16, -1
	s_mov_b32 s15, 0
	s_mov_b32 s13, 0
                                        ; implicit-def: $vgpr16
	s_branch .LBB48_2210
.LBB48_2175:
	s_mov_b32 s16, -1
	s_mov_b32 s15, 0
	s_mov_b32 s13, 0
                                        ; implicit-def: $vgpr16
	s_branch .LBB48_2191
.LBB48_2176:
	s_mov_b32 s16, -1
	s_mov_b32 s15, 0
	s_mov_b32 s13, 0
                                        ; implicit-def: $vgpr16
	s_branch .LBB48_2186
.LBB48_2177:
	s_or_b32 s10, s10, exec_lo
	s_trap 2
	s_cbranch_execz .LBB48_2112
	s_branch .LBB48_2113
.LBB48_2178:
	s_mov_b32 s16, -1
	s_mov_b32 s15, 0
	s_mov_b32 s13, 0
	s_branch .LBB48_2180
.LBB48_2179:
	s_mov_b32 s13, -1
	s_mov_b32 s15, 0
.LBB48_2180:
                                        ; implicit-def: $vgpr16
.LBB48_2181:
	s_and_b32 vcc_lo, exec_lo, s16
	s_cbranch_vccz .LBB48_2185
; %bb.2182:
	s_cmp_eq_u32 s11, 44
	s_cbranch_scc0 .LBB48_2184
; %bb.2183:
	global_load_u8 v5, v[14:15], off
	s_mov_b32 s13, 0
	s_mov_b32 s15, -1
	s_wait_loadcnt 0x0
	v_lshlrev_b32_e32 v7, 23, v5
	v_cmp_ne_u32_e32 vcc_lo, 0xff, v5
	s_delay_alu instid0(VALU_DEP_2) | instskip(SKIP_1) | instid1(VALU_DEP_2)
	v_cndmask_b32_e32 v7, 0x7f800001, v7, vcc_lo
	v_cmp_ne_u32_e32 vcc_lo, 0, v5
	v_cndmask_b32_e32 v5, 0x400000, v7, vcc_lo
	s_delay_alu instid0(VALU_DEP_1) | instskip(SKIP_1) | instid1(VALU_DEP_2)
	v_add_nc_u32_e32 v7, 0x7fff, v5
	v_cmp_o_f32_e32 vcc_lo, v5, v5
	v_lshrrev_b32_e32 v7, 16, v7
	s_delay_alu instid0(VALU_DEP_1)
	v_cndmask_b32_e32 v16, 0x7fc0, v7, vcc_lo
	s_branch .LBB48_2185
.LBB48_2184:
	s_mov_b32 s13, -1
                                        ; implicit-def: $vgpr16
.LBB48_2185:
	s_mov_b32 s16, 0
.LBB48_2186:
	s_delay_alu instid0(SALU_CYCLE_1)
	s_and_b32 vcc_lo, exec_lo, s16
	s_cbranch_vccz .LBB48_2190
; %bb.2187:
	s_cmp_eq_u32 s11, 29
	s_cbranch_scc0 .LBB48_2189
; %bb.2188:
	s_wait_loadcnt 0x0
	global_load_b64 v[16:17], v[14:15], off
	s_mov_b32 s13, 0
	s_mov_b32 s15, -1
	s_mov_b32 s16, 0
	s_wait_loadcnt 0x0
	v_clz_i32_u32_e32 v5, v17
	s_delay_alu instid0(VALU_DEP_1) | instskip(NEXT) | instid1(VALU_DEP_1)
	v_min_u32_e32 v5, 32, v5
	v_lshlrev_b64_e32 v[16:17], v5, v[16:17]
	v_sub_nc_u32_e32 v5, 32, v5
	s_delay_alu instid0(VALU_DEP_2) | instskip(NEXT) | instid1(VALU_DEP_1)
	v_min_u32_e32 v7, 1, v16
	v_or_b32_e32 v7, v17, v7
	s_delay_alu instid0(VALU_DEP_1) | instskip(NEXT) | instid1(VALU_DEP_1)
	v_cvt_f32_u32_e32 v7, v7
	v_ldexp_f32 v5, v7, v5
	s_delay_alu instid0(VALU_DEP_1) | instskip(NEXT) | instid1(VALU_DEP_1)
	v_bfe_u32 v7, v5, 16, 1
	v_add3_u32 v5, v5, v7, 0x7fff
	s_delay_alu instid0(VALU_DEP_1)
	v_lshrrev_b32_e32 v16, 16, v5
	s_branch .LBB48_2191
.LBB48_2189:
	s_mov_b32 s13, -1
                                        ; implicit-def: $vgpr16
.LBB48_2190:
	s_mov_b32 s16, 0
.LBB48_2191:
	s_delay_alu instid0(SALU_CYCLE_1)
	s_and_b32 vcc_lo, exec_lo, s16
	s_cbranch_vccz .LBB48_2209
; %bb.2192:
	s_cmp_lt_i32 s11, 27
	s_cbranch_scc1 .LBB48_2195
; %bb.2193:
	s_cmp_gt_i32 s11, 27
	s_cbranch_scc0 .LBB48_2196
; %bb.2194:
	global_load_b32 v5, v[14:15], off
	s_mov_b32 s15, 0
	s_wait_loadcnt 0x0
	v_cvt_f32_u32_e32 v5, v5
	s_delay_alu instid0(VALU_DEP_1) | instskip(NEXT) | instid1(VALU_DEP_1)
	v_bfe_u32 v7, v5, 16, 1
	v_add3_u32 v5, v5, v7, 0x7fff
	s_delay_alu instid0(VALU_DEP_1)
	v_lshrrev_b32_e32 v16, 16, v5
	s_branch .LBB48_2197
.LBB48_2195:
	s_mov_b32 s15, -1
                                        ; implicit-def: $vgpr16
	s_branch .LBB48_2200
.LBB48_2196:
	s_mov_b32 s15, -1
                                        ; implicit-def: $vgpr16
.LBB48_2197:
	s_delay_alu instid0(SALU_CYCLE_1)
	s_and_not1_b32 vcc_lo, exec_lo, s15
	s_cbranch_vccnz .LBB48_2199
; %bb.2198:
	global_load_u16 v5, v[14:15], off
	s_wait_loadcnt 0x0
	v_cvt_f32_u32_e32 v5, v5
	s_delay_alu instid0(VALU_DEP_1) | instskip(NEXT) | instid1(VALU_DEP_1)
	v_bfe_u32 v7, v5, 16, 1
	v_add3_u32 v5, v5, v7, 0x7fff
	s_delay_alu instid0(VALU_DEP_1)
	v_lshrrev_b32_e32 v16, 16, v5
.LBB48_2199:
	s_mov_b32 s15, 0
.LBB48_2200:
	s_delay_alu instid0(SALU_CYCLE_1)
	s_and_not1_b32 vcc_lo, exec_lo, s15
	s_cbranch_vccnz .LBB48_2208
; %bb.2201:
	global_load_u8 v5, v[14:15], off
	s_mov_b32 s15, 0
	s_mov_b32 s16, exec_lo
	s_wait_loadcnt 0x0
	v_cmpx_lt_i16_e32 0x7f, v5
	s_xor_b32 s16, exec_lo, s16
	s_cbranch_execz .LBB48_2222
; %bb.2202:
	s_mov_b32 s15, -1
	s_mov_b32 s17, exec_lo
	v_cmpx_eq_u16_e32 0x80, v5
; %bb.2203:
	s_xor_b32 s15, exec_lo, -1
; %bb.2204:
	s_or_b32 exec_lo, exec_lo, s17
	s_delay_alu instid0(SALU_CYCLE_1)
	s_and_b32 s15, s15, exec_lo
	s_or_saveexec_b32 s16, s16
	v_mov_b32_e32 v7, 0x7f800001
	s_xor_b32 exec_lo, exec_lo, s16
	s_cbranch_execnz .LBB48_2223
.LBB48_2205:
	s_or_b32 exec_lo, exec_lo, s16
	s_and_saveexec_b32 s16, s15
	s_cbranch_execz .LBB48_2207
.LBB48_2206:
	v_and_b32_e32 v7, 0xffff, v5
	s_delay_alu instid0(VALU_DEP_1) | instskip(SKIP_1) | instid1(VALU_DEP_2)
	v_dual_lshlrev_b32 v5, 24, v5 :: v_dual_bitop2_b32 v9, 7, v7 bitop3:0x40
	v_bfe_u32 v16, v7, 3, 4
	v_and_b32_e32 v5, 0x80000000, v5
	s_delay_alu instid0(VALU_DEP_3) | instskip(NEXT) | instid1(VALU_DEP_3)
	v_clz_i32_u32_e32 v11, v9
	v_cmp_eq_u32_e32 vcc_lo, 0, v16
	s_delay_alu instid0(VALU_DEP_2) | instskip(NEXT) | instid1(VALU_DEP_1)
	v_min_u32_e32 v11, 32, v11
	v_subrev_nc_u32_e32 v13, 28, v11
	v_sub_nc_u32_e32 v11, 29, v11
	s_delay_alu instid0(VALU_DEP_2) | instskip(NEXT) | instid1(VALU_DEP_2)
	v_lshlrev_b32_e32 v7, v13, v7
	v_cndmask_b32_e32 v11, v16, v11, vcc_lo
	s_delay_alu instid0(VALU_DEP_2) | instskip(NEXT) | instid1(VALU_DEP_1)
	v_and_b32_e32 v7, 7, v7
	v_cndmask_b32_e32 v7, v9, v7, vcc_lo
	s_delay_alu instid0(VALU_DEP_3) | instskip(NEXT) | instid1(VALU_DEP_2)
	v_lshl_add_u32 v9, v11, 23, 0x3b800000
	v_lshlrev_b32_e32 v7, 20, v7
	s_delay_alu instid0(VALU_DEP_1)
	v_or3_b32 v7, v5, v9, v7
.LBB48_2207:
	s_or_b32 exec_lo, exec_lo, s16
	s_delay_alu instid0(VALU_DEP_1) | instskip(SKIP_1) | instid1(VALU_DEP_2)
	v_bfe_u32 v5, v7, 16, 1
	v_cmp_o_f32_e32 vcc_lo, v7, v7
	v_add3_u32 v5, v7, v5, 0x7fff
	s_delay_alu instid0(VALU_DEP_1) | instskip(NEXT) | instid1(VALU_DEP_1)
	v_lshrrev_b32_e32 v5, 16, v5
	v_cndmask_b32_e32 v16, 0x7fc0, v5, vcc_lo
.LBB48_2208:
	s_mov_b32 s15, -1
.LBB48_2209:
	s_mov_b32 s16, 0
.LBB48_2210:
	s_delay_alu instid0(SALU_CYCLE_1)
	s_and_b32 vcc_lo, exec_lo, s16
	s_cbranch_vccz .LBB48_2243
; %bb.2211:
	s_cmp_gt_i32 s11, 22
	s_cbranch_scc0 .LBB48_2221
; %bb.2212:
	s_cmp_lt_i32 s11, 24
	s_cbranch_scc1 .LBB48_2224
; %bb.2213:
	s_cmp_gt_i32 s11, 24
	s_cbranch_scc0 .LBB48_2225
; %bb.2214:
	global_load_u8 v5, v[14:15], off
	s_mov_b32 s15, exec_lo
	s_wait_loadcnt 0x0
	v_cmpx_lt_i16_e32 0x7f, v5
	s_xor_b32 s15, exec_lo, s15
	s_cbranch_execz .LBB48_2237
; %bb.2215:
	s_mov_b32 s14, -1
	s_mov_b32 s16, exec_lo
	v_cmpx_eq_u16_e32 0x80, v5
; %bb.2216:
	s_xor_b32 s14, exec_lo, -1
; %bb.2217:
	s_or_b32 exec_lo, exec_lo, s16
	s_delay_alu instid0(SALU_CYCLE_1)
	s_and_b32 s14, s14, exec_lo
	s_or_saveexec_b32 s15, s15
	v_mov_b32_e32 v7, 0x7f800001
	s_xor_b32 exec_lo, exec_lo, s15
	s_cbranch_execnz .LBB48_2238
.LBB48_2218:
	s_or_b32 exec_lo, exec_lo, s15
	s_and_saveexec_b32 s15, s14
	s_cbranch_execz .LBB48_2220
.LBB48_2219:
	v_and_b32_e32 v7, 0xffff, v5
	s_delay_alu instid0(VALU_DEP_1) | instskip(SKIP_1) | instid1(VALU_DEP_2)
	v_dual_lshlrev_b32 v5, 24, v5 :: v_dual_bitop2_b32 v9, 3, v7 bitop3:0x40
	v_bfe_u32 v16, v7, 2, 5
	v_and_b32_e32 v5, 0x80000000, v5
	s_delay_alu instid0(VALU_DEP_3) | instskip(NEXT) | instid1(VALU_DEP_3)
	v_clz_i32_u32_e32 v11, v9
	v_cmp_eq_u32_e32 vcc_lo, 0, v16
	s_delay_alu instid0(VALU_DEP_2) | instskip(NEXT) | instid1(VALU_DEP_1)
	v_min_u32_e32 v11, 32, v11
	v_subrev_nc_u32_e32 v13, 29, v11
	v_sub_nc_u32_e32 v11, 30, v11
	s_delay_alu instid0(VALU_DEP_2) | instskip(NEXT) | instid1(VALU_DEP_2)
	v_lshlrev_b32_e32 v7, v13, v7
	v_cndmask_b32_e32 v11, v16, v11, vcc_lo
	s_delay_alu instid0(VALU_DEP_2) | instskip(NEXT) | instid1(VALU_DEP_1)
	v_and_b32_e32 v7, 3, v7
	v_cndmask_b32_e32 v7, v9, v7, vcc_lo
	s_delay_alu instid0(VALU_DEP_3) | instskip(NEXT) | instid1(VALU_DEP_2)
	v_lshl_add_u32 v9, v11, 23, 0x37800000
	v_lshlrev_b32_e32 v7, 21, v7
	s_delay_alu instid0(VALU_DEP_1)
	v_or3_b32 v7, v5, v9, v7
.LBB48_2220:
	s_or_b32 exec_lo, exec_lo, s15
	s_delay_alu instid0(VALU_DEP_1) | instskip(SKIP_2) | instid1(VALU_DEP_2)
	v_bfe_u32 v5, v7, 16, 1
	v_cmp_o_f32_e32 vcc_lo, v7, v7
	s_mov_b32 s14, 0
	v_add3_u32 v5, v7, v5, 0x7fff
	s_delay_alu instid0(VALU_DEP_1) | instskip(NEXT) | instid1(VALU_DEP_1)
	v_lshrrev_b32_e32 v5, 16, v5
	v_cndmask_b32_e32 v16, 0x7fc0, v5, vcc_lo
	s_branch .LBB48_2226
.LBB48_2221:
	s_mov_b32 s14, -1
                                        ; implicit-def: $vgpr16
	s_branch .LBB48_2232
.LBB48_2222:
	s_or_saveexec_b32 s16, s16
	v_mov_b32_e32 v7, 0x7f800001
	s_xor_b32 exec_lo, exec_lo, s16
	s_cbranch_execz .LBB48_2205
.LBB48_2223:
	v_cmp_ne_u16_e32 vcc_lo, 0, v5
	v_mov_b32_e32 v7, 0
	s_and_not1_b32 s15, s15, exec_lo
	s_and_b32 s17, vcc_lo, exec_lo
	s_delay_alu instid0(SALU_CYCLE_1)
	s_or_b32 s15, s15, s17
	s_or_b32 exec_lo, exec_lo, s16
	s_and_saveexec_b32 s16, s15
	s_cbranch_execnz .LBB48_2206
	s_branch .LBB48_2207
.LBB48_2224:
	s_mov_b32 s14, -1
                                        ; implicit-def: $vgpr16
	s_branch .LBB48_2229
.LBB48_2225:
	s_mov_b32 s14, -1
                                        ; implicit-def: $vgpr16
.LBB48_2226:
	s_delay_alu instid0(SALU_CYCLE_1)
	s_and_b32 vcc_lo, exec_lo, s14
	s_cbranch_vccz .LBB48_2228
; %bb.2227:
	global_load_u8 v5, v[14:15], off
	s_wait_loadcnt 0x0
	v_lshlrev_b32_e32 v5, 24, v5
	s_delay_alu instid0(VALU_DEP_1) | instskip(NEXT) | instid1(VALU_DEP_1)
	v_and_b32_e32 v7, 0x7f000000, v5
	v_clz_i32_u32_e32 v9, v7
	v_add_nc_u32_e32 v13, 0x1000000, v7
	v_cmp_ne_u32_e32 vcc_lo, 0, v7
	s_delay_alu instid0(VALU_DEP_3) | instskip(NEXT) | instid1(VALU_DEP_1)
	v_min_u32_e32 v9, 32, v9
	v_sub_nc_u32_e64 v9, v9, 4 clamp
	s_delay_alu instid0(VALU_DEP_1) | instskip(NEXT) | instid1(VALU_DEP_1)
	v_dual_lshlrev_b32 v11, v9, v7 :: v_dual_lshlrev_b32 v9, 23, v9
	v_lshrrev_b32_e32 v11, 4, v11
	s_delay_alu instid0(VALU_DEP_1) | instskip(SKIP_1) | instid1(VALU_DEP_2)
	v_sub_nc_u32_e32 v9, v11, v9
	v_ashrrev_i32_e32 v11, 8, v13
	v_add_nc_u32_e32 v9, 0x3c000000, v9
	s_delay_alu instid0(VALU_DEP_1) | instskip(NEXT) | instid1(VALU_DEP_1)
	v_and_or_b32 v9, 0x7f800000, v11, v9
	v_cndmask_b32_e32 v7, 0, v9, vcc_lo
	s_delay_alu instid0(VALU_DEP_1) | instskip(SKIP_1) | instid1(VALU_DEP_2)
	v_and_or_b32 v5, 0x80000000, v5, v7
	v_bfe_u32 v7, v7, 16, 1
	v_cmp_o_f32_e32 vcc_lo, v5, v5
	s_delay_alu instid0(VALU_DEP_2) | instskip(NEXT) | instid1(VALU_DEP_1)
	v_add3_u32 v7, v5, v7, 0x7fff
	v_lshrrev_b32_e32 v7, 16, v7
	s_delay_alu instid0(VALU_DEP_1)
	v_cndmask_b32_e32 v16, 0x7fc0, v7, vcc_lo
.LBB48_2228:
	s_mov_b32 s14, 0
.LBB48_2229:
	s_delay_alu instid0(SALU_CYCLE_1)
	s_and_not1_b32 vcc_lo, exec_lo, s14
	s_cbranch_vccnz .LBB48_2231
; %bb.2230:
	global_load_u8 v5, v[14:15], off
	s_wait_loadcnt 0x0
	v_lshlrev_b32_e32 v7, 25, v5
	v_lshlrev_b16 v5, 8, v5
	s_delay_alu instid0(VALU_DEP_1) | instskip(SKIP_1) | instid1(VALU_DEP_2)
	v_and_or_b32 v11, 0x7f00, v5, 0.5
	v_bfe_i32 v5, v5, 0, 16
	v_add_f32_e32 v11, -0.5, v11
	v_lshrrev_b32_e32 v9, 4, v7
	v_cmp_gt_u32_e32 vcc_lo, 0x8000000, v7
	s_delay_alu instid0(VALU_DEP_2) | instskip(NEXT) | instid1(VALU_DEP_1)
	v_or_b32_e32 v9, 0x70000000, v9
	v_mul_f32_e32 v9, 0x7800000, v9
	s_delay_alu instid0(VALU_DEP_1) | instskip(NEXT) | instid1(VALU_DEP_1)
	v_cndmask_b32_e32 v7, v9, v11, vcc_lo
	v_and_or_b32 v5, 0x80000000, v5, v7
	v_bfe_u32 v7, v7, 16, 1
	s_delay_alu instid0(VALU_DEP_2) | instskip(NEXT) | instid1(VALU_DEP_2)
	v_cmp_o_f32_e32 vcc_lo, v5, v5
	v_add3_u32 v7, v5, v7, 0x7fff
	s_delay_alu instid0(VALU_DEP_1) | instskip(NEXT) | instid1(VALU_DEP_1)
	v_lshrrev_b32_e32 v7, 16, v7
	v_cndmask_b32_e32 v16, 0x7fc0, v7, vcc_lo
.LBB48_2231:
	s_mov_b32 s14, 0
	s_mov_b32 s15, -1
.LBB48_2232:
	s_and_not1_b32 vcc_lo, exec_lo, s14
	s_mov_b32 s14, 0
	s_cbranch_vccnz .LBB48_2243
; %bb.2233:
	s_cmp_gt_i32 s11, 14
	s_cbranch_scc0 .LBB48_2236
; %bb.2234:
	s_cmp_eq_u32 s11, 15
	s_cbranch_scc0 .LBB48_2239
; %bb.2235:
	s_wait_loadcnt 0x0
	global_load_u16 v16, v[14:15], off
	s_mov_b32 s13, 0
	s_mov_b32 s15, -1
	s_branch .LBB48_2241
.LBB48_2236:
	s_mov_b32 s14, -1
	s_branch .LBB48_2240
.LBB48_2237:
	s_or_saveexec_b32 s15, s15
	v_mov_b32_e32 v7, 0x7f800001
	s_xor_b32 exec_lo, exec_lo, s15
	s_cbranch_execz .LBB48_2218
.LBB48_2238:
	v_cmp_ne_u16_e32 vcc_lo, 0, v5
	v_mov_b32_e32 v7, 0
	s_and_not1_b32 s14, s14, exec_lo
	s_and_b32 s16, vcc_lo, exec_lo
	s_delay_alu instid0(SALU_CYCLE_1)
	s_or_b32 s14, s14, s16
	s_or_b32 exec_lo, exec_lo, s15
	s_and_saveexec_b32 s15, s14
	s_cbranch_execnz .LBB48_2219
	s_branch .LBB48_2220
.LBB48_2239:
	s_mov_b32 s13, -1
.LBB48_2240:
                                        ; implicit-def: $vgpr16
.LBB48_2241:
	s_and_b32 vcc_lo, exec_lo, s14
	s_mov_b32 s14, 0
	s_cbranch_vccz .LBB48_2243
; %bb.2242:
	s_cmp_lg_u32 s11, 11
	s_mov_b32 s14, -1
	s_cselect_b32 s13, -1, 0
.LBB48_2243:
	s_delay_alu instid0(SALU_CYCLE_1)
	s_and_b32 vcc_lo, exec_lo, s13
	s_cbranch_vccnz .LBB48_2308
; %bb.2244:
	s_and_not1_b32 vcc_lo, exec_lo, s14
	s_cbranch_vccnz .LBB48_2246
.LBB48_2245:
	global_load_u8 v5, v[14:15], off
	s_mov_b32 s15, -1
	s_wait_loadcnt 0x0
	v_cmp_ne_u16_e32 vcc_lo, 0, v5
	v_cndmask_b32_e64 v5, 0, 1.0, vcc_lo
	s_delay_alu instid0(VALU_DEP_1)
	v_lshrrev_b32_e32 v16, 16, v5
.LBB48_2246:
	s_mov_b32 s13, 0
.LBB48_2247:
	s_delay_alu instid0(SALU_CYCLE_1)
	s_and_b32 vcc_lo, exec_lo, s13
	s_cbranch_vccz .LBB48_2296
; %bb.2248:
	s_cmp_lt_i32 s11, 5
	s_cbranch_scc1 .LBB48_2253
; %bb.2249:
	s_cmp_lt_i32 s11, 8
	s_cbranch_scc1 .LBB48_2254
	;; [unrolled: 3-line block ×3, first 2 shown]
; %bb.2251:
	s_cmp_gt_i32 s11, 9
	s_cbranch_scc0 .LBB48_2256
; %bb.2252:
	s_wait_loadcnt 0x0
	global_load_b64 v[16:17], v[14:15], off
	s_mov_b32 s13, 0
	s_wait_loadcnt 0x0
	v_cvt_f32_f64_e32 v5, v[16:17]
	s_delay_alu instid0(VALU_DEP_1) | instskip(SKIP_1) | instid1(VALU_DEP_2)
	v_bfe_u32 v7, v5, 16, 1
	v_cmp_o_f32_e32 vcc_lo, v5, v5
	v_add3_u32 v7, v5, v7, 0x7fff
	s_delay_alu instid0(VALU_DEP_1) | instskip(NEXT) | instid1(VALU_DEP_1)
	v_lshrrev_b32_e32 v7, 16, v7
	v_cndmask_b32_e32 v16, 0x7fc0, v7, vcc_lo
	s_branch .LBB48_2257
.LBB48_2253:
	s_mov_b32 s13, -1
                                        ; implicit-def: $vgpr16
	s_branch .LBB48_2275
.LBB48_2254:
	s_mov_b32 s13, -1
                                        ; implicit-def: $vgpr16
	s_branch .LBB48_2263
.LBB48_2255:
	s_mov_b32 s13, -1
                                        ; implicit-def: $vgpr16
	s_branch .LBB48_2260
.LBB48_2256:
	s_mov_b32 s13, -1
                                        ; implicit-def: $vgpr16
.LBB48_2257:
	s_delay_alu instid0(SALU_CYCLE_1)
	s_and_not1_b32 vcc_lo, exec_lo, s13
	s_cbranch_vccnz .LBB48_2259
; %bb.2258:
	global_load_b32 v5, v[14:15], off
	s_wait_loadcnt 0x0
	v_bfe_u32 v7, v5, 16, 1
	v_cmp_o_f32_e32 vcc_lo, v5, v5
	s_delay_alu instid0(VALU_DEP_2) | instskip(NEXT) | instid1(VALU_DEP_1)
	v_add3_u32 v7, v5, v7, 0x7fff
	v_lshrrev_b32_e32 v7, 16, v7
	s_delay_alu instid0(VALU_DEP_1)
	v_cndmask_b32_e32 v16, 0x7fc0, v7, vcc_lo
.LBB48_2259:
	s_mov_b32 s13, 0
.LBB48_2260:
	s_delay_alu instid0(SALU_CYCLE_1)
	s_and_not1_b32 vcc_lo, exec_lo, s13
	s_cbranch_vccnz .LBB48_2262
; %bb.2261:
	global_load_b32 v5, v[14:15], off
	s_wait_loadcnt 0x0
	v_cvt_f32_f16_e32 v7, v5
	v_cmp_o_f16_e32 vcc_lo, v5, v5
	s_delay_alu instid0(VALU_DEP_2) | instskip(NEXT) | instid1(VALU_DEP_1)
	v_bfe_u32 v9, v7, 16, 1
	v_add3_u32 v7, v7, v9, 0x7fff
	s_delay_alu instid0(VALU_DEP_1) | instskip(NEXT) | instid1(VALU_DEP_1)
	v_lshrrev_b32_e32 v7, 16, v7
	v_cndmask_b32_e32 v16, 0x7fc0, v7, vcc_lo
.LBB48_2262:
	s_mov_b32 s13, 0
.LBB48_2263:
	s_delay_alu instid0(SALU_CYCLE_1)
	s_and_not1_b32 vcc_lo, exec_lo, s13
	s_cbranch_vccnz .LBB48_2274
; %bb.2264:
	s_cmp_lt_i32 s11, 6
	s_cbranch_scc1 .LBB48_2267
; %bb.2265:
	s_cmp_gt_i32 s11, 6
	s_cbranch_scc0 .LBB48_2268
; %bb.2266:
	s_wait_loadcnt 0x0
	global_load_b64 v[16:17], v[14:15], off
	s_mov_b32 s13, 0
	s_wait_loadcnt 0x0
	v_cvt_f32_f64_e32 v5, v[16:17]
	s_delay_alu instid0(VALU_DEP_1) | instskip(SKIP_1) | instid1(VALU_DEP_2)
	v_bfe_u32 v7, v5, 16, 1
	v_cmp_o_f32_e32 vcc_lo, v5, v5
	v_add3_u32 v7, v5, v7, 0x7fff
	s_delay_alu instid0(VALU_DEP_1) | instskip(NEXT) | instid1(VALU_DEP_1)
	v_lshrrev_b32_e32 v7, 16, v7
	v_cndmask_b32_e32 v16, 0x7fc0, v7, vcc_lo
	s_branch .LBB48_2269
.LBB48_2267:
	s_mov_b32 s13, -1
                                        ; implicit-def: $vgpr16
	s_branch .LBB48_2272
.LBB48_2268:
	s_mov_b32 s13, -1
                                        ; implicit-def: $vgpr16
.LBB48_2269:
	s_delay_alu instid0(SALU_CYCLE_1)
	s_and_not1_b32 vcc_lo, exec_lo, s13
	s_cbranch_vccnz .LBB48_2271
; %bb.2270:
	global_load_b32 v5, v[14:15], off
	s_wait_loadcnt 0x0
	v_bfe_u32 v7, v5, 16, 1
	v_cmp_o_f32_e32 vcc_lo, v5, v5
	s_delay_alu instid0(VALU_DEP_2) | instskip(NEXT) | instid1(VALU_DEP_1)
	v_add3_u32 v7, v5, v7, 0x7fff
	v_lshrrev_b32_e32 v7, 16, v7
	s_delay_alu instid0(VALU_DEP_1)
	v_cndmask_b32_e32 v16, 0x7fc0, v7, vcc_lo
.LBB48_2271:
	s_mov_b32 s13, 0
.LBB48_2272:
	s_delay_alu instid0(SALU_CYCLE_1)
	s_and_not1_b32 vcc_lo, exec_lo, s13
	s_cbranch_vccnz .LBB48_2274
; %bb.2273:
	global_load_u16 v5, v[14:15], off
	s_wait_loadcnt 0x0
	v_cvt_f32_f16_e32 v7, v5
	v_cmp_o_f16_e32 vcc_lo, v5, v5
	s_delay_alu instid0(VALU_DEP_2) | instskip(NEXT) | instid1(VALU_DEP_1)
	v_bfe_u32 v9, v7, 16, 1
	v_add3_u32 v7, v7, v9, 0x7fff
	s_delay_alu instid0(VALU_DEP_1) | instskip(NEXT) | instid1(VALU_DEP_1)
	v_lshrrev_b32_e32 v7, 16, v7
	v_cndmask_b32_e32 v16, 0x7fc0, v7, vcc_lo
.LBB48_2274:
	s_mov_b32 s13, 0
.LBB48_2275:
	s_delay_alu instid0(SALU_CYCLE_1)
	s_and_not1_b32 vcc_lo, exec_lo, s13
	s_cbranch_vccnz .LBB48_2295
; %bb.2276:
	s_cmp_lt_i32 s11, 2
	s_cbranch_scc1 .LBB48_2280
; %bb.2277:
	s_cmp_lt_i32 s11, 3
	s_cbranch_scc1 .LBB48_2281
; %bb.2278:
	s_cmp_gt_i32 s11, 3
	s_cbranch_scc0 .LBB48_2282
; %bb.2279:
	s_wait_loadcnt 0x0
	global_load_b64 v[16:17], v[14:15], off
	s_mov_b32 s13, 0
	s_wait_loadcnt 0x0
	v_xor_b32_e32 v5, v16, v17
	v_cls_i32_e32 v7, v17
	s_delay_alu instid0(VALU_DEP_2) | instskip(NEXT) | instid1(VALU_DEP_1)
	v_ashrrev_i32_e32 v5, 31, v5
	v_add_nc_u32_e32 v5, 32, v5
	s_delay_alu instid0(VALU_DEP_1) | instskip(NEXT) | instid1(VALU_DEP_1)
	v_add_min_u32_e64 v5, v7, -1, v5
	v_lshlrev_b64_e32 v[16:17], v5, v[16:17]
	v_sub_nc_u32_e32 v5, 32, v5
	s_delay_alu instid0(VALU_DEP_2) | instskip(NEXT) | instid1(VALU_DEP_1)
	v_min_u32_e32 v7, 1, v16
	v_or_b32_e32 v7, v17, v7
	s_delay_alu instid0(VALU_DEP_1) | instskip(NEXT) | instid1(VALU_DEP_1)
	v_cvt_f32_i32_e32 v7, v7
	v_ldexp_f32 v5, v7, v5
	s_delay_alu instid0(VALU_DEP_1) | instskip(NEXT) | instid1(VALU_DEP_1)
	v_bfe_u32 v7, v5, 16, 1
	v_add3_u32 v5, v5, v7, 0x7fff
	s_delay_alu instid0(VALU_DEP_1)
	v_lshrrev_b32_e32 v16, 16, v5
	s_branch .LBB48_2283
.LBB48_2280:
	s_mov_b32 s13, -1
                                        ; implicit-def: $vgpr16
	s_branch .LBB48_2289
.LBB48_2281:
	s_mov_b32 s13, -1
                                        ; implicit-def: $vgpr16
	s_branch .LBB48_2286
.LBB48_2282:
	s_mov_b32 s13, -1
                                        ; implicit-def: $vgpr16
.LBB48_2283:
	s_delay_alu instid0(SALU_CYCLE_1)
	s_and_not1_b32 vcc_lo, exec_lo, s13
	s_cbranch_vccnz .LBB48_2285
; %bb.2284:
	global_load_b32 v5, v[14:15], off
	s_wait_loadcnt 0x0
	v_cvt_f32_i32_e32 v5, v5
	s_delay_alu instid0(VALU_DEP_1) | instskip(NEXT) | instid1(VALU_DEP_1)
	v_bfe_u32 v7, v5, 16, 1
	v_add3_u32 v5, v5, v7, 0x7fff
	s_delay_alu instid0(VALU_DEP_1)
	v_lshrrev_b32_e32 v16, 16, v5
.LBB48_2285:
	s_mov_b32 s13, 0
.LBB48_2286:
	s_delay_alu instid0(SALU_CYCLE_1)
	s_and_not1_b32 vcc_lo, exec_lo, s13
	s_cbranch_vccnz .LBB48_2288
; %bb.2287:
	global_load_i16 v5, v[14:15], off
	s_wait_loadcnt 0x0
	v_cvt_f32_i32_e32 v5, v5
	s_delay_alu instid0(VALU_DEP_1) | instskip(NEXT) | instid1(VALU_DEP_1)
	v_bfe_u32 v7, v5, 16, 1
	v_add3_u32 v5, v5, v7, 0x7fff
	s_delay_alu instid0(VALU_DEP_1)
	v_lshrrev_b32_e32 v16, 16, v5
.LBB48_2288:
	s_mov_b32 s13, 0
.LBB48_2289:
	s_delay_alu instid0(SALU_CYCLE_1)
	s_and_not1_b32 vcc_lo, exec_lo, s13
	s_cbranch_vccnz .LBB48_2295
; %bb.2290:
	s_cmp_gt_i32 s11, 0
	s_mov_b32 s13, 0
	s_cbranch_scc0 .LBB48_2292
; %bb.2291:
	global_load_i8 v5, v[14:15], off
	s_wait_loadcnt 0x0
	v_cvt_f32_i32_e32 v5, v5
	s_delay_alu instid0(VALU_DEP_1) | instskip(NEXT) | instid1(VALU_DEP_1)
	v_bfe_u32 v7, v5, 16, 1
	v_add3_u32 v5, v5, v7, 0x7fff
	s_delay_alu instid0(VALU_DEP_1)
	v_lshrrev_b32_e32 v16, 16, v5
	s_branch .LBB48_2293
.LBB48_2292:
	s_mov_b32 s13, -1
                                        ; implicit-def: $vgpr16
.LBB48_2293:
	s_delay_alu instid0(SALU_CYCLE_1)
	s_and_not1_b32 vcc_lo, exec_lo, s13
	s_cbranch_vccnz .LBB48_2295
; %bb.2294:
	global_load_u8 v5, v[14:15], off
	s_wait_loadcnt 0x0
	v_cvt_f32_ubyte0_e32 v5, v5
	s_delay_alu instid0(VALU_DEP_1) | instskip(NEXT) | instid1(VALU_DEP_1)
	v_bfe_u32 v7, v5, 16, 1
	v_add3_u32 v5, v5, v7, 0x7fff
	s_delay_alu instid0(VALU_DEP_1)
	v_lshrrev_b32_e32 v16, 16, v5
.LBB48_2295:
	s_mov_b32 s15, -1
.LBB48_2296:
	s_delay_alu instid0(SALU_CYCLE_1)
	s_and_not1_b32 vcc_lo, exec_lo, s15
	s_cbranch_vccnz .LBB48_2774
; %bb.2297:
	v_mov_b32_e32 v13, 0
	s_cmp_lt_i32 s12, 11
	s_delay_alu instid0(VALU_DEP_1)
	v_add_nc_u64_e32 v[12:13], s[0:1], v[12:13]
	s_cbranch_scc1 .LBB48_2304
; %bb.2298:
	s_cmp_gt_i32 s12, 25
	s_mov_b32 s14, 0
	s_cbranch_scc0 .LBB48_2305
; %bb.2299:
	s_cmp_gt_i32 s12, 28
	s_cbranch_scc0 .LBB48_2306
; %bb.2300:
	s_cmp_gt_i32 s12, 43
	;; [unrolled: 3-line block ×3, first 2 shown]
	s_cbranch_scc0 .LBB48_2309
; %bb.2302:
	s_cmp_eq_u32 s12, 46
	s_mov_b32 s16, 0
	s_cbranch_scc0 .LBB48_2312
; %bb.2303:
	global_load_b32 v5, v[12:13], off
	s_mov_b32 s13, 0
	s_mov_b32 s15, -1
	s_branch .LBB48_2314
.LBB48_2304:
	s_mov_b32 s13, -1
	s_mov_b32 s15, 0
                                        ; implicit-def: $vgpr5
	s_branch .LBB48_2380
.LBB48_2305:
	s_mov_b32 s16, -1
	s_mov_b32 s15, 0
	s_mov_b32 s13, 0
                                        ; implicit-def: $vgpr5
	s_branch .LBB48_2343
.LBB48_2306:
	s_mov_b32 s16, -1
	s_mov_b32 s15, 0
	s_mov_b32 s13, 0
                                        ; implicit-def: $vgpr5
	s_branch .LBB48_2324
.LBB48_2307:
	s_mov_b32 s16, -1
	s_mov_b32 s15, 0
	s_mov_b32 s13, 0
                                        ; implicit-def: $vgpr5
	s_branch .LBB48_2319
.LBB48_2308:
	s_or_b32 s10, s10, exec_lo
	s_trap 2
	s_cbranch_execz .LBB48_2245
	s_branch .LBB48_2246
.LBB48_2309:
	s_mov_b32 s16, -1
	s_mov_b32 s15, 0
	s_mov_b32 s13, 0
	s_branch .LBB48_2313
.LBB48_2310:
	s_and_not1_saveexec_b32 s51, s51
	s_cbranch_execz .LBB48_1127
.LBB48_2311:
	v_add_f32_e64 v5, 0x42800000, |v6|
	s_and_not1_b32 s50, s50, exec_lo
	s_delay_alu instid0(VALU_DEP_1) | instskip(NEXT) | instid1(VALU_DEP_1)
	v_and_b32_e32 v5, 0xff, v5
	v_cmp_ne_u32_e32 vcc_lo, 0, v5
	s_and_b32 s52, vcc_lo, exec_lo
	s_delay_alu instid0(SALU_CYCLE_1)
	s_or_b32 s50, s50, s52
	s_or_b32 exec_lo, exec_lo, s51
	v_mov_b32_e32 v7, 0
	s_and_saveexec_b32 s51, s50
	s_cbranch_execnz .LBB48_1128
	s_branch .LBB48_1129
.LBB48_2312:
	s_mov_b32 s13, -1
	s_mov_b32 s15, 0
.LBB48_2313:
                                        ; implicit-def: $vgpr5
.LBB48_2314:
	s_and_b32 vcc_lo, exec_lo, s16
	s_cbranch_vccz .LBB48_2318
; %bb.2315:
	s_cmp_eq_u32 s12, 44
	s_cbranch_scc0 .LBB48_2317
; %bb.2316:
	s_wait_loadcnt 0x0
	global_load_u8 v5, v[12:13], off
	s_mov_b32 s13, 0
	s_mov_b32 s15, -1
	s_wait_loadcnt 0x0
	v_lshlrev_b32_e32 v7, 23, v5
	v_cmp_ne_u32_e32 vcc_lo, 0xff, v5
	s_delay_alu instid0(VALU_DEP_2) | instskip(SKIP_1) | instid1(VALU_DEP_2)
	v_cndmask_b32_e32 v7, 0x7f800001, v7, vcc_lo
	v_cmp_ne_u32_e32 vcc_lo, 0, v5
	v_cndmask_b32_e32 v5, 0x400000, v7, vcc_lo
	s_delay_alu instid0(VALU_DEP_1) | instskip(SKIP_1) | instid1(VALU_DEP_2)
	v_add_nc_u32_e32 v7, 0x7fff, v5
	v_cmp_o_f32_e32 vcc_lo, v5, v5
	v_lshrrev_b32_e32 v7, 16, v7
	s_delay_alu instid0(VALU_DEP_1)
	v_cndmask_b32_e32 v5, 0x7fc0, v7, vcc_lo
	s_branch .LBB48_2318
.LBB48_2317:
	s_mov_b32 s13, -1
                                        ; implicit-def: $vgpr5
.LBB48_2318:
	s_mov_b32 s16, 0
.LBB48_2319:
	s_delay_alu instid0(SALU_CYCLE_1)
	s_and_b32 vcc_lo, exec_lo, s16
	s_cbranch_vccz .LBB48_2323
; %bb.2320:
	s_cmp_eq_u32 s12, 29
	s_cbranch_scc0 .LBB48_2322
; %bb.2321:
	global_load_b64 v[14:15], v[12:13], off
	s_mov_b32 s13, 0
	s_mov_b32 s15, -1
	s_mov_b32 s16, 0
	s_wait_loadcnt 0x0
	v_clz_i32_u32_e32 v5, v15
	s_delay_alu instid0(VALU_DEP_1) | instskip(NEXT) | instid1(VALU_DEP_1)
	v_min_u32_e32 v5, 32, v5
	v_lshlrev_b64_e32 v[14:15], v5, v[14:15]
	v_sub_nc_u32_e32 v5, 32, v5
	s_delay_alu instid0(VALU_DEP_2) | instskip(NEXT) | instid1(VALU_DEP_1)
	v_min_u32_e32 v7, 1, v14
	v_or_b32_e32 v7, v15, v7
	s_delay_alu instid0(VALU_DEP_1) | instskip(NEXT) | instid1(VALU_DEP_1)
	v_cvt_f32_u32_e32 v7, v7
	v_ldexp_f32 v5, v7, v5
	s_delay_alu instid0(VALU_DEP_1) | instskip(NEXT) | instid1(VALU_DEP_1)
	v_bfe_u32 v7, v5, 16, 1
	v_add3_u32 v5, v5, v7, 0x7fff
	s_delay_alu instid0(VALU_DEP_1)
	v_lshrrev_b32_e32 v5, 16, v5
	s_branch .LBB48_2324
.LBB48_2322:
	s_mov_b32 s13, -1
                                        ; implicit-def: $vgpr5
.LBB48_2323:
	s_mov_b32 s16, 0
.LBB48_2324:
	s_delay_alu instid0(SALU_CYCLE_1)
	s_and_b32 vcc_lo, exec_lo, s16
	s_cbranch_vccz .LBB48_2342
; %bb.2325:
	s_cmp_lt_i32 s12, 27
	s_cbranch_scc1 .LBB48_2328
; %bb.2326:
	s_cmp_gt_i32 s12, 27
	s_cbranch_scc0 .LBB48_2329
; %bb.2327:
	s_wait_loadcnt 0x0
	global_load_b32 v5, v[12:13], off
	s_mov_b32 s15, 0
	s_wait_loadcnt 0x0
	v_cvt_f32_u32_e32 v5, v5
	s_delay_alu instid0(VALU_DEP_1) | instskip(NEXT) | instid1(VALU_DEP_1)
	v_bfe_u32 v7, v5, 16, 1
	v_add3_u32 v5, v5, v7, 0x7fff
	s_delay_alu instid0(VALU_DEP_1)
	v_lshrrev_b32_e32 v5, 16, v5
	s_branch .LBB48_2330
.LBB48_2328:
	s_mov_b32 s15, -1
                                        ; implicit-def: $vgpr5
	s_branch .LBB48_2333
.LBB48_2329:
	s_mov_b32 s15, -1
                                        ; implicit-def: $vgpr5
.LBB48_2330:
	s_delay_alu instid0(SALU_CYCLE_1)
	s_and_not1_b32 vcc_lo, exec_lo, s15
	s_cbranch_vccnz .LBB48_2332
; %bb.2331:
	s_wait_loadcnt 0x0
	global_load_u16 v5, v[12:13], off
	s_wait_loadcnt 0x0
	v_cvt_f32_u32_e32 v5, v5
	s_delay_alu instid0(VALU_DEP_1) | instskip(NEXT) | instid1(VALU_DEP_1)
	v_bfe_u32 v7, v5, 16, 1
	v_add3_u32 v5, v5, v7, 0x7fff
	s_delay_alu instid0(VALU_DEP_1)
	v_lshrrev_b32_e32 v5, 16, v5
.LBB48_2332:
	s_mov_b32 s15, 0
.LBB48_2333:
	s_delay_alu instid0(SALU_CYCLE_1)
	s_and_not1_b32 vcc_lo, exec_lo, s15
	s_cbranch_vccnz .LBB48_2341
; %bb.2334:
	s_wait_loadcnt 0x0
	global_load_u8 v5, v[12:13], off
	s_mov_b32 s15, 0
	s_mov_b32 s16, exec_lo
	s_wait_loadcnt 0x0
	v_cmpx_lt_i16_e32 0x7f, v5
	s_xor_b32 s16, exec_lo, s16
	s_cbranch_execz .LBB48_2355
; %bb.2335:
	s_mov_b32 s15, -1
	s_mov_b32 s17, exec_lo
	v_cmpx_eq_u16_e32 0x80, v5
; %bb.2336:
	s_xor_b32 s15, exec_lo, -1
; %bb.2337:
	s_or_b32 exec_lo, exec_lo, s17
	s_delay_alu instid0(SALU_CYCLE_1)
	s_and_b32 s15, s15, exec_lo
	s_or_saveexec_b32 s16, s16
	v_mov_b32_e32 v7, 0x7f800001
	s_xor_b32 exec_lo, exec_lo, s16
	s_cbranch_execnz .LBB48_2356
.LBB48_2338:
	s_or_b32 exec_lo, exec_lo, s16
	s_and_saveexec_b32 s16, s15
	s_cbranch_execz .LBB48_2340
.LBB48_2339:
	v_and_b32_e32 v7, 0xffff, v5
	s_delay_alu instid0(VALU_DEP_1) | instskip(SKIP_1) | instid1(VALU_DEP_2)
	v_dual_lshlrev_b32 v5, 24, v5 :: v_dual_bitop2_b32 v9, 7, v7 bitop3:0x40
	v_bfe_u32 v15, v7, 3, 4
	v_and_b32_e32 v5, 0x80000000, v5
	s_delay_alu instid0(VALU_DEP_3) | instskip(NEXT) | instid1(VALU_DEP_3)
	v_clz_i32_u32_e32 v11, v9
	v_cmp_eq_u32_e32 vcc_lo, 0, v15
	s_delay_alu instid0(VALU_DEP_2) | instskip(NEXT) | instid1(VALU_DEP_1)
	v_min_u32_e32 v11, 32, v11
	v_subrev_nc_u32_e32 v14, 28, v11
	v_sub_nc_u32_e32 v11, 29, v11
	s_delay_alu instid0(VALU_DEP_2) | instskip(NEXT) | instid1(VALU_DEP_2)
	v_lshlrev_b32_e32 v7, v14, v7
	v_cndmask_b32_e32 v11, v15, v11, vcc_lo
	s_delay_alu instid0(VALU_DEP_2) | instskip(NEXT) | instid1(VALU_DEP_1)
	v_and_b32_e32 v7, 7, v7
	v_cndmask_b32_e32 v7, v9, v7, vcc_lo
	s_delay_alu instid0(VALU_DEP_3) | instskip(NEXT) | instid1(VALU_DEP_2)
	v_lshl_add_u32 v9, v11, 23, 0x3b800000
	v_lshlrev_b32_e32 v7, 20, v7
	s_delay_alu instid0(VALU_DEP_1)
	v_or3_b32 v7, v5, v9, v7
.LBB48_2340:
	s_or_b32 exec_lo, exec_lo, s16
	s_delay_alu instid0(VALU_DEP_1) | instskip(SKIP_1) | instid1(VALU_DEP_2)
	v_bfe_u32 v5, v7, 16, 1
	v_cmp_o_f32_e32 vcc_lo, v7, v7
	v_add3_u32 v5, v7, v5, 0x7fff
	s_delay_alu instid0(VALU_DEP_1) | instskip(NEXT) | instid1(VALU_DEP_1)
	v_lshrrev_b32_e32 v5, 16, v5
	v_cndmask_b32_e32 v5, 0x7fc0, v5, vcc_lo
.LBB48_2341:
	s_mov_b32 s15, -1
.LBB48_2342:
	s_mov_b32 s16, 0
.LBB48_2343:
	s_delay_alu instid0(SALU_CYCLE_1)
	s_and_b32 vcc_lo, exec_lo, s16
	s_cbranch_vccz .LBB48_2376
; %bb.2344:
	s_cmp_gt_i32 s12, 22
	s_cbranch_scc0 .LBB48_2354
; %bb.2345:
	s_cmp_lt_i32 s12, 24
	s_cbranch_scc1 .LBB48_2357
; %bb.2346:
	s_cmp_gt_i32 s12, 24
	s_cbranch_scc0 .LBB48_2358
; %bb.2347:
	s_wait_loadcnt 0x0
	global_load_u8 v5, v[12:13], off
	s_mov_b32 s15, exec_lo
	s_wait_loadcnt 0x0
	v_cmpx_lt_i16_e32 0x7f, v5
	s_xor_b32 s15, exec_lo, s15
	s_cbranch_execz .LBB48_2370
; %bb.2348:
	s_mov_b32 s14, -1
	s_mov_b32 s16, exec_lo
	v_cmpx_eq_u16_e32 0x80, v5
; %bb.2349:
	s_xor_b32 s14, exec_lo, -1
; %bb.2350:
	s_or_b32 exec_lo, exec_lo, s16
	s_delay_alu instid0(SALU_CYCLE_1)
	s_and_b32 s14, s14, exec_lo
	s_or_saveexec_b32 s15, s15
	v_mov_b32_e32 v7, 0x7f800001
	s_xor_b32 exec_lo, exec_lo, s15
	s_cbranch_execnz .LBB48_2371
.LBB48_2351:
	s_or_b32 exec_lo, exec_lo, s15
	s_and_saveexec_b32 s15, s14
	s_cbranch_execz .LBB48_2353
.LBB48_2352:
	v_and_b32_e32 v7, 0xffff, v5
	s_delay_alu instid0(VALU_DEP_1) | instskip(SKIP_1) | instid1(VALU_DEP_2)
	v_dual_lshlrev_b32 v5, 24, v5 :: v_dual_bitop2_b32 v9, 3, v7 bitop3:0x40
	v_bfe_u32 v15, v7, 2, 5
	v_and_b32_e32 v5, 0x80000000, v5
	s_delay_alu instid0(VALU_DEP_3) | instskip(NEXT) | instid1(VALU_DEP_3)
	v_clz_i32_u32_e32 v11, v9
	v_cmp_eq_u32_e32 vcc_lo, 0, v15
	s_delay_alu instid0(VALU_DEP_2) | instskip(NEXT) | instid1(VALU_DEP_1)
	v_min_u32_e32 v11, 32, v11
	v_subrev_nc_u32_e32 v14, 29, v11
	v_sub_nc_u32_e32 v11, 30, v11
	s_delay_alu instid0(VALU_DEP_2) | instskip(NEXT) | instid1(VALU_DEP_2)
	v_lshlrev_b32_e32 v7, v14, v7
	v_cndmask_b32_e32 v11, v15, v11, vcc_lo
	s_delay_alu instid0(VALU_DEP_2) | instskip(NEXT) | instid1(VALU_DEP_1)
	v_and_b32_e32 v7, 3, v7
	v_cndmask_b32_e32 v7, v9, v7, vcc_lo
	s_delay_alu instid0(VALU_DEP_3) | instskip(NEXT) | instid1(VALU_DEP_2)
	v_lshl_add_u32 v9, v11, 23, 0x37800000
	v_lshlrev_b32_e32 v7, 21, v7
	s_delay_alu instid0(VALU_DEP_1)
	v_or3_b32 v7, v5, v9, v7
.LBB48_2353:
	s_or_b32 exec_lo, exec_lo, s15
	s_delay_alu instid0(VALU_DEP_1) | instskip(SKIP_2) | instid1(VALU_DEP_2)
	v_bfe_u32 v5, v7, 16, 1
	v_cmp_o_f32_e32 vcc_lo, v7, v7
	s_mov_b32 s14, 0
	v_add3_u32 v5, v7, v5, 0x7fff
	s_delay_alu instid0(VALU_DEP_1) | instskip(NEXT) | instid1(VALU_DEP_1)
	v_lshrrev_b32_e32 v5, 16, v5
	v_cndmask_b32_e32 v5, 0x7fc0, v5, vcc_lo
	s_branch .LBB48_2359
.LBB48_2354:
	s_mov_b32 s14, -1
                                        ; implicit-def: $vgpr5
	s_branch .LBB48_2365
.LBB48_2355:
	s_or_saveexec_b32 s16, s16
	v_mov_b32_e32 v7, 0x7f800001
	s_xor_b32 exec_lo, exec_lo, s16
	s_cbranch_execz .LBB48_2338
.LBB48_2356:
	v_cmp_ne_u16_e32 vcc_lo, 0, v5
	v_mov_b32_e32 v7, 0
	s_and_not1_b32 s15, s15, exec_lo
	s_and_b32 s17, vcc_lo, exec_lo
	s_delay_alu instid0(SALU_CYCLE_1)
	s_or_b32 s15, s15, s17
	s_or_b32 exec_lo, exec_lo, s16
	s_and_saveexec_b32 s16, s15
	s_cbranch_execnz .LBB48_2339
	s_branch .LBB48_2340
.LBB48_2357:
	s_mov_b32 s14, -1
                                        ; implicit-def: $vgpr5
	s_branch .LBB48_2362
.LBB48_2358:
	s_mov_b32 s14, -1
                                        ; implicit-def: $vgpr5
.LBB48_2359:
	s_delay_alu instid0(SALU_CYCLE_1)
	s_and_b32 vcc_lo, exec_lo, s14
	s_cbranch_vccz .LBB48_2361
; %bb.2360:
	s_wait_loadcnt 0x0
	global_load_u8 v5, v[12:13], off
	s_wait_loadcnt 0x0
	v_lshlrev_b32_e32 v5, 24, v5
	s_delay_alu instid0(VALU_DEP_1) | instskip(NEXT) | instid1(VALU_DEP_1)
	v_and_b32_e32 v7, 0x7f000000, v5
	v_clz_i32_u32_e32 v9, v7
	v_cmp_ne_u32_e32 vcc_lo, 0, v7
	s_wait_xcnt 0x1
	v_add_nc_u32_e32 v14, 0x1000000, v7
	s_delay_alu instid0(VALU_DEP_3) | instskip(NEXT) | instid1(VALU_DEP_1)
	v_min_u32_e32 v9, 32, v9
	v_sub_nc_u32_e64 v9, v9, 4 clamp
	s_delay_alu instid0(VALU_DEP_1) | instskip(NEXT) | instid1(VALU_DEP_1)
	v_dual_lshlrev_b32 v11, v9, v7 :: v_dual_lshlrev_b32 v9, 23, v9
	v_lshrrev_b32_e32 v11, 4, v11
	s_delay_alu instid0(VALU_DEP_1) | instskip(NEXT) | instid1(VALU_DEP_1)
	v_dual_sub_nc_u32 v9, v11, v9 :: v_dual_ashrrev_i32 v11, 8, v14
	v_add_nc_u32_e32 v9, 0x3c000000, v9
	s_delay_alu instid0(VALU_DEP_1) | instskip(NEXT) | instid1(VALU_DEP_1)
	v_and_or_b32 v9, 0x7f800000, v11, v9
	v_cndmask_b32_e32 v7, 0, v9, vcc_lo
	s_delay_alu instid0(VALU_DEP_1) | instskip(SKIP_1) | instid1(VALU_DEP_2)
	v_and_or_b32 v5, 0x80000000, v5, v7
	v_bfe_u32 v7, v7, 16, 1
	v_cmp_o_f32_e32 vcc_lo, v5, v5
	s_delay_alu instid0(VALU_DEP_2) | instskip(NEXT) | instid1(VALU_DEP_1)
	v_add3_u32 v7, v5, v7, 0x7fff
	v_lshrrev_b32_e32 v7, 16, v7
	s_delay_alu instid0(VALU_DEP_1)
	v_cndmask_b32_e32 v5, 0x7fc0, v7, vcc_lo
.LBB48_2361:
	s_mov_b32 s14, 0
.LBB48_2362:
	s_delay_alu instid0(SALU_CYCLE_1)
	s_and_not1_b32 vcc_lo, exec_lo, s14
	s_cbranch_vccnz .LBB48_2364
; %bb.2363:
	s_wait_loadcnt 0x0
	global_load_u8 v5, v[12:13], off
	s_wait_loadcnt 0x0
	v_lshlrev_b32_e32 v7, 25, v5
	v_lshlrev_b16 v5, 8, v5
	s_delay_alu instid0(VALU_DEP_1) | instskip(SKIP_1) | instid1(VALU_DEP_2)
	v_and_or_b32 v11, 0x7f00, v5, 0.5
	v_bfe_i32 v5, v5, 0, 16
	v_add_f32_e32 v11, -0.5, v11
	v_lshrrev_b32_e32 v9, 4, v7
	v_cmp_gt_u32_e32 vcc_lo, 0x8000000, v7
	s_delay_alu instid0(VALU_DEP_2) | instskip(NEXT) | instid1(VALU_DEP_1)
	v_or_b32_e32 v9, 0x70000000, v9
	v_mul_f32_e32 v9, 0x7800000, v9
	s_delay_alu instid0(VALU_DEP_1) | instskip(NEXT) | instid1(VALU_DEP_1)
	v_cndmask_b32_e32 v7, v9, v11, vcc_lo
	v_and_or_b32 v5, 0x80000000, v5, v7
	v_bfe_u32 v7, v7, 16, 1
	s_delay_alu instid0(VALU_DEP_2) | instskip(NEXT) | instid1(VALU_DEP_2)
	v_cmp_o_f32_e32 vcc_lo, v5, v5
	v_add3_u32 v7, v5, v7, 0x7fff
	s_delay_alu instid0(VALU_DEP_1) | instskip(NEXT) | instid1(VALU_DEP_1)
	v_lshrrev_b32_e32 v7, 16, v7
	v_cndmask_b32_e32 v5, 0x7fc0, v7, vcc_lo
.LBB48_2364:
	s_mov_b32 s14, 0
	s_mov_b32 s15, -1
.LBB48_2365:
	s_and_not1_b32 vcc_lo, exec_lo, s14
	s_mov_b32 s14, 0
	s_cbranch_vccnz .LBB48_2376
; %bb.2366:
	s_cmp_gt_i32 s12, 14
	s_cbranch_scc0 .LBB48_2369
; %bb.2367:
	s_cmp_eq_u32 s12, 15
	s_cbranch_scc0 .LBB48_2372
; %bb.2368:
	s_wait_loadcnt 0x0
	global_load_u16 v5, v[12:13], off
	s_mov_b32 s13, 0
	s_mov_b32 s15, -1
	s_branch .LBB48_2374
.LBB48_2369:
	s_mov_b32 s14, -1
	s_branch .LBB48_2373
.LBB48_2370:
	s_or_saveexec_b32 s15, s15
	v_mov_b32_e32 v7, 0x7f800001
	s_xor_b32 exec_lo, exec_lo, s15
	s_cbranch_execz .LBB48_2351
.LBB48_2371:
	v_cmp_ne_u16_e32 vcc_lo, 0, v5
	v_mov_b32_e32 v7, 0
	s_and_not1_b32 s14, s14, exec_lo
	s_and_b32 s16, vcc_lo, exec_lo
	s_delay_alu instid0(SALU_CYCLE_1)
	s_or_b32 s14, s14, s16
	s_or_b32 exec_lo, exec_lo, s15
	s_and_saveexec_b32 s15, s14
	s_cbranch_execnz .LBB48_2352
	s_branch .LBB48_2353
.LBB48_2372:
	s_mov_b32 s13, -1
.LBB48_2373:
                                        ; implicit-def: $vgpr5
.LBB48_2374:
	s_and_b32 vcc_lo, exec_lo, s14
	s_mov_b32 s14, 0
	s_cbranch_vccz .LBB48_2376
; %bb.2375:
	s_cmp_lg_u32 s12, 11
	s_mov_b32 s14, -1
	s_cselect_b32 s13, -1, 0
.LBB48_2376:
	s_delay_alu instid0(SALU_CYCLE_1)
	s_and_b32 vcc_lo, exec_lo, s13
	s_cbranch_vccnz .LBB48_2443
; %bb.2377:
	s_and_not1_b32 vcc_lo, exec_lo, s14
	s_cbranch_vccnz .LBB48_2379
.LBB48_2378:
	s_wait_loadcnt 0x0
	global_load_u8 v5, v[12:13], off
	s_mov_b32 s15, -1
	s_wait_loadcnt 0x0
	v_cmp_ne_u16_e32 vcc_lo, 0, v5
	v_cndmask_b32_e64 v5, 0, 1.0, vcc_lo
	s_delay_alu instid0(VALU_DEP_1)
	v_lshrrev_b32_e32 v5, 16, v5
.LBB48_2379:
	s_mov_b32 s13, 0
.LBB48_2380:
	s_delay_alu instid0(SALU_CYCLE_1)
	s_and_b32 vcc_lo, exec_lo, s13
	s_cbranch_vccz .LBB48_2429
; %bb.2381:
	s_cmp_lt_i32 s12, 5
	s_cbranch_scc1 .LBB48_2386
; %bb.2382:
	s_cmp_lt_i32 s12, 8
	s_cbranch_scc1 .LBB48_2387
	;; [unrolled: 3-line block ×3, first 2 shown]
; %bb.2384:
	s_cmp_gt_i32 s12, 9
	s_cbranch_scc0 .LBB48_2389
; %bb.2385:
	global_load_b64 v[14:15], v[12:13], off
	s_mov_b32 s13, 0
	s_wait_loadcnt 0x0
	v_cvt_f32_f64_e32 v5, v[14:15]
	s_delay_alu instid0(VALU_DEP_1) | instskip(SKIP_1) | instid1(VALU_DEP_2)
	v_bfe_u32 v7, v5, 16, 1
	v_cmp_o_f32_e32 vcc_lo, v5, v5
	v_add3_u32 v7, v5, v7, 0x7fff
	s_delay_alu instid0(VALU_DEP_1) | instskip(NEXT) | instid1(VALU_DEP_1)
	v_lshrrev_b32_e32 v7, 16, v7
	v_cndmask_b32_e32 v5, 0x7fc0, v7, vcc_lo
	s_branch .LBB48_2390
.LBB48_2386:
	s_mov_b32 s13, -1
                                        ; implicit-def: $vgpr5
	s_branch .LBB48_2408
.LBB48_2387:
	s_mov_b32 s13, -1
                                        ; implicit-def: $vgpr5
	s_branch .LBB48_2396
.LBB48_2388:
	s_mov_b32 s13, -1
                                        ; implicit-def: $vgpr5
	s_branch .LBB48_2393
.LBB48_2389:
	s_mov_b32 s13, -1
                                        ; implicit-def: $vgpr5
.LBB48_2390:
	s_delay_alu instid0(SALU_CYCLE_1)
	s_and_not1_b32 vcc_lo, exec_lo, s13
	s_cbranch_vccnz .LBB48_2392
; %bb.2391:
	s_wait_loadcnt 0x0
	global_load_b32 v5, v[12:13], off
	s_wait_loadcnt 0x0
	v_bfe_u32 v7, v5, 16, 1
	v_cmp_o_f32_e32 vcc_lo, v5, v5
	s_delay_alu instid0(VALU_DEP_2) | instskip(NEXT) | instid1(VALU_DEP_1)
	v_add3_u32 v7, v5, v7, 0x7fff
	v_lshrrev_b32_e32 v7, 16, v7
	s_delay_alu instid0(VALU_DEP_1)
	v_cndmask_b32_e32 v5, 0x7fc0, v7, vcc_lo
.LBB48_2392:
	s_mov_b32 s13, 0
.LBB48_2393:
	s_delay_alu instid0(SALU_CYCLE_1)
	s_and_not1_b32 vcc_lo, exec_lo, s13
	s_cbranch_vccnz .LBB48_2395
; %bb.2394:
	s_wait_loadcnt 0x0
	global_load_b32 v5, v[12:13], off
	s_wait_loadcnt 0x0
	v_cvt_f32_f16_e32 v7, v5
	v_cmp_o_f16_e32 vcc_lo, v5, v5
	s_delay_alu instid0(VALU_DEP_2) | instskip(NEXT) | instid1(VALU_DEP_1)
	v_bfe_u32 v9, v7, 16, 1
	v_add3_u32 v7, v7, v9, 0x7fff
	s_delay_alu instid0(VALU_DEP_1) | instskip(NEXT) | instid1(VALU_DEP_1)
	v_lshrrev_b32_e32 v7, 16, v7
	v_cndmask_b32_e32 v5, 0x7fc0, v7, vcc_lo
.LBB48_2395:
	s_mov_b32 s13, 0
.LBB48_2396:
	s_delay_alu instid0(SALU_CYCLE_1)
	s_and_not1_b32 vcc_lo, exec_lo, s13
	s_cbranch_vccnz .LBB48_2407
; %bb.2397:
	s_cmp_lt_i32 s12, 6
	s_cbranch_scc1 .LBB48_2400
; %bb.2398:
	s_cmp_gt_i32 s12, 6
	s_cbranch_scc0 .LBB48_2401
; %bb.2399:
	global_load_b64 v[14:15], v[12:13], off
	s_mov_b32 s13, 0
	s_wait_loadcnt 0x0
	v_cvt_f32_f64_e32 v5, v[14:15]
	s_delay_alu instid0(VALU_DEP_1) | instskip(SKIP_1) | instid1(VALU_DEP_2)
	v_bfe_u32 v7, v5, 16, 1
	v_cmp_o_f32_e32 vcc_lo, v5, v5
	v_add3_u32 v7, v5, v7, 0x7fff
	s_delay_alu instid0(VALU_DEP_1) | instskip(NEXT) | instid1(VALU_DEP_1)
	v_lshrrev_b32_e32 v7, 16, v7
	v_cndmask_b32_e32 v5, 0x7fc0, v7, vcc_lo
	s_branch .LBB48_2402
.LBB48_2400:
	s_mov_b32 s13, -1
                                        ; implicit-def: $vgpr5
	s_branch .LBB48_2405
.LBB48_2401:
	s_mov_b32 s13, -1
                                        ; implicit-def: $vgpr5
.LBB48_2402:
	s_delay_alu instid0(SALU_CYCLE_1)
	s_and_not1_b32 vcc_lo, exec_lo, s13
	s_cbranch_vccnz .LBB48_2404
; %bb.2403:
	s_wait_loadcnt 0x0
	global_load_b32 v5, v[12:13], off
	s_wait_loadcnt 0x0
	v_bfe_u32 v7, v5, 16, 1
	v_cmp_o_f32_e32 vcc_lo, v5, v5
	s_delay_alu instid0(VALU_DEP_2) | instskip(NEXT) | instid1(VALU_DEP_1)
	v_add3_u32 v7, v5, v7, 0x7fff
	v_lshrrev_b32_e32 v7, 16, v7
	s_delay_alu instid0(VALU_DEP_1)
	v_cndmask_b32_e32 v5, 0x7fc0, v7, vcc_lo
.LBB48_2404:
	s_mov_b32 s13, 0
.LBB48_2405:
	s_delay_alu instid0(SALU_CYCLE_1)
	s_and_not1_b32 vcc_lo, exec_lo, s13
	s_cbranch_vccnz .LBB48_2407
; %bb.2406:
	s_wait_loadcnt 0x0
	global_load_u16 v5, v[12:13], off
	s_wait_loadcnt 0x0
	v_cvt_f32_f16_e32 v7, v5
	v_cmp_o_f16_e32 vcc_lo, v5, v5
	s_delay_alu instid0(VALU_DEP_2) | instskip(NEXT) | instid1(VALU_DEP_1)
	v_bfe_u32 v9, v7, 16, 1
	v_add3_u32 v7, v7, v9, 0x7fff
	s_delay_alu instid0(VALU_DEP_1) | instskip(NEXT) | instid1(VALU_DEP_1)
	v_lshrrev_b32_e32 v7, 16, v7
	v_cndmask_b32_e32 v5, 0x7fc0, v7, vcc_lo
.LBB48_2407:
	s_mov_b32 s13, 0
.LBB48_2408:
	s_delay_alu instid0(SALU_CYCLE_1)
	s_and_not1_b32 vcc_lo, exec_lo, s13
	s_cbranch_vccnz .LBB48_2428
; %bb.2409:
	s_cmp_lt_i32 s12, 2
	s_cbranch_scc1 .LBB48_2413
; %bb.2410:
	s_cmp_lt_i32 s12, 3
	s_cbranch_scc1 .LBB48_2414
; %bb.2411:
	s_cmp_gt_i32 s12, 3
	s_cbranch_scc0 .LBB48_2415
; %bb.2412:
	global_load_b64 v[14:15], v[12:13], off
	s_mov_b32 s13, 0
	s_wait_loadcnt 0x0
	v_xor_b32_e32 v5, v14, v15
	v_cls_i32_e32 v7, v15
	s_delay_alu instid0(VALU_DEP_2) | instskip(NEXT) | instid1(VALU_DEP_1)
	v_ashrrev_i32_e32 v5, 31, v5
	v_add_nc_u32_e32 v5, 32, v5
	s_delay_alu instid0(VALU_DEP_1) | instskip(NEXT) | instid1(VALU_DEP_1)
	v_add_min_u32_e64 v5, v7, -1, v5
	v_lshlrev_b64_e32 v[14:15], v5, v[14:15]
	v_sub_nc_u32_e32 v5, 32, v5
	s_delay_alu instid0(VALU_DEP_2) | instskip(NEXT) | instid1(VALU_DEP_1)
	v_min_u32_e32 v7, 1, v14
	v_or_b32_e32 v7, v15, v7
	s_delay_alu instid0(VALU_DEP_1) | instskip(NEXT) | instid1(VALU_DEP_1)
	v_cvt_f32_i32_e32 v7, v7
	v_ldexp_f32 v5, v7, v5
	s_delay_alu instid0(VALU_DEP_1) | instskip(NEXT) | instid1(VALU_DEP_1)
	v_bfe_u32 v7, v5, 16, 1
	v_add3_u32 v5, v5, v7, 0x7fff
	s_delay_alu instid0(VALU_DEP_1)
	v_lshrrev_b32_e32 v5, 16, v5
	s_branch .LBB48_2416
.LBB48_2413:
	s_mov_b32 s13, -1
                                        ; implicit-def: $vgpr5
	s_branch .LBB48_2422
.LBB48_2414:
	s_mov_b32 s13, -1
                                        ; implicit-def: $vgpr5
	s_branch .LBB48_2419
.LBB48_2415:
	s_mov_b32 s13, -1
                                        ; implicit-def: $vgpr5
.LBB48_2416:
	s_delay_alu instid0(SALU_CYCLE_1)
	s_and_not1_b32 vcc_lo, exec_lo, s13
	s_cbranch_vccnz .LBB48_2418
; %bb.2417:
	s_wait_loadcnt 0x0
	global_load_b32 v5, v[12:13], off
	s_wait_loadcnt 0x0
	v_cvt_f32_i32_e32 v5, v5
	s_delay_alu instid0(VALU_DEP_1) | instskip(NEXT) | instid1(VALU_DEP_1)
	v_bfe_u32 v7, v5, 16, 1
	v_add3_u32 v5, v5, v7, 0x7fff
	s_delay_alu instid0(VALU_DEP_1)
	v_lshrrev_b32_e32 v5, 16, v5
.LBB48_2418:
	s_mov_b32 s13, 0
.LBB48_2419:
	s_delay_alu instid0(SALU_CYCLE_1)
	s_and_not1_b32 vcc_lo, exec_lo, s13
	s_cbranch_vccnz .LBB48_2421
; %bb.2420:
	s_wait_loadcnt 0x0
	global_load_i16 v5, v[12:13], off
	s_wait_loadcnt 0x0
	v_cvt_f32_i32_e32 v5, v5
	s_delay_alu instid0(VALU_DEP_1) | instskip(NEXT) | instid1(VALU_DEP_1)
	v_bfe_u32 v7, v5, 16, 1
	v_add3_u32 v5, v5, v7, 0x7fff
	s_delay_alu instid0(VALU_DEP_1)
	v_lshrrev_b32_e32 v5, 16, v5
.LBB48_2421:
	s_mov_b32 s13, 0
.LBB48_2422:
	s_delay_alu instid0(SALU_CYCLE_1)
	s_and_not1_b32 vcc_lo, exec_lo, s13
	s_cbranch_vccnz .LBB48_2428
; %bb.2423:
	s_cmp_gt_i32 s12, 0
	s_mov_b32 s13, 0
	s_cbranch_scc0 .LBB48_2425
; %bb.2424:
	s_wait_loadcnt 0x0
	global_load_i8 v5, v[12:13], off
	s_wait_loadcnt 0x0
	v_cvt_f32_i32_e32 v5, v5
	s_delay_alu instid0(VALU_DEP_1) | instskip(NEXT) | instid1(VALU_DEP_1)
	v_bfe_u32 v7, v5, 16, 1
	v_add3_u32 v5, v5, v7, 0x7fff
	s_delay_alu instid0(VALU_DEP_1)
	v_lshrrev_b32_e32 v5, 16, v5
	s_branch .LBB48_2426
.LBB48_2425:
	s_mov_b32 s13, -1
                                        ; implicit-def: $vgpr5
.LBB48_2426:
	s_delay_alu instid0(SALU_CYCLE_1)
	s_and_not1_b32 vcc_lo, exec_lo, s13
	s_cbranch_vccnz .LBB48_2428
; %bb.2427:
	s_wait_loadcnt 0x0
	global_load_u8 v5, v[12:13], off
	s_wait_loadcnt 0x0
	v_cvt_f32_ubyte0_e32 v5, v5
	s_delay_alu instid0(VALU_DEP_1) | instskip(NEXT) | instid1(VALU_DEP_1)
	v_bfe_u32 v7, v5, 16, 1
	v_add3_u32 v5, v5, v7, 0x7fff
	s_delay_alu instid0(VALU_DEP_1)
	v_lshrrev_b32_e32 v5, 16, v5
.LBB48_2428:
	s_mov_b32 s15, -1
.LBB48_2429:
	s_delay_alu instid0(SALU_CYCLE_1)
	s_and_not1_b32 vcc_lo, exec_lo, s15
	s_cbranch_vccnz .LBB48_2774
; %bb.2430:
	s_wait_loadcnt 0x0
	v_lshlrev_b32_e32 v7, 16, v16
	s_mov_b32 s13, exec_lo
	s_wait_xcnt 0x0
	s_delay_alu instid0(VALU_DEP_1)
	v_cmpx_nlt_f32_e32 0, v7
	s_cbranch_execz .LBB48_2432
; %bb.2431:
	v_lshlrev_b32_e32 v5, 16, v5
	s_delay_alu instid0(VALU_DEP_1) | instskip(NEXT) | instid1(VALU_DEP_1)
	v_mul_f32_e32 v5, v7, v5
	v_bfe_u32 v7, v5, 16, 1
	v_cmp_o_f32_e32 vcc_lo, v5, v5
	s_delay_alu instid0(VALU_DEP_2) | instskip(NEXT) | instid1(VALU_DEP_1)
	v_add3_u32 v7, v5, v7, 0x7fff
	v_lshrrev_b32_e32 v7, 16, v7
	s_delay_alu instid0(VALU_DEP_1)
	v_cndmask_b32_e32 v16, 0x7fc0, v7, vcc_lo
.LBB48_2432:
	s_or_b32 exec_lo, exec_lo, s13
	v_mov_b32_e32 v11, 0
	s_cmp_lt_i32 s11, 11
	s_delay_alu instid0(VALU_DEP_1)
	v_add_nc_u64_e32 v[10:11], s[6:7], v[10:11]
	s_cbranch_scc1 .LBB48_2439
; %bb.2433:
	s_cmp_gt_i32 s11, 25
	s_mov_b32 s7, 0
	s_cbranch_scc0 .LBB48_2440
; %bb.2434:
	s_cmp_gt_i32 s11, 28
	s_cbranch_scc0 .LBB48_2441
; %bb.2435:
	s_cmp_gt_i32 s11, 43
	;; [unrolled: 3-line block ×3, first 2 shown]
	s_cbranch_scc0 .LBB48_2444
; %bb.2437:
	s_cmp_eq_u32 s11, 46
	s_mov_b32 s14, 0
	s_cbranch_scc0 .LBB48_2445
; %bb.2438:
	global_load_b32 v12, v[10:11], off
	s_mov_b32 s6, 0
	s_mov_b32 s13, -1
	s_branch .LBB48_2447
.LBB48_2439:
	s_mov_b32 s6, -1
	s_mov_b32 s13, 0
                                        ; implicit-def: $vgpr12
	s_branch .LBB48_2513
.LBB48_2440:
	s_mov_b32 s14, -1
	s_mov_b32 s13, 0
	s_mov_b32 s6, 0
                                        ; implicit-def: $vgpr12
	s_branch .LBB48_2476
.LBB48_2441:
	s_mov_b32 s14, -1
	s_mov_b32 s13, 0
	s_mov_b32 s6, 0
                                        ; implicit-def: $vgpr12
	s_branch .LBB48_2457
.LBB48_2442:
	s_mov_b32 s14, -1
	s_mov_b32 s13, 0
	s_mov_b32 s6, 0
                                        ; implicit-def: $vgpr12
	s_branch .LBB48_2452
.LBB48_2443:
	s_or_b32 s10, s10, exec_lo
	s_trap 2
	s_cbranch_execz .LBB48_2378
	s_branch .LBB48_2379
.LBB48_2444:
	s_mov_b32 s14, -1
	s_mov_b32 s13, 0
	s_mov_b32 s6, 0
	s_branch .LBB48_2446
.LBB48_2445:
	s_mov_b32 s6, -1
	s_mov_b32 s13, 0
.LBB48_2446:
                                        ; implicit-def: $vgpr12
.LBB48_2447:
	s_and_b32 vcc_lo, exec_lo, s14
	s_cbranch_vccz .LBB48_2451
; %bb.2448:
	s_cmp_eq_u32 s11, 44
	s_cbranch_scc0 .LBB48_2450
; %bb.2449:
	global_load_u8 v5, v[10:11], off
	s_mov_b32 s6, 0
	s_mov_b32 s13, -1
	s_wait_loadcnt 0x0
	v_lshlrev_b32_e32 v7, 23, v5
	v_cmp_ne_u32_e32 vcc_lo, 0xff, v5
	s_delay_alu instid0(VALU_DEP_2) | instskip(SKIP_1) | instid1(VALU_DEP_2)
	v_cndmask_b32_e32 v7, 0x7f800001, v7, vcc_lo
	v_cmp_ne_u32_e32 vcc_lo, 0, v5
	v_cndmask_b32_e32 v5, 0x400000, v7, vcc_lo
	s_delay_alu instid0(VALU_DEP_1) | instskip(SKIP_1) | instid1(VALU_DEP_2)
	v_add_nc_u32_e32 v7, 0x7fff, v5
	v_cmp_o_f32_e32 vcc_lo, v5, v5
	v_lshrrev_b32_e32 v7, 16, v7
	s_delay_alu instid0(VALU_DEP_1)
	v_cndmask_b32_e32 v12, 0x7fc0, v7, vcc_lo
	s_branch .LBB48_2451
.LBB48_2450:
	s_mov_b32 s6, -1
                                        ; implicit-def: $vgpr12
.LBB48_2451:
	s_mov_b32 s14, 0
.LBB48_2452:
	s_delay_alu instid0(SALU_CYCLE_1)
	s_and_b32 vcc_lo, exec_lo, s14
	s_cbranch_vccz .LBB48_2456
; %bb.2453:
	s_cmp_eq_u32 s11, 29
	s_cbranch_scc0 .LBB48_2455
; %bb.2454:
	s_wait_loadcnt 0x0
	global_load_b64 v[12:13], v[10:11], off
	s_mov_b32 s6, 0
	s_mov_b32 s13, -1
	s_mov_b32 s14, 0
	s_wait_loadcnt 0x0
	v_clz_i32_u32_e32 v5, v13
	s_delay_alu instid0(VALU_DEP_1) | instskip(NEXT) | instid1(VALU_DEP_1)
	v_min_u32_e32 v5, 32, v5
	v_lshlrev_b64_e32 v[12:13], v5, v[12:13]
	v_sub_nc_u32_e32 v5, 32, v5
	s_delay_alu instid0(VALU_DEP_2) | instskip(NEXT) | instid1(VALU_DEP_1)
	v_min_u32_e32 v7, 1, v12
	v_or_b32_e32 v7, v13, v7
	s_delay_alu instid0(VALU_DEP_1) | instskip(NEXT) | instid1(VALU_DEP_1)
	v_cvt_f32_u32_e32 v7, v7
	v_ldexp_f32 v5, v7, v5
	s_delay_alu instid0(VALU_DEP_1) | instskip(NEXT) | instid1(VALU_DEP_1)
	v_bfe_u32 v7, v5, 16, 1
	v_add3_u32 v5, v5, v7, 0x7fff
	s_delay_alu instid0(VALU_DEP_1)
	v_lshrrev_b32_e32 v12, 16, v5
	s_branch .LBB48_2457
.LBB48_2455:
	s_mov_b32 s6, -1
                                        ; implicit-def: $vgpr12
.LBB48_2456:
	s_mov_b32 s14, 0
.LBB48_2457:
	s_delay_alu instid0(SALU_CYCLE_1)
	s_and_b32 vcc_lo, exec_lo, s14
	s_cbranch_vccz .LBB48_2475
; %bb.2458:
	s_cmp_lt_i32 s11, 27
	s_cbranch_scc1 .LBB48_2461
; %bb.2459:
	s_cmp_gt_i32 s11, 27
	s_cbranch_scc0 .LBB48_2462
; %bb.2460:
	global_load_b32 v5, v[10:11], off
	s_mov_b32 s13, 0
	s_wait_loadcnt 0x0
	v_cvt_f32_u32_e32 v5, v5
	s_delay_alu instid0(VALU_DEP_1) | instskip(NEXT) | instid1(VALU_DEP_1)
	v_bfe_u32 v7, v5, 16, 1
	v_add3_u32 v5, v5, v7, 0x7fff
	s_delay_alu instid0(VALU_DEP_1)
	v_lshrrev_b32_e32 v12, 16, v5
	s_branch .LBB48_2463
.LBB48_2461:
	s_mov_b32 s13, -1
                                        ; implicit-def: $vgpr12
	s_branch .LBB48_2466
.LBB48_2462:
	s_mov_b32 s13, -1
                                        ; implicit-def: $vgpr12
.LBB48_2463:
	s_delay_alu instid0(SALU_CYCLE_1)
	s_and_not1_b32 vcc_lo, exec_lo, s13
	s_cbranch_vccnz .LBB48_2465
; %bb.2464:
	global_load_u16 v5, v[10:11], off
	s_wait_loadcnt 0x0
	v_cvt_f32_u32_e32 v5, v5
	s_delay_alu instid0(VALU_DEP_1) | instskip(NEXT) | instid1(VALU_DEP_1)
	v_bfe_u32 v7, v5, 16, 1
	v_add3_u32 v5, v5, v7, 0x7fff
	s_delay_alu instid0(VALU_DEP_1)
	v_lshrrev_b32_e32 v12, 16, v5
.LBB48_2465:
	s_mov_b32 s13, 0
.LBB48_2466:
	s_delay_alu instid0(SALU_CYCLE_1)
	s_and_not1_b32 vcc_lo, exec_lo, s13
	s_cbranch_vccnz .LBB48_2474
; %bb.2467:
	global_load_u8 v5, v[10:11], off
	s_mov_b32 s13, 0
	s_mov_b32 s14, exec_lo
	s_wait_loadcnt 0x0
	v_cmpx_lt_i16_e32 0x7f, v5
	s_xor_b32 s14, exec_lo, s14
	s_cbranch_execz .LBB48_2488
; %bb.2468:
	s_mov_b32 s13, -1
	s_mov_b32 s15, exec_lo
	v_cmpx_eq_u16_e32 0x80, v5
; %bb.2469:
	s_xor_b32 s13, exec_lo, -1
; %bb.2470:
	s_or_b32 exec_lo, exec_lo, s15
	s_delay_alu instid0(SALU_CYCLE_1)
	s_and_b32 s13, s13, exec_lo
	s_or_saveexec_b32 s14, s14
	v_mov_b32_e32 v7, 0x7f800001
	s_xor_b32 exec_lo, exec_lo, s14
	s_cbranch_execnz .LBB48_2489
.LBB48_2471:
	s_or_b32 exec_lo, exec_lo, s14
	s_and_saveexec_b32 s14, s13
	s_cbranch_execz .LBB48_2473
.LBB48_2472:
	v_and_b32_e32 v7, 0xffff, v5
	s_delay_alu instid0(VALU_DEP_1) | instskip(SKIP_1) | instid1(VALU_DEP_2)
	v_and_b32_e32 v9, 7, v7
	v_bfe_u32 v14, v7, 3, 4
	v_clz_i32_u32_e32 v12, v9
	s_delay_alu instid0(VALU_DEP_2) | instskip(NEXT) | instid1(VALU_DEP_2)
	v_cmp_eq_u32_e32 vcc_lo, 0, v14
	v_min_u32_e32 v12, 32, v12
	s_delay_alu instid0(VALU_DEP_1) | instskip(NEXT) | instid1(VALU_DEP_1)
	v_subrev_nc_u32_e32 v13, 28, v12
	v_dual_lshlrev_b32 v7, v13, v7 :: v_dual_sub_nc_u32 v12, 29, v12
	s_delay_alu instid0(VALU_DEP_1) | instskip(NEXT) | instid1(VALU_DEP_1)
	v_dual_lshlrev_b32 v5, 24, v5 :: v_dual_bitop2_b32 v7, 7, v7 bitop3:0x40
	v_dual_cndmask_b32 v12, v14, v12 :: v_dual_cndmask_b32 v7, v9, v7
	s_delay_alu instid0(VALU_DEP_2) | instskip(NEXT) | instid1(VALU_DEP_2)
	v_and_b32_e32 v5, 0x80000000, v5
	v_lshl_add_u32 v9, v12, 23, 0x3b800000
	s_delay_alu instid0(VALU_DEP_3) | instskip(NEXT) | instid1(VALU_DEP_1)
	v_lshlrev_b32_e32 v7, 20, v7
	v_or3_b32 v7, v5, v9, v7
.LBB48_2473:
	s_or_b32 exec_lo, exec_lo, s14
	s_delay_alu instid0(VALU_DEP_1) | instskip(SKIP_1) | instid1(VALU_DEP_2)
	v_bfe_u32 v5, v7, 16, 1
	v_cmp_o_f32_e32 vcc_lo, v7, v7
	v_add3_u32 v5, v7, v5, 0x7fff
	s_delay_alu instid0(VALU_DEP_1) | instskip(NEXT) | instid1(VALU_DEP_1)
	v_lshrrev_b32_e32 v5, 16, v5
	v_cndmask_b32_e32 v12, 0x7fc0, v5, vcc_lo
.LBB48_2474:
	s_mov_b32 s13, -1
.LBB48_2475:
	s_mov_b32 s14, 0
.LBB48_2476:
	s_delay_alu instid0(SALU_CYCLE_1)
	s_and_b32 vcc_lo, exec_lo, s14
	s_cbranch_vccz .LBB48_2509
; %bb.2477:
	s_cmp_gt_i32 s11, 22
	s_cbranch_scc0 .LBB48_2487
; %bb.2478:
	s_cmp_lt_i32 s11, 24
	s_cbranch_scc1 .LBB48_2490
; %bb.2479:
	s_cmp_gt_i32 s11, 24
	s_cbranch_scc0 .LBB48_2491
; %bb.2480:
	global_load_u8 v5, v[10:11], off
	s_mov_b32 s13, exec_lo
	s_wait_loadcnt 0x0
	v_cmpx_lt_i16_e32 0x7f, v5
	s_xor_b32 s13, exec_lo, s13
	s_cbranch_execz .LBB48_2503
; %bb.2481:
	s_mov_b32 s7, -1
	s_mov_b32 s14, exec_lo
	v_cmpx_eq_u16_e32 0x80, v5
; %bb.2482:
	s_xor_b32 s7, exec_lo, -1
; %bb.2483:
	s_or_b32 exec_lo, exec_lo, s14
	s_delay_alu instid0(SALU_CYCLE_1)
	s_and_b32 s7, s7, exec_lo
	s_or_saveexec_b32 s13, s13
	v_mov_b32_e32 v7, 0x7f800001
	s_xor_b32 exec_lo, exec_lo, s13
	s_cbranch_execnz .LBB48_2504
.LBB48_2484:
	s_or_b32 exec_lo, exec_lo, s13
	s_and_saveexec_b32 s13, s7
	s_cbranch_execz .LBB48_2486
.LBB48_2485:
	v_and_b32_e32 v7, 0xffff, v5
	s_delay_alu instid0(VALU_DEP_1) | instskip(SKIP_1) | instid1(VALU_DEP_2)
	v_and_b32_e32 v9, 3, v7
	v_bfe_u32 v14, v7, 2, 5
	v_clz_i32_u32_e32 v12, v9
	s_delay_alu instid0(VALU_DEP_2) | instskip(NEXT) | instid1(VALU_DEP_2)
	v_cmp_eq_u32_e32 vcc_lo, 0, v14
	v_min_u32_e32 v12, 32, v12
	s_delay_alu instid0(VALU_DEP_1) | instskip(NEXT) | instid1(VALU_DEP_1)
	v_subrev_nc_u32_e32 v13, 29, v12
	v_dual_lshlrev_b32 v7, v13, v7 :: v_dual_sub_nc_u32 v12, 30, v12
	s_delay_alu instid0(VALU_DEP_1) | instskip(NEXT) | instid1(VALU_DEP_1)
	v_dual_lshlrev_b32 v5, 24, v5 :: v_dual_bitop2_b32 v7, 3, v7 bitop3:0x40
	v_dual_cndmask_b32 v12, v14, v12 :: v_dual_cndmask_b32 v7, v9, v7
	s_delay_alu instid0(VALU_DEP_2) | instskip(NEXT) | instid1(VALU_DEP_2)
	v_and_b32_e32 v5, 0x80000000, v5
	v_lshl_add_u32 v9, v12, 23, 0x37800000
	s_delay_alu instid0(VALU_DEP_3) | instskip(NEXT) | instid1(VALU_DEP_1)
	v_lshlrev_b32_e32 v7, 21, v7
	v_or3_b32 v7, v5, v9, v7
.LBB48_2486:
	s_or_b32 exec_lo, exec_lo, s13
	s_delay_alu instid0(VALU_DEP_1) | instskip(SKIP_2) | instid1(VALU_DEP_2)
	v_bfe_u32 v5, v7, 16, 1
	v_cmp_o_f32_e32 vcc_lo, v7, v7
	s_mov_b32 s7, 0
	v_add3_u32 v5, v7, v5, 0x7fff
	s_delay_alu instid0(VALU_DEP_1) | instskip(NEXT) | instid1(VALU_DEP_1)
	v_lshrrev_b32_e32 v5, 16, v5
	v_cndmask_b32_e32 v12, 0x7fc0, v5, vcc_lo
	s_branch .LBB48_2492
.LBB48_2487:
	s_mov_b32 s7, -1
                                        ; implicit-def: $vgpr12
	s_branch .LBB48_2498
.LBB48_2488:
	s_or_saveexec_b32 s14, s14
	v_mov_b32_e32 v7, 0x7f800001
	s_xor_b32 exec_lo, exec_lo, s14
	s_cbranch_execz .LBB48_2471
.LBB48_2489:
	v_cmp_ne_u16_e32 vcc_lo, 0, v5
	v_mov_b32_e32 v7, 0
	s_and_not1_b32 s13, s13, exec_lo
	s_and_b32 s15, vcc_lo, exec_lo
	s_delay_alu instid0(SALU_CYCLE_1)
	s_or_b32 s13, s13, s15
	s_or_b32 exec_lo, exec_lo, s14
	s_and_saveexec_b32 s14, s13
	s_cbranch_execnz .LBB48_2472
	s_branch .LBB48_2473
.LBB48_2490:
	s_mov_b32 s7, -1
                                        ; implicit-def: $vgpr12
	s_branch .LBB48_2495
.LBB48_2491:
	s_mov_b32 s7, -1
                                        ; implicit-def: $vgpr12
.LBB48_2492:
	s_delay_alu instid0(SALU_CYCLE_1)
	s_and_b32 vcc_lo, exec_lo, s7
	s_cbranch_vccz .LBB48_2494
; %bb.2493:
	global_load_u8 v5, v[10:11], off
	s_wait_loadcnt 0x0
	v_lshlrev_b32_e32 v5, 24, v5
	s_delay_alu instid0(VALU_DEP_1) | instskip(NEXT) | instid1(VALU_DEP_1)
	v_and_b32_e32 v7, 0x7f000000, v5
	v_clz_i32_u32_e32 v9, v7
	v_add_nc_u32_e32 v13, 0x1000000, v7
	v_cmp_ne_u32_e32 vcc_lo, 0, v7
	s_delay_alu instid0(VALU_DEP_3) | instskip(NEXT) | instid1(VALU_DEP_1)
	v_min_u32_e32 v9, 32, v9
	v_sub_nc_u32_e64 v9, v9, 4 clamp
	s_delay_alu instid0(VALU_DEP_1) | instskip(NEXT) | instid1(VALU_DEP_1)
	v_dual_lshlrev_b32 v12, v9, v7 :: v_dual_lshlrev_b32 v9, 23, v9
	v_lshrrev_b32_e32 v12, 4, v12
	s_delay_alu instid0(VALU_DEP_1) | instskip(SKIP_1) | instid1(VALU_DEP_2)
	v_sub_nc_u32_e32 v9, v12, v9
	v_ashrrev_i32_e32 v12, 8, v13
	v_add_nc_u32_e32 v9, 0x3c000000, v9
	s_delay_alu instid0(VALU_DEP_1) | instskip(NEXT) | instid1(VALU_DEP_1)
	v_and_or_b32 v9, 0x7f800000, v12, v9
	v_cndmask_b32_e32 v7, 0, v9, vcc_lo
	s_delay_alu instid0(VALU_DEP_1) | instskip(SKIP_1) | instid1(VALU_DEP_2)
	v_and_or_b32 v5, 0x80000000, v5, v7
	v_bfe_u32 v7, v7, 16, 1
	v_cmp_o_f32_e32 vcc_lo, v5, v5
	s_delay_alu instid0(VALU_DEP_2) | instskip(NEXT) | instid1(VALU_DEP_1)
	v_add3_u32 v7, v5, v7, 0x7fff
	v_lshrrev_b32_e32 v7, 16, v7
	s_delay_alu instid0(VALU_DEP_1)
	v_cndmask_b32_e32 v12, 0x7fc0, v7, vcc_lo
.LBB48_2494:
	s_mov_b32 s7, 0
.LBB48_2495:
	s_delay_alu instid0(SALU_CYCLE_1)
	s_and_not1_b32 vcc_lo, exec_lo, s7
	s_cbranch_vccnz .LBB48_2497
; %bb.2496:
	global_load_u8 v5, v[10:11], off
	s_wait_loadcnt 0x0
	v_lshlrev_b32_e32 v7, 25, v5
	v_lshlrev_b16 v5, 8, v5
	s_delay_alu instid0(VALU_DEP_1) | instskip(SKIP_1) | instid1(VALU_DEP_2)
	v_and_or_b32 v12, 0x7f00, v5, 0.5
	v_bfe_i32 v5, v5, 0, 16
	v_dual_add_f32 v12, -0.5, v12 :: v_dual_lshrrev_b32 v9, 4, v7
	v_cmp_gt_u32_e32 vcc_lo, 0x8000000, v7
	s_delay_alu instid0(VALU_DEP_2) | instskip(NEXT) | instid1(VALU_DEP_1)
	v_or_b32_e32 v9, 0x70000000, v9
	v_mul_f32_e32 v9, 0x7800000, v9
	s_delay_alu instid0(VALU_DEP_1) | instskip(NEXT) | instid1(VALU_DEP_1)
	v_cndmask_b32_e32 v7, v9, v12, vcc_lo
	v_and_or_b32 v5, 0x80000000, v5, v7
	v_bfe_u32 v7, v7, 16, 1
	s_delay_alu instid0(VALU_DEP_2) | instskip(NEXT) | instid1(VALU_DEP_2)
	v_cmp_o_f32_e32 vcc_lo, v5, v5
	v_add3_u32 v7, v5, v7, 0x7fff
	s_delay_alu instid0(VALU_DEP_1) | instskip(NEXT) | instid1(VALU_DEP_1)
	v_lshrrev_b32_e32 v7, 16, v7
	v_cndmask_b32_e32 v12, 0x7fc0, v7, vcc_lo
.LBB48_2497:
	s_mov_b32 s7, 0
	s_mov_b32 s13, -1
.LBB48_2498:
	s_and_not1_b32 vcc_lo, exec_lo, s7
	s_mov_b32 s7, 0
	s_cbranch_vccnz .LBB48_2509
; %bb.2499:
	s_cmp_gt_i32 s11, 14
	s_cbranch_scc0 .LBB48_2502
; %bb.2500:
	s_cmp_eq_u32 s11, 15
	s_cbranch_scc0 .LBB48_2505
; %bb.2501:
	s_wait_loadcnt 0x0
	global_load_u16 v12, v[10:11], off
	s_mov_b32 s6, 0
	s_mov_b32 s13, -1
	s_branch .LBB48_2507
.LBB48_2502:
	s_mov_b32 s7, -1
	s_branch .LBB48_2506
.LBB48_2503:
	s_or_saveexec_b32 s13, s13
	v_mov_b32_e32 v7, 0x7f800001
	s_xor_b32 exec_lo, exec_lo, s13
	s_cbranch_execz .LBB48_2484
.LBB48_2504:
	v_cmp_ne_u16_e32 vcc_lo, 0, v5
	v_mov_b32_e32 v7, 0
	s_and_not1_b32 s7, s7, exec_lo
	s_and_b32 s14, vcc_lo, exec_lo
	s_delay_alu instid0(SALU_CYCLE_1)
	s_or_b32 s7, s7, s14
	s_or_b32 exec_lo, exec_lo, s13
	s_and_saveexec_b32 s13, s7
	s_cbranch_execnz .LBB48_2485
	s_branch .LBB48_2486
.LBB48_2505:
	s_mov_b32 s6, -1
.LBB48_2506:
                                        ; implicit-def: $vgpr12
.LBB48_2507:
	s_and_b32 vcc_lo, exec_lo, s7
	s_mov_b32 s7, 0
	s_cbranch_vccz .LBB48_2509
; %bb.2508:
	s_cmp_lg_u32 s11, 11
	s_mov_b32 s7, -1
	s_cselect_b32 s6, -1, 0
.LBB48_2509:
	s_delay_alu instid0(SALU_CYCLE_1)
	s_and_b32 vcc_lo, exec_lo, s6
	s_cbranch_vccnz .LBB48_2574
; %bb.2510:
	s_and_not1_b32 vcc_lo, exec_lo, s7
	s_cbranch_vccnz .LBB48_2512
.LBB48_2511:
	global_load_u8 v5, v[10:11], off
	s_mov_b32 s13, -1
	s_wait_loadcnt 0x0
	v_cmp_ne_u16_e32 vcc_lo, 0, v5
	v_cndmask_b32_e64 v5, 0, 1.0, vcc_lo
	s_delay_alu instid0(VALU_DEP_1)
	v_lshrrev_b32_e32 v12, 16, v5
.LBB48_2512:
	s_mov_b32 s6, 0
.LBB48_2513:
	s_delay_alu instid0(SALU_CYCLE_1)
	s_and_b32 vcc_lo, exec_lo, s6
	s_cbranch_vccz .LBB48_2562
; %bb.2514:
	s_cmp_lt_i32 s11, 5
	s_cbranch_scc1 .LBB48_2519
; %bb.2515:
	s_cmp_lt_i32 s11, 8
	s_cbranch_scc1 .LBB48_2520
	;; [unrolled: 3-line block ×3, first 2 shown]
; %bb.2517:
	s_cmp_gt_i32 s11, 9
	s_cbranch_scc0 .LBB48_2522
; %bb.2518:
	s_wait_loadcnt 0x0
	global_load_b64 v[12:13], v[10:11], off
	s_mov_b32 s6, 0
	s_wait_loadcnt 0x0
	v_cvt_f32_f64_e32 v5, v[12:13]
	s_delay_alu instid0(VALU_DEP_1) | instskip(SKIP_1) | instid1(VALU_DEP_2)
	v_bfe_u32 v7, v5, 16, 1
	v_cmp_o_f32_e32 vcc_lo, v5, v5
	v_add3_u32 v7, v5, v7, 0x7fff
	s_delay_alu instid0(VALU_DEP_1) | instskip(NEXT) | instid1(VALU_DEP_1)
	v_lshrrev_b32_e32 v7, 16, v7
	v_cndmask_b32_e32 v12, 0x7fc0, v7, vcc_lo
	s_branch .LBB48_2523
.LBB48_2519:
	s_mov_b32 s6, -1
                                        ; implicit-def: $vgpr12
	s_branch .LBB48_2541
.LBB48_2520:
	s_mov_b32 s6, -1
                                        ; implicit-def: $vgpr12
	s_branch .LBB48_2529
.LBB48_2521:
	s_mov_b32 s6, -1
                                        ; implicit-def: $vgpr12
	s_branch .LBB48_2526
.LBB48_2522:
	s_mov_b32 s6, -1
                                        ; implicit-def: $vgpr12
.LBB48_2523:
	s_delay_alu instid0(SALU_CYCLE_1)
	s_and_not1_b32 vcc_lo, exec_lo, s6
	s_cbranch_vccnz .LBB48_2525
; %bb.2524:
	global_load_b32 v5, v[10:11], off
	s_wait_loadcnt 0x0
	v_bfe_u32 v7, v5, 16, 1
	v_cmp_o_f32_e32 vcc_lo, v5, v5
	s_delay_alu instid0(VALU_DEP_2) | instskip(NEXT) | instid1(VALU_DEP_1)
	v_add3_u32 v7, v5, v7, 0x7fff
	v_lshrrev_b32_e32 v7, 16, v7
	s_delay_alu instid0(VALU_DEP_1)
	v_cndmask_b32_e32 v12, 0x7fc0, v7, vcc_lo
.LBB48_2525:
	s_mov_b32 s6, 0
.LBB48_2526:
	s_delay_alu instid0(SALU_CYCLE_1)
	s_and_not1_b32 vcc_lo, exec_lo, s6
	s_cbranch_vccnz .LBB48_2528
; %bb.2527:
	global_load_b32 v5, v[10:11], off
	s_wait_loadcnt 0x0
	v_cvt_f32_f16_e32 v7, v5
	v_cmp_o_f16_e32 vcc_lo, v5, v5
	s_delay_alu instid0(VALU_DEP_2) | instskip(NEXT) | instid1(VALU_DEP_1)
	v_bfe_u32 v9, v7, 16, 1
	v_add3_u32 v7, v7, v9, 0x7fff
	s_delay_alu instid0(VALU_DEP_1) | instskip(NEXT) | instid1(VALU_DEP_1)
	v_lshrrev_b32_e32 v7, 16, v7
	v_cndmask_b32_e32 v12, 0x7fc0, v7, vcc_lo
.LBB48_2528:
	s_mov_b32 s6, 0
.LBB48_2529:
	s_delay_alu instid0(SALU_CYCLE_1)
	s_and_not1_b32 vcc_lo, exec_lo, s6
	s_cbranch_vccnz .LBB48_2540
; %bb.2530:
	s_cmp_lt_i32 s11, 6
	s_cbranch_scc1 .LBB48_2533
; %bb.2531:
	s_cmp_gt_i32 s11, 6
	s_cbranch_scc0 .LBB48_2534
; %bb.2532:
	s_wait_loadcnt 0x0
	global_load_b64 v[12:13], v[10:11], off
	s_mov_b32 s6, 0
	s_wait_loadcnt 0x0
	v_cvt_f32_f64_e32 v5, v[12:13]
	s_delay_alu instid0(VALU_DEP_1) | instskip(SKIP_1) | instid1(VALU_DEP_2)
	v_bfe_u32 v7, v5, 16, 1
	v_cmp_o_f32_e32 vcc_lo, v5, v5
	v_add3_u32 v7, v5, v7, 0x7fff
	s_delay_alu instid0(VALU_DEP_1) | instskip(NEXT) | instid1(VALU_DEP_1)
	v_lshrrev_b32_e32 v7, 16, v7
	v_cndmask_b32_e32 v12, 0x7fc0, v7, vcc_lo
	s_branch .LBB48_2535
.LBB48_2533:
	s_mov_b32 s6, -1
                                        ; implicit-def: $vgpr12
	s_branch .LBB48_2538
.LBB48_2534:
	s_mov_b32 s6, -1
                                        ; implicit-def: $vgpr12
.LBB48_2535:
	s_delay_alu instid0(SALU_CYCLE_1)
	s_and_not1_b32 vcc_lo, exec_lo, s6
	s_cbranch_vccnz .LBB48_2537
; %bb.2536:
	global_load_b32 v5, v[10:11], off
	s_wait_loadcnt 0x0
	v_bfe_u32 v7, v5, 16, 1
	v_cmp_o_f32_e32 vcc_lo, v5, v5
	s_delay_alu instid0(VALU_DEP_2) | instskip(NEXT) | instid1(VALU_DEP_1)
	v_add3_u32 v7, v5, v7, 0x7fff
	v_lshrrev_b32_e32 v7, 16, v7
	s_delay_alu instid0(VALU_DEP_1)
	v_cndmask_b32_e32 v12, 0x7fc0, v7, vcc_lo
.LBB48_2537:
	s_mov_b32 s6, 0
.LBB48_2538:
	s_delay_alu instid0(SALU_CYCLE_1)
	s_and_not1_b32 vcc_lo, exec_lo, s6
	s_cbranch_vccnz .LBB48_2540
; %bb.2539:
	global_load_u16 v5, v[10:11], off
	s_wait_loadcnt 0x0
	v_cvt_f32_f16_e32 v7, v5
	v_cmp_o_f16_e32 vcc_lo, v5, v5
	s_delay_alu instid0(VALU_DEP_2) | instskip(NEXT) | instid1(VALU_DEP_1)
	v_bfe_u32 v9, v7, 16, 1
	v_add3_u32 v7, v7, v9, 0x7fff
	s_delay_alu instid0(VALU_DEP_1) | instskip(NEXT) | instid1(VALU_DEP_1)
	v_lshrrev_b32_e32 v7, 16, v7
	v_cndmask_b32_e32 v12, 0x7fc0, v7, vcc_lo
.LBB48_2540:
	s_mov_b32 s6, 0
.LBB48_2541:
	s_delay_alu instid0(SALU_CYCLE_1)
	s_and_not1_b32 vcc_lo, exec_lo, s6
	s_cbranch_vccnz .LBB48_2561
; %bb.2542:
	s_cmp_lt_i32 s11, 2
	s_cbranch_scc1 .LBB48_2546
; %bb.2543:
	s_cmp_lt_i32 s11, 3
	s_cbranch_scc1 .LBB48_2547
; %bb.2544:
	s_cmp_gt_i32 s11, 3
	s_cbranch_scc0 .LBB48_2548
; %bb.2545:
	s_wait_loadcnt 0x0
	global_load_b64 v[12:13], v[10:11], off
	s_mov_b32 s6, 0
	s_wait_loadcnt 0x0
	v_xor_b32_e32 v5, v12, v13
	v_cls_i32_e32 v7, v13
	s_delay_alu instid0(VALU_DEP_2) | instskip(NEXT) | instid1(VALU_DEP_1)
	v_ashrrev_i32_e32 v5, 31, v5
	v_add_nc_u32_e32 v5, 32, v5
	s_delay_alu instid0(VALU_DEP_1) | instskip(NEXT) | instid1(VALU_DEP_1)
	v_add_min_u32_e64 v5, v7, -1, v5
	v_lshlrev_b64_e32 v[12:13], v5, v[12:13]
	v_sub_nc_u32_e32 v5, 32, v5
	s_delay_alu instid0(VALU_DEP_2) | instskip(NEXT) | instid1(VALU_DEP_1)
	v_min_u32_e32 v7, 1, v12
	v_or_b32_e32 v7, v13, v7
	s_delay_alu instid0(VALU_DEP_1) | instskip(NEXT) | instid1(VALU_DEP_1)
	v_cvt_f32_i32_e32 v7, v7
	v_ldexp_f32 v5, v7, v5
	s_delay_alu instid0(VALU_DEP_1) | instskip(NEXT) | instid1(VALU_DEP_1)
	v_bfe_u32 v7, v5, 16, 1
	v_add3_u32 v5, v5, v7, 0x7fff
	s_delay_alu instid0(VALU_DEP_1)
	v_lshrrev_b32_e32 v12, 16, v5
	s_branch .LBB48_2549
.LBB48_2546:
	s_mov_b32 s6, -1
                                        ; implicit-def: $vgpr12
	s_branch .LBB48_2555
.LBB48_2547:
	s_mov_b32 s6, -1
                                        ; implicit-def: $vgpr12
	s_branch .LBB48_2552
.LBB48_2548:
	s_mov_b32 s6, -1
                                        ; implicit-def: $vgpr12
.LBB48_2549:
	s_delay_alu instid0(SALU_CYCLE_1)
	s_and_not1_b32 vcc_lo, exec_lo, s6
	s_cbranch_vccnz .LBB48_2551
; %bb.2550:
	global_load_b32 v5, v[10:11], off
	s_wait_loadcnt 0x0
	v_cvt_f32_i32_e32 v5, v5
	s_delay_alu instid0(VALU_DEP_1) | instskip(NEXT) | instid1(VALU_DEP_1)
	v_bfe_u32 v7, v5, 16, 1
	v_add3_u32 v5, v5, v7, 0x7fff
	s_delay_alu instid0(VALU_DEP_1)
	v_lshrrev_b32_e32 v12, 16, v5
.LBB48_2551:
	s_mov_b32 s6, 0
.LBB48_2552:
	s_delay_alu instid0(SALU_CYCLE_1)
	s_and_not1_b32 vcc_lo, exec_lo, s6
	s_cbranch_vccnz .LBB48_2554
; %bb.2553:
	global_load_i16 v5, v[10:11], off
	s_wait_loadcnt 0x0
	v_cvt_f32_i32_e32 v5, v5
	s_delay_alu instid0(VALU_DEP_1) | instskip(NEXT) | instid1(VALU_DEP_1)
	v_bfe_u32 v7, v5, 16, 1
	v_add3_u32 v5, v5, v7, 0x7fff
	s_delay_alu instid0(VALU_DEP_1)
	v_lshrrev_b32_e32 v12, 16, v5
.LBB48_2554:
	s_mov_b32 s6, 0
.LBB48_2555:
	s_delay_alu instid0(SALU_CYCLE_1)
	s_and_not1_b32 vcc_lo, exec_lo, s6
	s_cbranch_vccnz .LBB48_2561
; %bb.2556:
	s_cmp_gt_i32 s11, 0
	s_mov_b32 s6, 0
	s_cbranch_scc0 .LBB48_2558
; %bb.2557:
	global_load_i8 v5, v[10:11], off
	s_wait_loadcnt 0x0
	v_cvt_f32_i32_e32 v5, v5
	s_delay_alu instid0(VALU_DEP_1) | instskip(NEXT) | instid1(VALU_DEP_1)
	v_bfe_u32 v7, v5, 16, 1
	v_add3_u32 v5, v5, v7, 0x7fff
	s_delay_alu instid0(VALU_DEP_1)
	v_lshrrev_b32_e32 v12, 16, v5
	s_branch .LBB48_2559
.LBB48_2558:
	s_mov_b32 s6, -1
                                        ; implicit-def: $vgpr12
.LBB48_2559:
	s_delay_alu instid0(SALU_CYCLE_1)
	s_and_not1_b32 vcc_lo, exec_lo, s6
	s_cbranch_vccnz .LBB48_2561
; %bb.2560:
	global_load_u8 v5, v[10:11], off
	s_wait_loadcnt 0x0
	v_cvt_f32_ubyte0_e32 v5, v5
	s_delay_alu instid0(VALU_DEP_1) | instskip(NEXT) | instid1(VALU_DEP_1)
	v_bfe_u32 v7, v5, 16, 1
	v_add3_u32 v5, v5, v7, 0x7fff
	s_delay_alu instid0(VALU_DEP_1)
	v_lshrrev_b32_e32 v12, 16, v5
.LBB48_2561:
	s_mov_b32 s13, -1
.LBB48_2562:
	s_delay_alu instid0(SALU_CYCLE_1)
	s_and_not1_b32 vcc_lo, exec_lo, s13
	s_cbranch_vccnz .LBB48_2774
; %bb.2563:
	v_mov_b32_e32 v9, 0
	s_cmp_lt_i32 s12, 11
	s_delay_alu instid0(VALU_DEP_1)
	v_add_nc_u64_e32 v[8:9], s[0:1], v[8:9]
	s_cbranch_scc1 .LBB48_2570
; %bb.2564:
	s_cmp_gt_i32 s12, 25
	s_mov_b32 s1, 0
	s_cbranch_scc0 .LBB48_2571
; %bb.2565:
	s_cmp_gt_i32 s12, 28
	s_cbranch_scc0 .LBB48_2572
; %bb.2566:
	s_cmp_gt_i32 s12, 43
	;; [unrolled: 3-line block ×3, first 2 shown]
	s_cbranch_scc0 .LBB48_2575
; %bb.2568:
	s_cmp_eq_u32 s12, 46
	s_mov_b32 s7, 0
	s_cbranch_scc0 .LBB48_2576
; %bb.2569:
	global_load_b32 v5, v[8:9], off
	s_mov_b32 s0, 0
	s_mov_b32 s6, -1
	s_branch .LBB48_2578
.LBB48_2570:
	s_mov_b32 s0, -1
	s_mov_b32 s6, 0
                                        ; implicit-def: $vgpr5
	s_branch .LBB48_2644
.LBB48_2571:
	s_mov_b32 s7, -1
	s_mov_b32 s6, 0
	s_mov_b32 s0, 0
                                        ; implicit-def: $vgpr5
	s_branch .LBB48_2607
.LBB48_2572:
	s_mov_b32 s7, -1
	s_mov_b32 s6, 0
	s_mov_b32 s0, 0
                                        ; implicit-def: $vgpr5
	s_branch .LBB48_2588
.LBB48_2573:
	s_mov_b32 s7, -1
	s_mov_b32 s6, 0
	s_mov_b32 s0, 0
                                        ; implicit-def: $vgpr5
	s_branch .LBB48_2583
.LBB48_2574:
	s_or_b32 s10, s10, exec_lo
	s_trap 2
	s_cbranch_execz .LBB48_2511
	s_branch .LBB48_2512
.LBB48_2575:
	s_mov_b32 s7, -1
	s_mov_b32 s6, 0
	s_mov_b32 s0, 0
	s_branch .LBB48_2577
.LBB48_2576:
	s_mov_b32 s0, -1
	s_mov_b32 s6, 0
.LBB48_2577:
                                        ; implicit-def: $vgpr5
.LBB48_2578:
	s_and_b32 vcc_lo, exec_lo, s7
	s_cbranch_vccz .LBB48_2582
; %bb.2579:
	s_cmp_eq_u32 s12, 44
	s_cbranch_scc0 .LBB48_2581
; %bb.2580:
	s_wait_loadcnt 0x0
	global_load_u8 v5, v[8:9], off
	s_mov_b32 s0, 0
	s_mov_b32 s6, -1
	s_wait_loadcnt 0x0
	v_lshlrev_b32_e32 v7, 23, v5
	v_cmp_ne_u32_e32 vcc_lo, 0xff, v5
	s_delay_alu instid0(VALU_DEP_2) | instskip(SKIP_1) | instid1(VALU_DEP_2)
	v_cndmask_b32_e32 v7, 0x7f800001, v7, vcc_lo
	v_cmp_ne_u32_e32 vcc_lo, 0, v5
	v_cndmask_b32_e32 v5, 0x400000, v7, vcc_lo
	s_delay_alu instid0(VALU_DEP_1) | instskip(SKIP_1) | instid1(VALU_DEP_2)
	v_add_nc_u32_e32 v7, 0x7fff, v5
	v_cmp_o_f32_e32 vcc_lo, v5, v5
	v_lshrrev_b32_e32 v7, 16, v7
	s_delay_alu instid0(VALU_DEP_1)
	v_cndmask_b32_e32 v5, 0x7fc0, v7, vcc_lo
	s_branch .LBB48_2582
.LBB48_2581:
	s_mov_b32 s0, -1
                                        ; implicit-def: $vgpr5
.LBB48_2582:
	s_mov_b32 s7, 0
.LBB48_2583:
	s_delay_alu instid0(SALU_CYCLE_1)
	s_and_b32 vcc_lo, exec_lo, s7
	s_cbranch_vccz .LBB48_2587
; %bb.2584:
	s_cmp_eq_u32 s12, 29
	s_cbranch_scc0 .LBB48_2586
; %bb.2585:
	global_load_b64 v[10:11], v[8:9], off
	s_mov_b32 s0, 0
	s_mov_b32 s6, -1
	s_mov_b32 s7, 0
	s_wait_loadcnt 0x0
	v_clz_i32_u32_e32 v5, v11
	s_delay_alu instid0(VALU_DEP_1) | instskip(NEXT) | instid1(VALU_DEP_1)
	v_min_u32_e32 v5, 32, v5
	v_lshlrev_b64_e32 v[10:11], v5, v[10:11]
	v_sub_nc_u32_e32 v5, 32, v5
	s_delay_alu instid0(VALU_DEP_2) | instskip(NEXT) | instid1(VALU_DEP_1)
	v_min_u32_e32 v7, 1, v10
	v_or_b32_e32 v7, v11, v7
	s_delay_alu instid0(VALU_DEP_1) | instskip(NEXT) | instid1(VALU_DEP_1)
	v_cvt_f32_u32_e32 v7, v7
	v_ldexp_f32 v5, v7, v5
	s_delay_alu instid0(VALU_DEP_1) | instskip(NEXT) | instid1(VALU_DEP_1)
	v_bfe_u32 v7, v5, 16, 1
	v_add3_u32 v5, v5, v7, 0x7fff
	s_delay_alu instid0(VALU_DEP_1)
	v_lshrrev_b32_e32 v5, 16, v5
	s_branch .LBB48_2588
.LBB48_2586:
	s_mov_b32 s0, -1
                                        ; implicit-def: $vgpr5
.LBB48_2587:
	s_mov_b32 s7, 0
.LBB48_2588:
	s_delay_alu instid0(SALU_CYCLE_1)
	s_and_b32 vcc_lo, exec_lo, s7
	s_cbranch_vccz .LBB48_2606
; %bb.2589:
	s_cmp_lt_i32 s12, 27
	s_cbranch_scc1 .LBB48_2592
; %bb.2590:
	s_cmp_gt_i32 s12, 27
	s_cbranch_scc0 .LBB48_2593
; %bb.2591:
	s_wait_loadcnt 0x0
	global_load_b32 v5, v[8:9], off
	s_mov_b32 s6, 0
	s_wait_loadcnt 0x0
	v_cvt_f32_u32_e32 v5, v5
	s_delay_alu instid0(VALU_DEP_1) | instskip(NEXT) | instid1(VALU_DEP_1)
	v_bfe_u32 v7, v5, 16, 1
	v_add3_u32 v5, v5, v7, 0x7fff
	s_delay_alu instid0(VALU_DEP_1)
	v_lshrrev_b32_e32 v5, 16, v5
	s_branch .LBB48_2594
.LBB48_2592:
	s_mov_b32 s6, -1
                                        ; implicit-def: $vgpr5
	s_branch .LBB48_2597
.LBB48_2593:
	s_mov_b32 s6, -1
                                        ; implicit-def: $vgpr5
.LBB48_2594:
	s_delay_alu instid0(SALU_CYCLE_1)
	s_and_not1_b32 vcc_lo, exec_lo, s6
	s_cbranch_vccnz .LBB48_2596
; %bb.2595:
	s_wait_loadcnt 0x0
	global_load_u16 v5, v[8:9], off
	s_wait_loadcnt 0x0
	v_cvt_f32_u32_e32 v5, v5
	s_delay_alu instid0(VALU_DEP_1) | instskip(NEXT) | instid1(VALU_DEP_1)
	v_bfe_u32 v7, v5, 16, 1
	v_add3_u32 v5, v5, v7, 0x7fff
	s_delay_alu instid0(VALU_DEP_1)
	v_lshrrev_b32_e32 v5, 16, v5
.LBB48_2596:
	s_mov_b32 s6, 0
.LBB48_2597:
	s_delay_alu instid0(SALU_CYCLE_1)
	s_and_not1_b32 vcc_lo, exec_lo, s6
	s_cbranch_vccnz .LBB48_2605
; %bb.2598:
	s_wait_loadcnt 0x0
	global_load_u8 v5, v[8:9], off
	s_mov_b32 s6, 0
	s_mov_b32 s7, exec_lo
	s_wait_loadcnt 0x0
	v_cmpx_lt_i16_e32 0x7f, v5
	s_xor_b32 s7, exec_lo, s7
	s_cbranch_execz .LBB48_2619
; %bb.2599:
	s_mov_b32 s6, -1
	s_mov_b32 s11, exec_lo
	v_cmpx_eq_u16_e32 0x80, v5
; %bb.2600:
	s_xor_b32 s6, exec_lo, -1
; %bb.2601:
	s_or_b32 exec_lo, exec_lo, s11
	s_delay_alu instid0(SALU_CYCLE_1)
	s_and_b32 s6, s6, exec_lo
	s_or_saveexec_b32 s7, s7
	v_mov_b32_e32 v7, 0x7f800001
	s_xor_b32 exec_lo, exec_lo, s7
	s_cbranch_execnz .LBB48_2620
.LBB48_2602:
	s_or_b32 exec_lo, exec_lo, s7
	s_and_saveexec_b32 s7, s6
	s_cbranch_execz .LBB48_2604
.LBB48_2603:
	v_and_b32_e32 v7, 0xffff, v5
	s_delay_alu instid0(VALU_DEP_1) | instskip(SKIP_1) | instid1(VALU_DEP_2)
	v_dual_lshlrev_b32 v5, 24, v5 :: v_dual_bitop2_b32 v10, 7, v7 bitop3:0x40
	v_bfe_u32 v14, v7, 3, 4
	v_and_b32_e32 v5, 0x80000000, v5
	s_delay_alu instid0(VALU_DEP_3) | instskip(NEXT) | instid1(VALU_DEP_3)
	v_clz_i32_u32_e32 v11, v10
	v_cmp_eq_u32_e32 vcc_lo, 0, v14
	s_delay_alu instid0(VALU_DEP_2) | instskip(NEXT) | instid1(VALU_DEP_1)
	v_min_u32_e32 v11, 32, v11
	v_subrev_nc_u32_e32 v13, 28, v11
	v_sub_nc_u32_e32 v11, 29, v11
	s_delay_alu instid0(VALU_DEP_2) | instskip(NEXT) | instid1(VALU_DEP_2)
	v_lshlrev_b32_e32 v7, v13, v7
	v_cndmask_b32_e32 v11, v14, v11, vcc_lo
	s_delay_alu instid0(VALU_DEP_2) | instskip(NEXT) | instid1(VALU_DEP_1)
	v_and_b32_e32 v7, 7, v7
	v_cndmask_b32_e32 v7, v10, v7, vcc_lo
	s_delay_alu instid0(VALU_DEP_3) | instskip(NEXT) | instid1(VALU_DEP_2)
	v_lshl_add_u32 v10, v11, 23, 0x3b800000
	v_lshlrev_b32_e32 v7, 20, v7
	s_delay_alu instid0(VALU_DEP_1)
	v_or3_b32 v7, v5, v10, v7
.LBB48_2604:
	s_or_b32 exec_lo, exec_lo, s7
	s_delay_alu instid0(VALU_DEP_1) | instskip(SKIP_1) | instid1(VALU_DEP_2)
	v_bfe_u32 v5, v7, 16, 1
	v_cmp_o_f32_e32 vcc_lo, v7, v7
	v_add3_u32 v5, v7, v5, 0x7fff
	s_delay_alu instid0(VALU_DEP_1) | instskip(NEXT) | instid1(VALU_DEP_1)
	v_lshrrev_b32_e32 v5, 16, v5
	v_cndmask_b32_e32 v5, 0x7fc0, v5, vcc_lo
.LBB48_2605:
	s_mov_b32 s6, -1
.LBB48_2606:
	s_mov_b32 s7, 0
.LBB48_2607:
	s_delay_alu instid0(SALU_CYCLE_1)
	s_and_b32 vcc_lo, exec_lo, s7
	s_cbranch_vccz .LBB48_2640
; %bb.2608:
	s_cmp_gt_i32 s12, 22
	s_cbranch_scc0 .LBB48_2618
; %bb.2609:
	s_cmp_lt_i32 s12, 24
	s_cbranch_scc1 .LBB48_2621
; %bb.2610:
	s_cmp_gt_i32 s12, 24
	s_cbranch_scc0 .LBB48_2622
; %bb.2611:
	s_wait_loadcnt 0x0
	global_load_u8 v5, v[8:9], off
	s_mov_b32 s6, exec_lo
	s_wait_loadcnt 0x0
	v_cmpx_lt_i16_e32 0x7f, v5
	s_xor_b32 s6, exec_lo, s6
	s_cbranch_execz .LBB48_2634
; %bb.2612:
	s_mov_b32 s1, -1
	s_mov_b32 s7, exec_lo
	v_cmpx_eq_u16_e32 0x80, v5
; %bb.2613:
	s_xor_b32 s1, exec_lo, -1
; %bb.2614:
	s_or_b32 exec_lo, exec_lo, s7
	s_delay_alu instid0(SALU_CYCLE_1)
	s_and_b32 s1, s1, exec_lo
	s_or_saveexec_b32 s6, s6
	v_mov_b32_e32 v7, 0x7f800001
	s_xor_b32 exec_lo, exec_lo, s6
	s_cbranch_execnz .LBB48_2635
.LBB48_2615:
	s_or_b32 exec_lo, exec_lo, s6
	s_and_saveexec_b32 s6, s1
	s_cbranch_execz .LBB48_2617
.LBB48_2616:
	v_and_b32_e32 v7, 0xffff, v5
	s_delay_alu instid0(VALU_DEP_1) | instskip(SKIP_1) | instid1(VALU_DEP_2)
	v_dual_lshlrev_b32 v5, 24, v5 :: v_dual_bitop2_b32 v10, 3, v7 bitop3:0x40
	v_bfe_u32 v14, v7, 2, 5
	v_and_b32_e32 v5, 0x80000000, v5
	s_delay_alu instid0(VALU_DEP_3) | instskip(NEXT) | instid1(VALU_DEP_3)
	v_clz_i32_u32_e32 v11, v10
	v_cmp_eq_u32_e32 vcc_lo, 0, v14
	s_delay_alu instid0(VALU_DEP_2) | instskip(NEXT) | instid1(VALU_DEP_1)
	v_min_u32_e32 v11, 32, v11
	v_subrev_nc_u32_e32 v13, 29, v11
	v_sub_nc_u32_e32 v11, 30, v11
	s_delay_alu instid0(VALU_DEP_2) | instskip(NEXT) | instid1(VALU_DEP_2)
	v_lshlrev_b32_e32 v7, v13, v7
	v_cndmask_b32_e32 v11, v14, v11, vcc_lo
	s_delay_alu instid0(VALU_DEP_2) | instskip(NEXT) | instid1(VALU_DEP_1)
	v_and_b32_e32 v7, 3, v7
	v_cndmask_b32_e32 v7, v10, v7, vcc_lo
	s_delay_alu instid0(VALU_DEP_3) | instskip(NEXT) | instid1(VALU_DEP_2)
	v_lshl_add_u32 v10, v11, 23, 0x37800000
	v_lshlrev_b32_e32 v7, 21, v7
	s_delay_alu instid0(VALU_DEP_1)
	v_or3_b32 v7, v5, v10, v7
.LBB48_2617:
	s_or_b32 exec_lo, exec_lo, s6
	s_delay_alu instid0(VALU_DEP_1) | instskip(SKIP_2) | instid1(VALU_DEP_2)
	v_bfe_u32 v5, v7, 16, 1
	v_cmp_o_f32_e32 vcc_lo, v7, v7
	s_mov_b32 s1, 0
	v_add3_u32 v5, v7, v5, 0x7fff
	s_delay_alu instid0(VALU_DEP_1) | instskip(NEXT) | instid1(VALU_DEP_1)
	v_lshrrev_b32_e32 v5, 16, v5
	v_cndmask_b32_e32 v5, 0x7fc0, v5, vcc_lo
	s_branch .LBB48_2623
.LBB48_2618:
	s_mov_b32 s1, -1
                                        ; implicit-def: $vgpr5
	s_branch .LBB48_2629
.LBB48_2619:
	s_or_saveexec_b32 s7, s7
	v_mov_b32_e32 v7, 0x7f800001
	s_xor_b32 exec_lo, exec_lo, s7
	s_cbranch_execz .LBB48_2602
.LBB48_2620:
	v_cmp_ne_u16_e32 vcc_lo, 0, v5
	v_mov_b32_e32 v7, 0
	s_and_not1_b32 s6, s6, exec_lo
	s_and_b32 s11, vcc_lo, exec_lo
	s_delay_alu instid0(SALU_CYCLE_1)
	s_or_b32 s6, s6, s11
	s_or_b32 exec_lo, exec_lo, s7
	s_and_saveexec_b32 s7, s6
	s_cbranch_execnz .LBB48_2603
	s_branch .LBB48_2604
.LBB48_2621:
	s_mov_b32 s1, -1
                                        ; implicit-def: $vgpr5
	s_branch .LBB48_2626
.LBB48_2622:
	s_mov_b32 s1, -1
                                        ; implicit-def: $vgpr5
.LBB48_2623:
	s_delay_alu instid0(SALU_CYCLE_1)
	s_and_b32 vcc_lo, exec_lo, s1
	s_cbranch_vccz .LBB48_2625
; %bb.2624:
	s_wait_loadcnt 0x0
	global_load_u8 v5, v[8:9], off
	s_wait_loadcnt 0x0
	v_lshlrev_b32_e32 v5, 24, v5
	s_delay_alu instid0(VALU_DEP_1) | instskip(SKIP_1) | instid1(VALU_DEP_1)
	v_and_b32_e32 v7, 0x7f000000, v5
	s_wait_xcnt 0x1
	v_clz_i32_u32_e32 v10, v7
	v_add_nc_u32_e32 v13, 0x1000000, v7
	v_cmp_ne_u32_e32 vcc_lo, 0, v7
	s_delay_alu instid0(VALU_DEP_3) | instskip(NEXT) | instid1(VALU_DEP_1)
	v_min_u32_e32 v10, 32, v10
	v_sub_nc_u32_e64 v10, v10, 4 clamp
	s_delay_alu instid0(VALU_DEP_1) | instskip(NEXT) | instid1(VALU_DEP_1)
	v_dual_lshlrev_b32 v11, v10, v7 :: v_dual_lshlrev_b32 v10, 23, v10
	v_lshrrev_b32_e32 v11, 4, v11
	s_delay_alu instid0(VALU_DEP_1) | instskip(NEXT) | instid1(VALU_DEP_1)
	v_dual_sub_nc_u32 v10, v11, v10 :: v_dual_ashrrev_i32 v11, 8, v13
	v_add_nc_u32_e32 v10, 0x3c000000, v10
	s_delay_alu instid0(VALU_DEP_1) | instskip(NEXT) | instid1(VALU_DEP_1)
	v_and_or_b32 v10, 0x7f800000, v11, v10
	v_cndmask_b32_e32 v7, 0, v10, vcc_lo
	s_delay_alu instid0(VALU_DEP_1) | instskip(SKIP_1) | instid1(VALU_DEP_2)
	v_and_or_b32 v5, 0x80000000, v5, v7
	v_bfe_u32 v7, v7, 16, 1
	v_cmp_o_f32_e32 vcc_lo, v5, v5
	s_delay_alu instid0(VALU_DEP_2) | instskip(NEXT) | instid1(VALU_DEP_1)
	v_add3_u32 v7, v5, v7, 0x7fff
	v_lshrrev_b32_e32 v7, 16, v7
	s_delay_alu instid0(VALU_DEP_1)
	v_cndmask_b32_e32 v5, 0x7fc0, v7, vcc_lo
.LBB48_2625:
	s_mov_b32 s1, 0
.LBB48_2626:
	s_delay_alu instid0(SALU_CYCLE_1)
	s_and_not1_b32 vcc_lo, exec_lo, s1
	s_cbranch_vccnz .LBB48_2628
; %bb.2627:
	s_wait_loadcnt 0x0
	global_load_u8 v5, v[8:9], off
	s_wait_loadcnt 0x0
	v_lshlrev_b32_e32 v7, 25, v5
	v_lshlrev_b16 v5, 8, v5
	s_wait_xcnt 0x1
	s_delay_alu instid0(VALU_DEP_1) | instskip(SKIP_1) | instid1(VALU_DEP_2)
	v_and_or_b32 v11, 0x7f00, v5, 0.5
	v_bfe_i32 v5, v5, 0, 16
	v_add_f32_e32 v11, -0.5, v11
	v_lshrrev_b32_e32 v10, 4, v7
	v_cmp_gt_u32_e32 vcc_lo, 0x8000000, v7
	s_delay_alu instid0(VALU_DEP_2) | instskip(NEXT) | instid1(VALU_DEP_1)
	v_or_b32_e32 v10, 0x70000000, v10
	v_mul_f32_e32 v10, 0x7800000, v10
	s_delay_alu instid0(VALU_DEP_1) | instskip(NEXT) | instid1(VALU_DEP_1)
	v_cndmask_b32_e32 v7, v10, v11, vcc_lo
	v_and_or_b32 v5, 0x80000000, v5, v7
	v_bfe_u32 v7, v7, 16, 1
	s_delay_alu instid0(VALU_DEP_2) | instskip(NEXT) | instid1(VALU_DEP_2)
	v_cmp_o_f32_e32 vcc_lo, v5, v5
	v_add3_u32 v7, v5, v7, 0x7fff
	s_delay_alu instid0(VALU_DEP_1) | instskip(NEXT) | instid1(VALU_DEP_1)
	v_lshrrev_b32_e32 v7, 16, v7
	v_cndmask_b32_e32 v5, 0x7fc0, v7, vcc_lo
.LBB48_2628:
	s_mov_b32 s1, 0
	s_mov_b32 s6, -1
.LBB48_2629:
	s_and_not1_b32 vcc_lo, exec_lo, s1
	s_mov_b32 s1, 0
	s_cbranch_vccnz .LBB48_2640
; %bb.2630:
	s_cmp_gt_i32 s12, 14
	s_cbranch_scc0 .LBB48_2633
; %bb.2631:
	s_cmp_eq_u32 s12, 15
	s_cbranch_scc0 .LBB48_2636
; %bb.2632:
	s_wait_loadcnt 0x0
	global_load_u16 v5, v[8:9], off
	s_mov_b32 s0, 0
	s_mov_b32 s6, -1
	s_branch .LBB48_2638
.LBB48_2633:
	s_mov_b32 s1, -1
	s_branch .LBB48_2637
.LBB48_2634:
	s_or_saveexec_b32 s6, s6
	v_mov_b32_e32 v7, 0x7f800001
	s_xor_b32 exec_lo, exec_lo, s6
	s_cbranch_execz .LBB48_2615
.LBB48_2635:
	v_cmp_ne_u16_e32 vcc_lo, 0, v5
	v_mov_b32_e32 v7, 0
	s_and_not1_b32 s1, s1, exec_lo
	s_and_b32 s7, vcc_lo, exec_lo
	s_delay_alu instid0(SALU_CYCLE_1)
	s_or_b32 s1, s1, s7
	s_or_b32 exec_lo, exec_lo, s6
	s_and_saveexec_b32 s6, s1
	s_cbranch_execnz .LBB48_2616
	s_branch .LBB48_2617
.LBB48_2636:
	s_mov_b32 s0, -1
.LBB48_2637:
                                        ; implicit-def: $vgpr5
.LBB48_2638:
	s_and_b32 vcc_lo, exec_lo, s1
	s_mov_b32 s1, 0
	s_cbranch_vccz .LBB48_2640
; %bb.2639:
	s_cmp_lg_u32 s12, 11
	s_mov_b32 s1, -1
	s_cselect_b32 s0, -1, 0
.LBB48_2640:
	s_delay_alu instid0(SALU_CYCLE_1)
	s_and_b32 vcc_lo, exec_lo, s0
	s_cbranch_vccnz .LBB48_3176
; %bb.2641:
	s_and_not1_b32 vcc_lo, exec_lo, s1
	s_cbranch_vccnz .LBB48_2643
.LBB48_2642:
	s_wait_loadcnt 0x0
	global_load_u8 v5, v[8:9], off
	s_mov_b32 s6, -1
	s_wait_loadcnt 0x0
	v_cmp_ne_u16_e32 vcc_lo, 0, v5
	v_cndmask_b32_e64 v5, 0, 1.0, vcc_lo
	s_delay_alu instid0(VALU_DEP_1)
	v_lshrrev_b32_e32 v5, 16, v5
.LBB48_2643:
	s_mov_b32 s0, 0
.LBB48_2644:
	s_delay_alu instid0(SALU_CYCLE_1)
	s_and_b32 vcc_lo, exec_lo, s0
	s_cbranch_vccz .LBB48_2693
; %bb.2645:
	s_cmp_lt_i32 s12, 5
	s_cbranch_scc1 .LBB48_2650
; %bb.2646:
	s_cmp_lt_i32 s12, 8
	s_cbranch_scc1 .LBB48_2651
	;; [unrolled: 3-line block ×3, first 2 shown]
; %bb.2648:
	s_cmp_gt_i32 s12, 9
	s_cbranch_scc0 .LBB48_2653
; %bb.2649:
	global_load_b64 v[10:11], v[8:9], off
	s_mov_b32 s0, 0
	s_wait_loadcnt 0x0
	v_cvt_f32_f64_e32 v5, v[10:11]
	s_delay_alu instid0(VALU_DEP_1) | instskip(SKIP_1) | instid1(VALU_DEP_2)
	v_bfe_u32 v7, v5, 16, 1
	v_cmp_o_f32_e32 vcc_lo, v5, v5
	v_add3_u32 v7, v5, v7, 0x7fff
	s_delay_alu instid0(VALU_DEP_1) | instskip(NEXT) | instid1(VALU_DEP_1)
	v_lshrrev_b32_e32 v7, 16, v7
	v_cndmask_b32_e32 v5, 0x7fc0, v7, vcc_lo
	s_branch .LBB48_2654
.LBB48_2650:
	s_mov_b32 s0, -1
                                        ; implicit-def: $vgpr5
	s_branch .LBB48_2672
.LBB48_2651:
	s_mov_b32 s0, -1
                                        ; implicit-def: $vgpr5
	s_branch .LBB48_2660
.LBB48_2652:
	s_mov_b32 s0, -1
                                        ; implicit-def: $vgpr5
	s_branch .LBB48_2657
.LBB48_2653:
	s_mov_b32 s0, -1
                                        ; implicit-def: $vgpr5
.LBB48_2654:
	s_delay_alu instid0(SALU_CYCLE_1)
	s_and_not1_b32 vcc_lo, exec_lo, s0
	s_cbranch_vccnz .LBB48_2656
; %bb.2655:
	s_wait_loadcnt 0x0
	global_load_b32 v5, v[8:9], off
	s_wait_loadcnt 0x0
	v_bfe_u32 v7, v5, 16, 1
	v_cmp_o_f32_e32 vcc_lo, v5, v5
	s_delay_alu instid0(VALU_DEP_2) | instskip(NEXT) | instid1(VALU_DEP_1)
	v_add3_u32 v7, v5, v7, 0x7fff
	v_lshrrev_b32_e32 v7, 16, v7
	s_delay_alu instid0(VALU_DEP_1)
	v_cndmask_b32_e32 v5, 0x7fc0, v7, vcc_lo
.LBB48_2656:
	s_mov_b32 s0, 0
.LBB48_2657:
	s_delay_alu instid0(SALU_CYCLE_1)
	s_and_not1_b32 vcc_lo, exec_lo, s0
	s_cbranch_vccnz .LBB48_2659
; %bb.2658:
	s_wait_loadcnt 0x0
	global_load_b32 v5, v[8:9], off
	s_wait_loadcnt 0x0
	v_cvt_f32_f16_e32 v7, v5
	v_cmp_o_f16_e32 vcc_lo, v5, v5
	s_wait_xcnt 0x1
	s_delay_alu instid0(VALU_DEP_2) | instskip(NEXT) | instid1(VALU_DEP_1)
	v_bfe_u32 v10, v7, 16, 1
	v_add3_u32 v7, v7, v10, 0x7fff
	s_delay_alu instid0(VALU_DEP_1) | instskip(NEXT) | instid1(VALU_DEP_1)
	v_lshrrev_b32_e32 v7, 16, v7
	v_cndmask_b32_e32 v5, 0x7fc0, v7, vcc_lo
.LBB48_2659:
	s_mov_b32 s0, 0
.LBB48_2660:
	s_delay_alu instid0(SALU_CYCLE_1)
	s_and_not1_b32 vcc_lo, exec_lo, s0
	s_cbranch_vccnz .LBB48_2671
; %bb.2661:
	s_cmp_lt_i32 s12, 6
	s_cbranch_scc1 .LBB48_2664
; %bb.2662:
	s_cmp_gt_i32 s12, 6
	s_cbranch_scc0 .LBB48_2665
; %bb.2663:
	global_load_b64 v[10:11], v[8:9], off
	s_mov_b32 s0, 0
	s_wait_loadcnt 0x0
	v_cvt_f32_f64_e32 v5, v[10:11]
	s_delay_alu instid0(VALU_DEP_1) | instskip(SKIP_1) | instid1(VALU_DEP_2)
	v_bfe_u32 v7, v5, 16, 1
	v_cmp_o_f32_e32 vcc_lo, v5, v5
	v_add3_u32 v7, v5, v7, 0x7fff
	s_delay_alu instid0(VALU_DEP_1) | instskip(NEXT) | instid1(VALU_DEP_1)
	v_lshrrev_b32_e32 v7, 16, v7
	v_cndmask_b32_e32 v5, 0x7fc0, v7, vcc_lo
	s_branch .LBB48_2666
.LBB48_2664:
	s_mov_b32 s0, -1
                                        ; implicit-def: $vgpr5
	s_branch .LBB48_2669
.LBB48_2665:
	s_mov_b32 s0, -1
                                        ; implicit-def: $vgpr5
.LBB48_2666:
	s_delay_alu instid0(SALU_CYCLE_1)
	s_and_not1_b32 vcc_lo, exec_lo, s0
	s_cbranch_vccnz .LBB48_2668
; %bb.2667:
	s_wait_loadcnt 0x0
	global_load_b32 v5, v[8:9], off
	s_wait_loadcnt 0x0
	v_bfe_u32 v7, v5, 16, 1
	v_cmp_o_f32_e32 vcc_lo, v5, v5
	s_delay_alu instid0(VALU_DEP_2) | instskip(NEXT) | instid1(VALU_DEP_1)
	v_add3_u32 v7, v5, v7, 0x7fff
	v_lshrrev_b32_e32 v7, 16, v7
	s_delay_alu instid0(VALU_DEP_1)
	v_cndmask_b32_e32 v5, 0x7fc0, v7, vcc_lo
.LBB48_2668:
	s_mov_b32 s0, 0
.LBB48_2669:
	s_delay_alu instid0(SALU_CYCLE_1)
	s_and_not1_b32 vcc_lo, exec_lo, s0
	s_cbranch_vccnz .LBB48_2671
; %bb.2670:
	s_wait_loadcnt 0x0
	global_load_u16 v5, v[8:9], off
	s_wait_loadcnt 0x0
	v_cvt_f32_f16_e32 v7, v5
	v_cmp_o_f16_e32 vcc_lo, v5, v5
	s_wait_xcnt 0x1
	s_delay_alu instid0(VALU_DEP_2) | instskip(NEXT) | instid1(VALU_DEP_1)
	v_bfe_u32 v10, v7, 16, 1
	v_add3_u32 v7, v7, v10, 0x7fff
	s_delay_alu instid0(VALU_DEP_1) | instskip(NEXT) | instid1(VALU_DEP_1)
	v_lshrrev_b32_e32 v7, 16, v7
	v_cndmask_b32_e32 v5, 0x7fc0, v7, vcc_lo
.LBB48_2671:
	s_mov_b32 s0, 0
.LBB48_2672:
	s_delay_alu instid0(SALU_CYCLE_1)
	s_and_not1_b32 vcc_lo, exec_lo, s0
	s_cbranch_vccnz .LBB48_2692
; %bb.2673:
	s_cmp_lt_i32 s12, 2
	s_cbranch_scc1 .LBB48_2677
; %bb.2674:
	s_cmp_lt_i32 s12, 3
	s_cbranch_scc1 .LBB48_2678
; %bb.2675:
	s_cmp_gt_i32 s12, 3
	s_cbranch_scc0 .LBB48_2679
; %bb.2676:
	global_load_b64 v[10:11], v[8:9], off
	s_mov_b32 s0, 0
	s_wait_loadcnt 0x0
	v_xor_b32_e32 v5, v10, v11
	v_cls_i32_e32 v7, v11
	s_delay_alu instid0(VALU_DEP_2) | instskip(NEXT) | instid1(VALU_DEP_1)
	v_ashrrev_i32_e32 v5, 31, v5
	v_add_nc_u32_e32 v5, 32, v5
	s_delay_alu instid0(VALU_DEP_1) | instskip(NEXT) | instid1(VALU_DEP_1)
	v_add_min_u32_e64 v5, v7, -1, v5
	v_lshlrev_b64_e32 v[10:11], v5, v[10:11]
	v_sub_nc_u32_e32 v5, 32, v5
	s_delay_alu instid0(VALU_DEP_2) | instskip(NEXT) | instid1(VALU_DEP_1)
	v_min_u32_e32 v7, 1, v10
	v_or_b32_e32 v7, v11, v7
	s_delay_alu instid0(VALU_DEP_1) | instskip(NEXT) | instid1(VALU_DEP_1)
	v_cvt_f32_i32_e32 v7, v7
	v_ldexp_f32 v5, v7, v5
	s_delay_alu instid0(VALU_DEP_1) | instskip(NEXT) | instid1(VALU_DEP_1)
	v_bfe_u32 v7, v5, 16, 1
	v_add3_u32 v5, v5, v7, 0x7fff
	s_delay_alu instid0(VALU_DEP_1)
	v_lshrrev_b32_e32 v5, 16, v5
	s_branch .LBB48_2680
.LBB48_2677:
	s_mov_b32 s0, -1
                                        ; implicit-def: $vgpr5
	s_branch .LBB48_2686
.LBB48_2678:
	s_mov_b32 s0, -1
                                        ; implicit-def: $vgpr5
	s_branch .LBB48_2683
.LBB48_2679:
	s_mov_b32 s0, -1
                                        ; implicit-def: $vgpr5
.LBB48_2680:
	s_delay_alu instid0(SALU_CYCLE_1)
	s_and_not1_b32 vcc_lo, exec_lo, s0
	s_cbranch_vccnz .LBB48_2682
; %bb.2681:
	s_wait_loadcnt 0x0
	global_load_b32 v5, v[8:9], off
	s_wait_loadcnt 0x0
	v_cvt_f32_i32_e32 v5, v5
	s_delay_alu instid0(VALU_DEP_1) | instskip(NEXT) | instid1(VALU_DEP_1)
	v_bfe_u32 v7, v5, 16, 1
	v_add3_u32 v5, v5, v7, 0x7fff
	s_delay_alu instid0(VALU_DEP_1)
	v_lshrrev_b32_e32 v5, 16, v5
.LBB48_2682:
	s_mov_b32 s0, 0
.LBB48_2683:
	s_delay_alu instid0(SALU_CYCLE_1)
	s_and_not1_b32 vcc_lo, exec_lo, s0
	s_cbranch_vccnz .LBB48_2685
; %bb.2684:
	s_wait_loadcnt 0x0
	global_load_i16 v5, v[8:9], off
	s_wait_loadcnt 0x0
	v_cvt_f32_i32_e32 v5, v5
	s_delay_alu instid0(VALU_DEP_1) | instskip(NEXT) | instid1(VALU_DEP_1)
	v_bfe_u32 v7, v5, 16, 1
	v_add3_u32 v5, v5, v7, 0x7fff
	s_delay_alu instid0(VALU_DEP_1)
	v_lshrrev_b32_e32 v5, 16, v5
.LBB48_2685:
	s_mov_b32 s0, 0
.LBB48_2686:
	s_delay_alu instid0(SALU_CYCLE_1)
	s_and_not1_b32 vcc_lo, exec_lo, s0
	s_cbranch_vccnz .LBB48_2692
; %bb.2687:
	s_cmp_gt_i32 s12, 0
	s_mov_b32 s0, 0
	s_cbranch_scc0 .LBB48_2689
; %bb.2688:
	s_wait_loadcnt 0x0
	global_load_i8 v5, v[8:9], off
	s_wait_loadcnt 0x0
	v_cvt_f32_i32_e32 v5, v5
	s_delay_alu instid0(VALU_DEP_1) | instskip(NEXT) | instid1(VALU_DEP_1)
	v_bfe_u32 v7, v5, 16, 1
	v_add3_u32 v5, v5, v7, 0x7fff
	s_delay_alu instid0(VALU_DEP_1)
	v_lshrrev_b32_e32 v5, 16, v5
	s_branch .LBB48_2690
.LBB48_2689:
	s_mov_b32 s0, -1
                                        ; implicit-def: $vgpr5
.LBB48_2690:
	s_delay_alu instid0(SALU_CYCLE_1)
	s_and_not1_b32 vcc_lo, exec_lo, s0
	s_cbranch_vccnz .LBB48_2692
; %bb.2691:
	s_wait_loadcnt 0x0
	global_load_u8 v5, v[8:9], off
	s_wait_loadcnt 0x0
	v_cvt_f32_ubyte0_e32 v5, v5
	s_delay_alu instid0(VALU_DEP_1) | instskip(NEXT) | instid1(VALU_DEP_1)
	v_bfe_u32 v7, v5, 16, 1
	v_add3_u32 v5, v5, v7, 0x7fff
	s_delay_alu instid0(VALU_DEP_1)
	v_lshrrev_b32_e32 v5, 16, v5
.LBB48_2692:
	s_mov_b32 s6, -1
.LBB48_2693:
	s_delay_alu instid0(SALU_CYCLE_1)
	s_and_not1_b32 vcc_lo, exec_lo, s6
	s_cbranch_vccnz .LBB48_2774
; %bb.2694:
	s_wait_loadcnt 0x0
	v_lshlrev_b32_e32 v7, 16, v12
	s_mov_b32 s0, exec_lo
	s_wait_xcnt 0x0
	s_delay_alu instid0(VALU_DEP_1)
	v_cmpx_nlt_f32_e32 0, v7
	s_cbranch_execz .LBB48_2696
; %bb.2695:
	v_lshlrev_b32_e32 v5, 16, v5
	s_delay_alu instid0(VALU_DEP_1) | instskip(NEXT) | instid1(VALU_DEP_1)
	v_mul_f32_e32 v5, v7, v5
	v_bfe_u32 v7, v5, 16, 1
	v_cmp_o_f32_e32 vcc_lo, v5, v5
	s_delay_alu instid0(VALU_DEP_2) | instskip(NEXT) | instid1(VALU_DEP_1)
	v_add3_u32 v7, v5, v7, 0x7fff
	v_lshrrev_b32_e32 v7, 16, v7
	s_delay_alu instid0(VALU_DEP_1)
	v_cndmask_b32_e32 v12, 0x7fc0, v7, vcc_lo
.LBB48_2696:
	s_or_b32 exec_lo, exec_lo, s0
	v_mov_b32_e32 v7, 0
	global_load_u8 v5, v7, s[2:3] offset:417
	s_wait_xcnt 0x0
	v_add_nc_u64_e32 v[6:7], s[4:5], v[6:7]
	s_wait_loadcnt 0x0
	v_and_b32_e32 v8, 0xffff, v5
	v_readfirstlane_b32 s1, v5
	s_delay_alu instid0(VALU_DEP_2)
	v_cmp_gt_i32_e32 vcc_lo, 11, v8
	s_cbranch_vccnz .LBB48_2819
; %bb.2697:
	s_and_b32 s2, 0xffff, s1
	s_mov_b32 s7, -1
	s_mov_b32 s3, 0
	s_cmp_gt_i32 s2, 25
	s_mov_b32 s6, 0
	s_mov_b32 s0, 0
	s_cbranch_scc0 .LBB48_2730
; %bb.2698:
	s_cmp_gt_i32 s2, 28
	s_cbranch_scc0 .LBB48_2713
; %bb.2699:
	s_cmp_gt_i32 s2, 43
	;; [unrolled: 3-line block ×3, first 2 shown]
	s_cbranch_scc0 .LBB48_2703
; %bb.2701:
	s_mov_b32 s0, -1
	s_mov_b32 s7, 0
	s_cmp_eq_u32 s2, 46
	s_cbranch_scc0 .LBB48_2703
; %bb.2702:
	v_and_b32_e32 v5, 0xffff, v1
	s_mov_b32 s0, 0
	s_mov_b32 s6, -1
	global_store_b32 v[6:7], v5, off
.LBB48_2703:
	s_and_b32 vcc_lo, exec_lo, s7
	s_cbranch_vccz .LBB48_2708
; %bb.2704:
	s_cmp_eq_u32 s2, 44
	s_mov_b32 s0, -1
	s_cbranch_scc0 .LBB48_2708
; %bb.2705:
	s_wait_xcnt 0x0
	v_and_b32_e32 v5, 0xffff, v1
	v_mov_b32_e32 v8, 0xff
	s_mov_b32 s6, exec_lo
	s_delay_alu instid0(VALU_DEP_2) | instskip(NEXT) | instid1(VALU_DEP_1)
	v_bfe_u32 v9, v5, 7, 8
	v_cmpx_ne_u32_e32 0xff, v9
	s_cbranch_execz .LBB48_2707
; %bb.2706:
	v_dual_lshlrev_b32 v8, 16, v5 :: v_dual_bitop2_b32 v10, 64, v5 bitop3:0x40
	v_lshrrev_b32_e32 v5, 7, v5
	s_delay_alu instid0(VALU_DEP_2) | instskip(NEXT) | instid1(VALU_DEP_3)
	v_and_or_b32 v8, 0x3f0000, v8, v9
	v_cmp_ne_u32_e32 vcc_lo, 0, v10
	s_delay_alu instid0(VALU_DEP_2) | instskip(SKIP_1) | instid1(SALU_CYCLE_1)
	v_cmp_ne_u32_e64 s0, 0, v8
	s_and_b32 s0, vcc_lo, s0
	v_cndmask_b32_e64 v8, 0, 1, s0
	s_delay_alu instid0(VALU_DEP_1)
	v_add_nc_u32_e32 v8, v5, v8
.LBB48_2707:
	s_or_b32 exec_lo, exec_lo, s6
	s_mov_b32 s0, 0
	s_mov_b32 s6, -1
	global_store_b8 v[6:7], v8, off
.LBB48_2708:
	s_mov_b32 s7, 0
.LBB48_2709:
	s_delay_alu instid0(SALU_CYCLE_1)
	s_and_b32 vcc_lo, exec_lo, s7
	s_cbranch_vccz .LBB48_2712
; %bb.2710:
	s_cmp_eq_u32 s2, 29
	s_mov_b32 s0, -1
	s_cbranch_scc0 .LBB48_2712
; %bb.2711:
	s_wait_xcnt 0x0
	v_lshlrev_b32_e32 v5, 16, v1
	s_mov_b32 s0, 0
	s_mov_b32 s6, -1
	s_delay_alu instid0(VALU_DEP_1) | instskip(NEXT) | instid1(VALU_DEP_1)
	v_trunc_f32_e32 v5, v5
	v_mul_f32_e32 v8, 0x2f800000, v5
	s_delay_alu instid0(VALU_DEP_1) | instskip(NEXT) | instid1(VALU_DEP_1)
	v_floor_f32_e32 v8, v8
	v_fmamk_f32 v5, v8, 0xcf800000, v5
	v_cvt_u32_f32_e32 v9, v8
	s_delay_alu instid0(VALU_DEP_2)
	v_cvt_u32_f32_e32 v8, v5
	global_store_b64 v[6:7], v[8:9], off
.LBB48_2712:
	s_mov_b32 s7, 0
.LBB48_2713:
	s_delay_alu instid0(SALU_CYCLE_1)
	s_and_b32 vcc_lo, exec_lo, s7
	s_cbranch_vccz .LBB48_2729
; %bb.2714:
	s_cmp_lt_i32 s2, 27
	s_mov_b32 s6, -1
	s_cbranch_scc1 .LBB48_2720
; %bb.2715:
	s_cmp_gt_i32 s2, 27
	s_cbranch_scc0 .LBB48_2717
; %bb.2716:
	s_wait_xcnt 0x0
	v_lshlrev_b32_e32 v5, 16, v1
	s_mov_b32 s6, 0
	s_delay_alu instid0(VALU_DEP_1)
	v_cvt_u32_f32_e32 v5, v5
	global_store_b32 v[6:7], v5, off
.LBB48_2717:
	s_and_not1_b32 vcc_lo, exec_lo, s6
	s_cbranch_vccnz .LBB48_2719
; %bb.2718:
	s_wait_xcnt 0x0
	v_lshlrev_b32_e32 v5, 16, v1
	s_delay_alu instid0(VALU_DEP_1)
	v_cvt_u32_f32_e32 v5, v5
	global_store_b16 v[6:7], v5, off
.LBB48_2719:
	s_mov_b32 s6, 0
.LBB48_2720:
	s_delay_alu instid0(SALU_CYCLE_1)
	s_and_not1_b32 vcc_lo, exec_lo, s6
	s_cbranch_vccnz .LBB48_2728
; %bb.2721:
	s_wait_xcnt 0x0
	v_dual_mov_b32 v10, 0x80 :: v_dual_lshlrev_b32 v9, 16, v1
	s_mov_b32 s6, exec_lo
	s_delay_alu instid0(VALU_DEP_1) | instskip(NEXT) | instid1(VALU_DEP_1)
	v_and_b32_e32 v8, 0x7fffffff, v9
	v_cmpx_gt_u32_e32 0x43800000, v8
	s_cbranch_execz .LBB48_2727
; %bb.2722:
	v_and_b32_e32 v5, 0xffff, v1
	v_cmp_lt_u32_e32 vcc_lo, 0x3bffffff, v8
	s_mov_b32 s7, 0
                                        ; implicit-def: $vgpr8
	s_and_saveexec_b32 s11, vcc_lo
	s_delay_alu instid0(SALU_CYCLE_1)
	s_xor_b32 s11, exec_lo, s11
	s_cbranch_execz .LBB48_3177
; %bb.2723:
	v_bfe_u32 v8, v5, 4, 1
	s_mov_b32 s7, exec_lo
	s_delay_alu instid0(VALU_DEP_1) | instskip(NEXT) | instid1(VALU_DEP_1)
	v_add3_u32 v8, v9, v8, 0x487ffff
                                        ; implicit-def: $vgpr9
	v_lshrrev_b32_e32 v8, 20, v8
	s_and_not1_saveexec_b32 s11, s11
	s_cbranch_execnz .LBB48_3178
.LBB48_2724:
	s_or_b32 exec_lo, exec_lo, s11
	v_mov_b32_e32 v10, 0
	s_and_saveexec_b32 s11, s7
.LBB48_2725:
	v_lshrrev_b32_e32 v5, 8, v5
	s_delay_alu instid0(VALU_DEP_1)
	v_and_or_b32 v10, 0x80, v5, v8
.LBB48_2726:
	s_or_b32 exec_lo, exec_lo, s11
.LBB48_2727:
	s_delay_alu instid0(SALU_CYCLE_1)
	s_or_b32 exec_lo, exec_lo, s6
	global_store_b8 v[6:7], v10, off
.LBB48_2728:
	s_mov_b32 s6, -1
.LBB48_2729:
	s_mov_b32 s7, 0
.LBB48_2730:
	s_delay_alu instid0(SALU_CYCLE_1)
	s_and_b32 vcc_lo, exec_lo, s7
	s_cbranch_vccz .LBB48_2770
; %bb.2731:
	s_cmp_gt_i32 s2, 22
	s_mov_b32 s3, -1
	s_cbranch_scc0 .LBB48_2763
; %bb.2732:
	s_cmp_lt_i32 s2, 24
	s_cbranch_scc1 .LBB48_2752
; %bb.2733:
	s_cmp_gt_i32 s2, 24
	s_cbranch_scc0 .LBB48_2741
; %bb.2734:
	s_wait_xcnt 0x0
	v_dual_mov_b32 v10, 0x80 :: v_dual_lshlrev_b32 v9, 16, v1
	s_mov_b32 s3, exec_lo
	s_delay_alu instid0(VALU_DEP_1) | instskip(NEXT) | instid1(VALU_DEP_1)
	v_and_b32_e32 v8, 0x7fffffff, v9
	v_cmpx_gt_u32_e32 0x47800000, v8
	s_cbranch_execz .LBB48_2740
; %bb.2735:
	v_and_b32_e32 v5, 0xffff, v1
	v_cmp_lt_u32_e32 vcc_lo, 0x37ffffff, v8
	s_mov_b32 s6, 0
                                        ; implicit-def: $vgpr8
	s_and_saveexec_b32 s7, vcc_lo
	s_delay_alu instid0(SALU_CYCLE_1)
	s_xor_b32 s7, exec_lo, s7
	s_cbranch_execz .LBB48_3180
; %bb.2736:
	v_bfe_u32 v8, v5, 5, 1
	s_mov_b32 s6, exec_lo
	s_delay_alu instid0(VALU_DEP_1) | instskip(NEXT) | instid1(VALU_DEP_1)
	v_add3_u32 v8, v9, v8, 0x88fffff
                                        ; implicit-def: $vgpr9
	v_lshrrev_b32_e32 v8, 21, v8
	s_and_not1_saveexec_b32 s7, s7
	s_cbranch_execnz .LBB48_3181
.LBB48_2737:
	s_or_b32 exec_lo, exec_lo, s7
	v_mov_b32_e32 v10, 0
	s_and_saveexec_b32 s7, s6
.LBB48_2738:
	v_lshrrev_b32_e32 v5, 8, v5
	s_delay_alu instid0(VALU_DEP_1)
	v_and_or_b32 v10, 0x80, v5, v8
.LBB48_2739:
	s_or_b32 exec_lo, exec_lo, s7
.LBB48_2740:
	s_delay_alu instid0(SALU_CYCLE_1)
	s_or_b32 exec_lo, exec_lo, s3
	s_mov_b32 s3, 0
	global_store_b8 v[6:7], v10, off
.LBB48_2741:
	s_and_b32 vcc_lo, exec_lo, s3
	s_cbranch_vccz .LBB48_2751
; %bb.2742:
	s_wait_xcnt 0x0
	v_lshlrev_b32_e32 v9, 16, v1
	v_and_b32_e32 v5, 0xffff, v1
	s_mov_b32 s3, exec_lo
                                        ; implicit-def: $vgpr8
	s_delay_alu instid0(VALU_DEP_2) | instskip(NEXT) | instid1(VALU_DEP_1)
	v_and_b32_e32 v10, 0x7fffffff, v9
	v_cmpx_gt_u32_e32 0x43f00000, v10
	s_xor_b32 s3, exec_lo, s3
	s_cbranch_execz .LBB48_2748
; %bb.2743:
	s_mov_b32 s6, exec_lo
                                        ; implicit-def: $vgpr8
	v_cmpx_lt_u32_e32 0x3c7fffff, v10
	s_xor_b32 s6, exec_lo, s6
; %bb.2744:
	v_bfe_u32 v8, v5, 4, 1
	s_delay_alu instid0(VALU_DEP_1) | instskip(NEXT) | instid1(VALU_DEP_1)
	v_add3_u32 v8, v9, v8, 0x407ffff
	v_and_b32_e32 v9, 0xff00000, v8
	v_lshrrev_b32_e32 v8, 20, v8
	s_delay_alu instid0(VALU_DEP_2) | instskip(NEXT) | instid1(VALU_DEP_2)
	v_cmp_ne_u32_e32 vcc_lo, 0x7f00000, v9
                                        ; implicit-def: $vgpr9
	v_cndmask_b32_e32 v8, 0x7e, v8, vcc_lo
; %bb.2745:
	s_and_not1_saveexec_b32 s6, s6
; %bb.2746:
	v_add_f32_e64 v8, 0x46800000, |v9|
; %bb.2747:
	s_or_b32 exec_lo, exec_lo, s6
                                        ; implicit-def: $vgpr10
.LBB48_2748:
	s_and_not1_saveexec_b32 s3, s3
; %bb.2749:
	v_mov_b32_e32 v8, 0x7f
	v_cmp_lt_u32_e32 vcc_lo, 0x7f800000, v10
	s_delay_alu instid0(VALU_DEP_2)
	v_cndmask_b32_e32 v8, 0x7e, v8, vcc_lo
; %bb.2750:
	s_or_b32 exec_lo, exec_lo, s3
	v_lshrrev_b32_e32 v5, 8, v5
	s_delay_alu instid0(VALU_DEP_1)
	v_and_or_b32 v5, 0x80, v5, v8
	global_store_b8 v[6:7], v5, off
.LBB48_2751:
	s_mov_b32 s3, 0
.LBB48_2752:
	s_delay_alu instid0(SALU_CYCLE_1)
	s_and_not1_b32 vcc_lo, exec_lo, s3
	s_cbranch_vccnz .LBB48_2762
; %bb.2753:
	s_wait_xcnt 0x0
	v_lshlrev_b32_e32 v9, 16, v1
	v_and_b32_e32 v5, 0xffff, v1
	s_mov_b32 s3, exec_lo
                                        ; implicit-def: $vgpr8
	s_delay_alu instid0(VALU_DEP_2) | instskip(NEXT) | instid1(VALU_DEP_1)
	v_and_b32_e32 v10, 0x7fffffff, v9
	v_cmpx_gt_u32_e32 0x47800000, v10
	s_xor_b32 s3, exec_lo, s3
	s_cbranch_execz .LBB48_2759
; %bb.2754:
	s_mov_b32 s6, exec_lo
                                        ; implicit-def: $vgpr8
	v_cmpx_lt_u32_e32 0x387fffff, v10
	s_xor_b32 s6, exec_lo, s6
; %bb.2755:
	v_bfe_u32 v8, v5, 5, 1
	s_delay_alu instid0(VALU_DEP_1) | instskip(NEXT) | instid1(VALU_DEP_1)
	v_add3_u32 v8, v9, v8, 0x80fffff
                                        ; implicit-def: $vgpr9
	v_lshrrev_b32_e32 v8, 21, v8
; %bb.2756:
	s_and_not1_saveexec_b32 s6, s6
; %bb.2757:
	v_add_f32_e64 v8, 0x43000000, |v9|
; %bb.2758:
	s_or_b32 exec_lo, exec_lo, s6
                                        ; implicit-def: $vgpr10
.LBB48_2759:
	s_and_not1_saveexec_b32 s3, s3
; %bb.2760:
	v_mov_b32_e32 v8, 0x7f
	v_cmp_lt_u32_e32 vcc_lo, 0x7f800000, v10
	s_delay_alu instid0(VALU_DEP_2)
	v_cndmask_b32_e32 v8, 0x7c, v8, vcc_lo
; %bb.2761:
	s_or_b32 exec_lo, exec_lo, s3
	v_lshrrev_b32_e32 v5, 8, v5
	s_delay_alu instid0(VALU_DEP_1)
	v_and_or_b32 v5, 0x80, v5, v8
	global_store_b8 v[6:7], v5, off
.LBB48_2762:
	s_mov_b32 s3, 0
	s_mov_b32 s6, -1
.LBB48_2763:
	s_and_not1_b32 vcc_lo, exec_lo, s3
	s_mov_b32 s3, 0
	s_cbranch_vccnz .LBB48_2770
; %bb.2764:
	s_cmp_gt_i32 s2, 14
	s_mov_b32 s3, -1
	s_cbranch_scc0 .LBB48_2768
; %bb.2765:
	s_cmp_eq_u32 s2, 15
	s_mov_b32 s0, -1
	s_cbranch_scc0 .LBB48_2767
; %bb.2766:
	s_mov_b32 s0, 0
	s_mov_b32 s6, -1
	global_store_b16 v[6:7], v1, off
.LBB48_2767:
	s_mov_b32 s3, 0
.LBB48_2768:
	s_delay_alu instid0(SALU_CYCLE_1)
	s_and_b32 vcc_lo, exec_lo, s3
	s_mov_b32 s3, 0
	s_cbranch_vccz .LBB48_2770
; %bb.2769:
	s_cmp_lg_u32 s2, 11
	s_mov_b32 s3, -1
	s_cselect_b32 s0, -1, 0
.LBB48_2770:
	s_delay_alu instid0(SALU_CYCLE_1)
	s_and_b32 vcc_lo, exec_lo, s0
	s_cbranch_vccnz .LBB48_3179
; %bb.2771:
	s_and_not1_b32 vcc_lo, exec_lo, s3
	s_cbranch_vccnz .LBB48_2773
.LBB48_2772:
	s_wait_xcnt 0x0
	v_and_b32_e32 v5, 0x7fff, v1
	s_mov_b32 s6, -1
	s_delay_alu instid0(VALU_DEP_1)
	v_cmp_ne_u16_e32 vcc_lo, 0, v5
	v_cndmask_b32_e64 v5, 0, 1, vcc_lo
	global_store_b8 v[6:7], v5, off
.LBB48_2773:
	s_mov_b32 s0, 0
	s_branch .LBB48_2820
.LBB48_2774:
	s_mov_b32 s0, 0
	s_mov_b32 s3, 0
                                        ; implicit-def: $vgpr2_vgpr3
                                        ; implicit-def: $sgpr1
                                        ; implicit-def: $vgpr12
.LBB48_2775:
	s_and_not1_b32 s2, s8, exec_lo
	s_and_b32 s4, s10, exec_lo
	s_and_b32 s0, s0, exec_lo
	;; [unrolled: 1-line block ×3, first 2 shown]
	s_or_b32 s8, s2, s4
.LBB48_2776:
	s_wait_xcnt 0x0
	s_or_b32 exec_lo, exec_lo, s9
	s_and_saveexec_b32 s2, s8
	s_cbranch_execz .LBB48_2779
; %bb.2777:
	; divergent unreachable
	s_or_b32 exec_lo, exec_lo, s2
	s_and_saveexec_b32 s2, s28
	s_delay_alu instid0(SALU_CYCLE_1)
	s_xor_b32 s2, exec_lo, s2
	s_cbranch_execnz .LBB48_2780
.LBB48_2778:
	s_or_b32 exec_lo, exec_lo, s2
	s_and_saveexec_b32 s2, s0
	s_cbranch_execnz .LBB48_2781
	s_branch .LBB48_2818
.LBB48_2779:
	s_or_b32 exec_lo, exec_lo, s2
	s_and_saveexec_b32 s2, s28
	s_delay_alu instid0(SALU_CYCLE_1)
	s_xor_b32 s2, exec_lo, s2
	s_cbranch_execz .LBB48_2778
.LBB48_2780:
	s_wait_loadcnt 0x0
	v_and_b32_e32 v0, 0x7fff, v12
	s_delay_alu instid0(VALU_DEP_1)
	v_cmp_ne_u16_e32 vcc_lo, 0, v0
	v_cndmask_b32_e64 v0, 0, 1, vcc_lo
	global_store_b8 v[2:3], v0, off
	s_wait_xcnt 0x0
	s_or_b32 exec_lo, exec_lo, s2
	s_and_saveexec_b32 s2, s0
	s_cbranch_execz .LBB48_2818
.LBB48_2781:
	s_sext_i32_i16 s2, s1
	s_mov_b32 s0, -1
	s_cmp_lt_i32 s2, 5
	s_cbranch_scc1 .LBB48_2802
; %bb.2782:
	s_cmp_lt_i32 s2, 8
	s_cbranch_scc1 .LBB48_2792
; %bb.2783:
	;; [unrolled: 3-line block ×3, first 2 shown]
	s_cmp_gt_i32 s2, 9
	s_cbranch_scc0 .LBB48_2786
; %bb.2785:
	s_wait_loadcnt 0x0
	v_dual_lshlrev_b32 v0, 16, v12 :: v_dual_mov_b32 v6, 0
	s_mov_b32 s0, 0
	s_delay_alu instid0(VALU_DEP_1) | instskip(NEXT) | instid1(VALU_DEP_2)
	v_cvt_f64_f32_e32 v[4:5], v0
	v_mov_b32_e32 v7, v6
	global_store_b128 v[2:3], v[4:7], off
.LBB48_2786:
	s_and_not1_b32 vcc_lo, exec_lo, s0
	s_cbranch_vccnz .LBB48_2788
; %bb.2787:
	s_wait_loadcnt 0x0
	v_dual_mov_b32 v1, 0 :: v_dual_lshlrev_b32 v0, 16, v12
	global_store_b64 v[2:3], v[0:1], off
.LBB48_2788:
	s_mov_b32 s0, 0
.LBB48_2789:
	s_delay_alu instid0(SALU_CYCLE_1)
	s_and_not1_b32 vcc_lo, exec_lo, s0
	s_cbranch_vccnz .LBB48_2791
; %bb.2790:
	s_wait_loadcnt 0x0
	v_lshlrev_b32_e32 v0, 16, v12
	s_delay_alu instid0(VALU_DEP_1) | instskip(NEXT) | instid1(VALU_DEP_1)
	v_cvt_f16_f32_e32 v0, v0
	v_and_b32_e32 v0, 0xffff, v0
	global_store_b32 v[2:3], v0, off
.LBB48_2791:
	s_mov_b32 s0, 0
.LBB48_2792:
	s_delay_alu instid0(SALU_CYCLE_1)
	s_and_not1_b32 vcc_lo, exec_lo, s0
	s_cbranch_vccnz .LBB48_2801
; %bb.2793:
	s_sext_i32_i16 s2, s1
	s_mov_b32 s0, -1
	s_cmp_lt_i32 s2, 6
	s_cbranch_scc1 .LBB48_2799
; %bb.2794:
	s_cmp_gt_i32 s2, 6
	s_cbranch_scc0 .LBB48_2796
; %bb.2795:
	s_wait_loadcnt 0x0
	v_lshlrev_b32_e32 v0, 16, v12
	s_mov_b32 s0, 0
	s_delay_alu instid0(VALU_DEP_1)
	v_cvt_f64_f32_e32 v[0:1], v0
	global_store_b64 v[2:3], v[0:1], off
.LBB48_2796:
	s_and_not1_b32 vcc_lo, exec_lo, s0
	s_cbranch_vccnz .LBB48_2798
; %bb.2797:
	s_wait_loadcnt 0x0
	v_lshlrev_b32_e32 v0, 16, v12
	global_store_b32 v[2:3], v0, off
.LBB48_2798:
	s_mov_b32 s0, 0
.LBB48_2799:
	s_delay_alu instid0(SALU_CYCLE_1)
	s_and_not1_b32 vcc_lo, exec_lo, s0
	s_cbranch_vccnz .LBB48_2801
; %bb.2800:
	s_wait_loadcnt 0x0
	v_lshlrev_b32_e32 v0, 16, v12
	s_delay_alu instid0(VALU_DEP_1)
	v_cvt_f16_f32_e32 v0, v0
	global_store_b16 v[2:3], v0, off
.LBB48_2801:
	s_mov_b32 s0, 0
.LBB48_2802:
	s_delay_alu instid0(SALU_CYCLE_1)
	s_and_not1_b32 vcc_lo, exec_lo, s0
	s_cbranch_vccnz .LBB48_2818
; %bb.2803:
	s_sext_i32_i16 s2, s1
	s_mov_b32 s0, -1
	s_cmp_lt_i32 s2, 2
	s_cbranch_scc1 .LBB48_2813
; %bb.2804:
	s_cmp_lt_i32 s2, 3
	s_cbranch_scc1 .LBB48_2810
; %bb.2805:
	s_cmp_gt_i32 s2, 3
	s_cbranch_scc0 .LBB48_2807
; %bb.2806:
	s_wait_loadcnt 0x0
	v_lshlrev_b32_e32 v0, 16, v12
	s_mov_b32 s0, 0
	s_delay_alu instid0(VALU_DEP_1) | instskip(NEXT) | instid1(VALU_DEP_1)
	v_trunc_f32_e32 v0, v0
	v_mul_f32_e64 v1, 0x2f800000, |v0|
	s_delay_alu instid0(VALU_DEP_1) | instskip(NEXT) | instid1(VALU_DEP_1)
	v_floor_f32_e32 v1, v1
	v_fma_f32 v4, 0xcf800000, v1, |v0|
	v_ashrrev_i32_e32 v0, 31, v0
	v_cvt_u32_f32_e32 v5, v1
	s_delay_alu instid0(VALU_DEP_3) | instskip(NEXT) | instid1(VALU_DEP_2)
	v_cvt_u32_f32_e32 v4, v4
	v_dual_mov_b32 v1, v0 :: v_dual_bitop2_b32 v5, v5, v0 bitop3:0x14
	s_delay_alu instid0(VALU_DEP_2) | instskip(NEXT) | instid1(VALU_DEP_1)
	v_xor_b32_e32 v4, v4, v0
	v_sub_nc_u64_e32 v[0:1], v[4:5], v[0:1]
	global_store_b64 v[2:3], v[0:1], off
.LBB48_2807:
	s_and_not1_b32 vcc_lo, exec_lo, s0
	s_cbranch_vccnz .LBB48_2809
; %bb.2808:
	s_wait_loadcnt 0x0
	v_lshlrev_b32_e32 v0, 16, v12
	s_delay_alu instid0(VALU_DEP_1)
	v_cvt_i32_f32_e32 v0, v0
	global_store_b32 v[2:3], v0, off
.LBB48_2809:
	s_mov_b32 s0, 0
.LBB48_2810:
	s_delay_alu instid0(SALU_CYCLE_1)
	s_and_not1_b32 vcc_lo, exec_lo, s0
	s_cbranch_vccnz .LBB48_2812
; %bb.2811:
	s_wait_loadcnt 0x0
	v_lshlrev_b32_e32 v0, 16, v12
	s_delay_alu instid0(VALU_DEP_1)
	v_cvt_i32_f32_e32 v0, v0
	global_store_b16 v[2:3], v0, off
.LBB48_2812:
	s_mov_b32 s0, 0
.LBB48_2813:
	s_delay_alu instid0(SALU_CYCLE_1)
	s_and_not1_b32 vcc_lo, exec_lo, s0
	s_cbranch_vccnz .LBB48_2818
; %bb.2814:
	s_sext_i32_i16 s0, s1
	s_delay_alu instid0(SALU_CYCLE_1)
	s_cmp_gt_i32 s0, 0
	s_mov_b32 s0, -1
	s_cbranch_scc0 .LBB48_2816
; %bb.2815:
	s_wait_loadcnt 0x0
	v_lshlrev_b32_e32 v0, 16, v12
	s_mov_b32 s0, 0
	s_delay_alu instid0(VALU_DEP_1)
	v_cvt_i32_f32_e32 v0, v0
	global_store_b8 v[2:3], v0, off
.LBB48_2816:
	s_and_not1_b32 vcc_lo, exec_lo, s0
	s_cbranch_vccnz .LBB48_2818
; %bb.2817:
	s_wait_loadcnt 0x0
	v_lshlrev_b32_e32 v0, 16, v12
	s_delay_alu instid0(VALU_DEP_1) | instskip(NEXT) | instid1(VALU_DEP_1)
	v_trunc_f32_e32 v0, v0
	v_mul_f32_e64 v1, 0x2f800000, |v0|
	s_delay_alu instid0(VALU_DEP_1) | instskip(NEXT) | instid1(VALU_DEP_1)
	v_floor_f32_e32 v1, v1
	v_fma_f32 v1, 0xcf800000, v1, |v0|
	v_ashrrev_i32_e32 v0, 31, v0
	s_delay_alu instid0(VALU_DEP_2) | instskip(NEXT) | instid1(VALU_DEP_1)
	v_cvt_u32_f32_e32 v1, v1
	v_xor_b32_e32 v1, v1, v0
	s_delay_alu instid0(VALU_DEP_1)
	v_sub_nc_u32_e32 v0, v1, v0
	global_store_b8 v[2:3], v0, off
	s_endpgm
.LBB48_2818:
	s_endpgm
.LBB48_2819:
	s_mov_b32 s0, -1
	s_mov_b32 s6, 0
.LBB48_2820:
	s_and_b32 vcc_lo, exec_lo, s0
	s_cbranch_vccz .LBB48_2859
; %bb.2821:
	s_and_b32 s0, 0xffff, s1
	s_mov_b32 s2, -1
	s_cmp_lt_i32 s0, 5
	s_cbranch_scc1 .LBB48_2842
; %bb.2822:
	s_cmp_lt_i32 s0, 8
	s_cbranch_scc1 .LBB48_2832
; %bb.2823:
	;; [unrolled: 3-line block ×3, first 2 shown]
	s_cmp_gt_i32 s0, 9
	s_cbranch_scc0 .LBB48_2826
; %bb.2825:
	s_wait_xcnt 0x0
	v_dual_mov_b32 v10, 0 :: v_dual_lshlrev_b32 v5, 16, v1
	s_mov_b32 s2, 0
	s_delay_alu instid0(VALU_DEP_1) | instskip(NEXT) | instid1(VALU_DEP_2)
	v_cvt_f64_f32_e32 v[8:9], v5
	v_mov_b32_e32 v11, v10
	global_store_b128 v[6:7], v[8:11], off
.LBB48_2826:
	s_and_not1_b32 vcc_lo, exec_lo, s2
	s_cbranch_vccnz .LBB48_2828
; %bb.2827:
	s_wait_xcnt 0x0
	v_dual_mov_b32 v9, 0 :: v_dual_lshlrev_b32 v8, 16, v1
	global_store_b64 v[6:7], v[8:9], off
.LBB48_2828:
	s_mov_b32 s2, 0
.LBB48_2829:
	s_delay_alu instid0(SALU_CYCLE_1)
	s_and_not1_b32 vcc_lo, exec_lo, s2
	s_cbranch_vccnz .LBB48_2831
; %bb.2830:
	s_wait_xcnt 0x0
	v_lshlrev_b32_e32 v5, 16, v1
	s_delay_alu instid0(VALU_DEP_1) | instskip(NEXT) | instid1(VALU_DEP_1)
	v_cvt_f16_f32_e32 v5, v5
	v_and_b32_e32 v5, 0xffff, v5
	global_store_b32 v[6:7], v5, off
.LBB48_2831:
	s_mov_b32 s2, 0
.LBB48_2832:
	s_delay_alu instid0(SALU_CYCLE_1)
	s_and_not1_b32 vcc_lo, exec_lo, s2
	s_cbranch_vccnz .LBB48_2841
; %bb.2833:
	s_cmp_lt_i32 s0, 6
	s_mov_b32 s2, -1
	s_cbranch_scc1 .LBB48_2839
; %bb.2834:
	s_cmp_gt_i32 s0, 6
	s_cbranch_scc0 .LBB48_2836
; %bb.2835:
	s_wait_xcnt 0x0
	v_lshlrev_b32_e32 v5, 16, v1
	s_mov_b32 s2, 0
	s_delay_alu instid0(VALU_DEP_1)
	v_cvt_f64_f32_e32 v[8:9], v5
	global_store_b64 v[6:7], v[8:9], off
.LBB48_2836:
	s_and_not1_b32 vcc_lo, exec_lo, s2
	s_cbranch_vccnz .LBB48_2838
; %bb.2837:
	s_wait_xcnt 0x0
	v_lshlrev_b32_e32 v5, 16, v1
	global_store_b32 v[6:7], v5, off
.LBB48_2838:
	s_mov_b32 s2, 0
.LBB48_2839:
	s_delay_alu instid0(SALU_CYCLE_1)
	s_and_not1_b32 vcc_lo, exec_lo, s2
	s_cbranch_vccnz .LBB48_2841
; %bb.2840:
	s_wait_xcnt 0x0
	v_lshlrev_b32_e32 v5, 16, v1
	s_delay_alu instid0(VALU_DEP_1)
	v_cvt_f16_f32_e32 v5, v5
	global_store_b16 v[6:7], v5, off
.LBB48_2841:
	s_mov_b32 s2, 0
.LBB48_2842:
	s_delay_alu instid0(SALU_CYCLE_1)
	s_and_not1_b32 vcc_lo, exec_lo, s2
	s_cbranch_vccnz .LBB48_2858
; %bb.2843:
	s_cmp_lt_i32 s0, 2
	s_mov_b32 s2, -1
	s_cbranch_scc1 .LBB48_2853
; %bb.2844:
	s_cmp_lt_i32 s0, 3
	s_cbranch_scc1 .LBB48_2850
; %bb.2845:
	s_cmp_gt_i32 s0, 3
	s_cbranch_scc0 .LBB48_2847
; %bb.2846:
	s_wait_xcnt 0x0
	v_lshlrev_b32_e32 v5, 16, v1
	s_mov_b32 s2, 0
	s_delay_alu instid0(VALU_DEP_1) | instskip(NEXT) | instid1(VALU_DEP_1)
	v_trunc_f32_e32 v5, v5
	v_mul_f32_e64 v8, 0x2f800000, |v5|
	s_delay_alu instid0(VALU_DEP_1) | instskip(SKIP_1) | instid1(VALU_DEP_2)
	v_floor_f32_e32 v9, v8
	v_ashrrev_i32_e32 v8, 31, v5
	v_fma_f32 v10, 0xcf800000, v9, |v5|
	v_cvt_u32_f32_e32 v5, v9
	s_delay_alu instid0(VALU_DEP_3) | instskip(NEXT) | instid1(VALU_DEP_3)
	v_mov_b32_e32 v9, v8
	v_cvt_u32_f32_e32 v10, v10
	s_delay_alu instid0(VALU_DEP_3) | instskip(NEXT) | instid1(VALU_DEP_2)
	v_xor_b32_e32 v11, v5, v8
	v_xor_b32_e32 v10, v10, v8
	s_delay_alu instid0(VALU_DEP_1)
	v_sub_nc_u64_e32 v[8:9], v[10:11], v[8:9]
	global_store_b64 v[6:7], v[8:9], off
.LBB48_2847:
	s_and_not1_b32 vcc_lo, exec_lo, s2
	s_cbranch_vccnz .LBB48_2849
; %bb.2848:
	s_wait_xcnt 0x0
	v_lshlrev_b32_e32 v5, 16, v1
	s_delay_alu instid0(VALU_DEP_1)
	v_cvt_i32_f32_e32 v5, v5
	global_store_b32 v[6:7], v5, off
.LBB48_2849:
	s_mov_b32 s2, 0
.LBB48_2850:
	s_delay_alu instid0(SALU_CYCLE_1)
	s_and_not1_b32 vcc_lo, exec_lo, s2
	s_cbranch_vccnz .LBB48_2852
; %bb.2851:
	s_wait_xcnt 0x0
	v_lshlrev_b32_e32 v5, 16, v1
	s_delay_alu instid0(VALU_DEP_1)
	v_cvt_i32_f32_e32 v5, v5
	global_store_b16 v[6:7], v5, off
.LBB48_2852:
	s_mov_b32 s2, 0
.LBB48_2853:
	s_delay_alu instid0(SALU_CYCLE_1)
	s_and_not1_b32 vcc_lo, exec_lo, s2
	s_cbranch_vccnz .LBB48_2858
; %bb.2854:
	s_wait_xcnt 0x0
	v_lshlrev_b32_e32 v1, 16, v1
	s_cmp_gt_i32 s0, 0
	s_mov_b32 s0, -1
	s_cbranch_scc0 .LBB48_2856
; %bb.2855:
	s_delay_alu instid0(VALU_DEP_1)
	v_cvt_i32_f32_e32 v5, v1
	s_mov_b32 s0, 0
	global_store_b8 v[6:7], v5, off
.LBB48_2856:
	s_and_not1_b32 vcc_lo, exec_lo, s0
	s_cbranch_vccnz .LBB48_2858
; %bb.2857:
	v_trunc_f32_e32 v1, v1
	s_wait_xcnt 0x0
	s_delay_alu instid0(VALU_DEP_1) | instskip(NEXT) | instid1(VALU_DEP_1)
	v_mul_f32_e64 v5, 0x2f800000, |v1|
	v_floor_f32_e32 v5, v5
	s_delay_alu instid0(VALU_DEP_1) | instskip(SKIP_1) | instid1(VALU_DEP_2)
	v_fma_f32 v5, 0xcf800000, v5, |v1|
	v_ashrrev_i32_e32 v1, 31, v1
	v_cvt_u32_f32_e32 v5, v5
	s_delay_alu instid0(VALU_DEP_1) | instskip(NEXT) | instid1(VALU_DEP_1)
	v_xor_b32_e32 v5, v5, v1
	v_sub_nc_u32_e32 v1, v5, v1
	global_store_b8 v[6:7], v1, off
.LBB48_2858:
	s_mov_b32 s6, -1
.LBB48_2859:
	s_delay_alu instid0(SALU_CYCLE_1)
	s_and_not1_b32 vcc_lo, exec_lo, s6
	s_cbranch_vccnz .LBB48_3174
; %bb.2860:
	s_wait_xcnt 0x0
	v_mov_b32_e32 v5, 0
	s_and_b32 s2, 0xffff, s1
	s_delay_alu instid0(SALU_CYCLE_1) | instskip(NEXT) | instid1(VALU_DEP_1)
	s_cmp_lt_i32 s2, 11
	v_add_nc_u64_e32 v[4:5], s[4:5], v[4:5]
	s_cbranch_scc1 .LBB48_2938
; %bb.2861:
	s_mov_b32 s7, -1
	s_mov_b32 s3, 0
	s_cmp_gt_i32 s2, 25
	s_mov_b32 s6, 0
	s_mov_b32 s0, 0
	s_cbranch_scc0 .LBB48_2894
; %bb.2862:
	s_cmp_gt_i32 s2, 28
	s_cbranch_scc0 .LBB48_2877
; %bb.2863:
	s_cmp_gt_i32 s2, 43
	;; [unrolled: 3-line block ×3, first 2 shown]
	s_cbranch_scc0 .LBB48_2867
; %bb.2865:
	s_mov_b32 s0, -1
	s_mov_b32 s7, 0
	s_cmp_eq_u32 s2, 46
	s_cbranch_scc0 .LBB48_2867
; %bb.2866:
	v_and_b32_e32 v1, 0xffff, v3
	s_mov_b32 s0, 0
	s_mov_b32 s6, -1
	global_store_b32 v[4:5], v1, off
.LBB48_2867:
	s_and_b32 vcc_lo, exec_lo, s7
	s_cbranch_vccz .LBB48_2872
; %bb.2868:
	s_cmp_eq_u32 s2, 44
	s_mov_b32 s0, -1
	s_cbranch_scc0 .LBB48_2872
; %bb.2869:
	s_wait_xcnt 0x0
	v_and_b32_e32 v1, 0xffff, v3
	v_mov_b32_e32 v6, 0xff
	s_mov_b32 s6, exec_lo
	s_delay_alu instid0(VALU_DEP_2) | instskip(NEXT) | instid1(VALU_DEP_1)
	v_bfe_u32 v7, v1, 7, 8
	v_cmpx_ne_u32_e32 0xff, v7
	s_cbranch_execz .LBB48_2871
; %bb.2870:
	v_dual_lshlrev_b32 v6, 16, v1 :: v_dual_bitop2_b32 v8, 64, v1 bitop3:0x40
	v_lshrrev_b32_e32 v1, 7, v1
	s_delay_alu instid0(VALU_DEP_2) | instskip(NEXT) | instid1(VALU_DEP_3)
	v_and_or_b32 v6, 0x3f0000, v6, v7
	v_cmp_ne_u32_e32 vcc_lo, 0, v8
	s_delay_alu instid0(VALU_DEP_2) | instskip(SKIP_1) | instid1(SALU_CYCLE_1)
	v_cmp_ne_u32_e64 s0, 0, v6
	s_and_b32 s0, vcc_lo, s0
	v_cndmask_b32_e64 v6, 0, 1, s0
	s_delay_alu instid0(VALU_DEP_1)
	v_add_nc_u32_e32 v6, v1, v6
.LBB48_2871:
	s_or_b32 exec_lo, exec_lo, s6
	s_mov_b32 s0, 0
	s_mov_b32 s6, -1
	global_store_b8 v[4:5], v6, off
.LBB48_2872:
	s_mov_b32 s7, 0
.LBB48_2873:
	s_delay_alu instid0(SALU_CYCLE_1)
	s_and_b32 vcc_lo, exec_lo, s7
	s_cbranch_vccz .LBB48_2876
; %bb.2874:
	s_cmp_eq_u32 s2, 29
	s_mov_b32 s0, -1
	s_cbranch_scc0 .LBB48_2876
; %bb.2875:
	s_wait_xcnt 0x0
	v_lshlrev_b32_e32 v1, 16, v3
	s_mov_b32 s0, 0
	s_mov_b32 s6, -1
	s_delay_alu instid0(VALU_DEP_1) | instskip(NEXT) | instid1(VALU_DEP_1)
	v_trunc_f32_e32 v1, v1
	v_mul_f32_e32 v6, 0x2f800000, v1
	s_delay_alu instid0(VALU_DEP_1) | instskip(NEXT) | instid1(VALU_DEP_1)
	v_floor_f32_e32 v6, v6
	v_fmamk_f32 v1, v6, 0xcf800000, v1
	v_cvt_u32_f32_e32 v7, v6
	s_delay_alu instid0(VALU_DEP_2)
	v_cvt_u32_f32_e32 v6, v1
	global_store_b64 v[4:5], v[6:7], off
.LBB48_2876:
	s_mov_b32 s7, 0
.LBB48_2877:
	s_delay_alu instid0(SALU_CYCLE_1)
	s_and_b32 vcc_lo, exec_lo, s7
	s_cbranch_vccz .LBB48_2893
; %bb.2878:
	s_cmp_lt_i32 s2, 27
	s_mov_b32 s6, -1
	s_cbranch_scc1 .LBB48_2884
; %bb.2879:
	s_cmp_gt_i32 s2, 27
	s_cbranch_scc0 .LBB48_2881
; %bb.2880:
	s_wait_xcnt 0x0
	v_lshlrev_b32_e32 v1, 16, v3
	s_mov_b32 s6, 0
	s_delay_alu instid0(VALU_DEP_1)
	v_cvt_u32_f32_e32 v1, v1
	global_store_b32 v[4:5], v1, off
.LBB48_2881:
	s_and_not1_b32 vcc_lo, exec_lo, s6
	s_cbranch_vccnz .LBB48_2883
; %bb.2882:
	s_wait_xcnt 0x0
	v_lshlrev_b32_e32 v1, 16, v3
	s_delay_alu instid0(VALU_DEP_1)
	v_cvt_u32_f32_e32 v1, v1
	global_store_b16 v[4:5], v1, off
.LBB48_2883:
	s_mov_b32 s6, 0
.LBB48_2884:
	s_delay_alu instid0(SALU_CYCLE_1)
	s_and_not1_b32 vcc_lo, exec_lo, s6
	s_cbranch_vccnz .LBB48_2892
; %bb.2885:
	s_wait_xcnt 0x0
	v_dual_mov_b32 v8, 0x80 :: v_dual_lshlrev_b32 v7, 16, v3
	s_mov_b32 s6, exec_lo
	s_delay_alu instid0(VALU_DEP_1) | instskip(NEXT) | instid1(VALU_DEP_1)
	v_and_b32_e32 v6, 0x7fffffff, v7
	v_cmpx_gt_u32_e32 0x43800000, v6
	s_cbranch_execz .LBB48_2891
; %bb.2886:
	v_and_b32_e32 v1, 0xffff, v3
	v_cmp_lt_u32_e32 vcc_lo, 0x3bffffff, v6
	s_mov_b32 s7, 0
                                        ; implicit-def: $vgpr6
	s_and_saveexec_b32 s11, vcc_lo
	s_delay_alu instid0(SALU_CYCLE_1)
	s_xor_b32 s11, exec_lo, s11
	s_cbranch_execz .LBB48_3182
; %bb.2887:
	v_bfe_u32 v6, v1, 4, 1
	s_mov_b32 s7, exec_lo
	s_delay_alu instid0(VALU_DEP_1) | instskip(NEXT) | instid1(VALU_DEP_1)
	v_add3_u32 v6, v7, v6, 0x487ffff
                                        ; implicit-def: $vgpr7
	v_lshrrev_b32_e32 v6, 20, v6
	s_and_not1_saveexec_b32 s11, s11
	s_cbranch_execnz .LBB48_3183
.LBB48_2888:
	s_or_b32 exec_lo, exec_lo, s11
	v_mov_b32_e32 v8, 0
	s_and_saveexec_b32 s11, s7
.LBB48_2889:
	v_lshrrev_b32_e32 v1, 8, v1
	s_delay_alu instid0(VALU_DEP_1)
	v_and_or_b32 v8, 0x80, v1, v6
.LBB48_2890:
	s_or_b32 exec_lo, exec_lo, s11
.LBB48_2891:
	s_delay_alu instid0(SALU_CYCLE_1)
	s_or_b32 exec_lo, exec_lo, s6
	global_store_b8 v[4:5], v8, off
.LBB48_2892:
	s_mov_b32 s6, -1
.LBB48_2893:
	s_mov_b32 s7, 0
.LBB48_2894:
	s_delay_alu instid0(SALU_CYCLE_1)
	s_and_b32 vcc_lo, exec_lo, s7
	s_cbranch_vccz .LBB48_2934
; %bb.2895:
	s_cmp_gt_i32 s2, 22
	s_mov_b32 s3, -1
	s_cbranch_scc0 .LBB48_2927
; %bb.2896:
	s_cmp_lt_i32 s2, 24
	s_cbranch_scc1 .LBB48_2916
; %bb.2897:
	s_cmp_gt_i32 s2, 24
	s_cbranch_scc0 .LBB48_2905
; %bb.2898:
	s_wait_xcnt 0x0
	v_dual_mov_b32 v8, 0x80 :: v_dual_lshlrev_b32 v7, 16, v3
	s_mov_b32 s3, exec_lo
	s_delay_alu instid0(VALU_DEP_1) | instskip(NEXT) | instid1(VALU_DEP_1)
	v_and_b32_e32 v6, 0x7fffffff, v7
	v_cmpx_gt_u32_e32 0x47800000, v6
	s_cbranch_execz .LBB48_2904
; %bb.2899:
	v_and_b32_e32 v1, 0xffff, v3
	v_cmp_lt_u32_e32 vcc_lo, 0x37ffffff, v6
	s_mov_b32 s6, 0
                                        ; implicit-def: $vgpr6
	s_and_saveexec_b32 s7, vcc_lo
	s_delay_alu instid0(SALU_CYCLE_1)
	s_xor_b32 s7, exec_lo, s7
	s_cbranch_execz .LBB48_3185
; %bb.2900:
	v_bfe_u32 v6, v1, 5, 1
	s_mov_b32 s6, exec_lo
	s_delay_alu instid0(VALU_DEP_1) | instskip(NEXT) | instid1(VALU_DEP_1)
	v_add3_u32 v6, v7, v6, 0x88fffff
                                        ; implicit-def: $vgpr7
	v_lshrrev_b32_e32 v6, 21, v6
	s_and_not1_saveexec_b32 s7, s7
	s_cbranch_execnz .LBB48_3186
.LBB48_2901:
	s_or_b32 exec_lo, exec_lo, s7
	v_mov_b32_e32 v8, 0
	s_and_saveexec_b32 s7, s6
.LBB48_2902:
	v_lshrrev_b32_e32 v1, 8, v1
	s_delay_alu instid0(VALU_DEP_1)
	v_and_or_b32 v8, 0x80, v1, v6
.LBB48_2903:
	s_or_b32 exec_lo, exec_lo, s7
.LBB48_2904:
	s_delay_alu instid0(SALU_CYCLE_1)
	s_or_b32 exec_lo, exec_lo, s3
	s_mov_b32 s3, 0
	global_store_b8 v[4:5], v8, off
.LBB48_2905:
	s_and_b32 vcc_lo, exec_lo, s3
	s_cbranch_vccz .LBB48_2915
; %bb.2906:
	s_wait_xcnt 0x0
	v_lshlrev_b32_e32 v7, 16, v3
	v_and_b32_e32 v1, 0xffff, v3
	s_mov_b32 s3, exec_lo
                                        ; implicit-def: $vgpr6
	s_delay_alu instid0(VALU_DEP_2) | instskip(NEXT) | instid1(VALU_DEP_1)
	v_and_b32_e32 v8, 0x7fffffff, v7
	v_cmpx_gt_u32_e32 0x43f00000, v8
	s_xor_b32 s3, exec_lo, s3
	s_cbranch_execz .LBB48_2912
; %bb.2907:
	s_mov_b32 s6, exec_lo
                                        ; implicit-def: $vgpr6
	v_cmpx_lt_u32_e32 0x3c7fffff, v8
	s_xor_b32 s6, exec_lo, s6
; %bb.2908:
	v_bfe_u32 v6, v1, 4, 1
	s_delay_alu instid0(VALU_DEP_1) | instskip(NEXT) | instid1(VALU_DEP_1)
	v_add3_u32 v6, v7, v6, 0x407ffff
	v_and_b32_e32 v7, 0xff00000, v6
	v_lshrrev_b32_e32 v6, 20, v6
	s_delay_alu instid0(VALU_DEP_2) | instskip(NEXT) | instid1(VALU_DEP_2)
	v_cmp_ne_u32_e32 vcc_lo, 0x7f00000, v7
                                        ; implicit-def: $vgpr7
	v_cndmask_b32_e32 v6, 0x7e, v6, vcc_lo
; %bb.2909:
	s_and_not1_saveexec_b32 s6, s6
; %bb.2910:
	v_add_f32_e64 v6, 0x46800000, |v7|
; %bb.2911:
	s_or_b32 exec_lo, exec_lo, s6
                                        ; implicit-def: $vgpr8
.LBB48_2912:
	s_and_not1_saveexec_b32 s3, s3
; %bb.2913:
	v_mov_b32_e32 v6, 0x7f
	v_cmp_lt_u32_e32 vcc_lo, 0x7f800000, v8
	s_delay_alu instid0(VALU_DEP_2)
	v_cndmask_b32_e32 v6, 0x7e, v6, vcc_lo
; %bb.2914:
	s_or_b32 exec_lo, exec_lo, s3
	v_lshrrev_b32_e32 v1, 8, v1
	s_delay_alu instid0(VALU_DEP_1)
	v_and_or_b32 v1, 0x80, v1, v6
	global_store_b8 v[4:5], v1, off
.LBB48_2915:
	s_mov_b32 s3, 0
.LBB48_2916:
	s_delay_alu instid0(SALU_CYCLE_1)
	s_and_not1_b32 vcc_lo, exec_lo, s3
	s_cbranch_vccnz .LBB48_2926
; %bb.2917:
	s_wait_xcnt 0x0
	v_lshlrev_b32_e32 v7, 16, v3
	v_and_b32_e32 v1, 0xffff, v3
	s_mov_b32 s3, exec_lo
                                        ; implicit-def: $vgpr6
	s_delay_alu instid0(VALU_DEP_2) | instskip(NEXT) | instid1(VALU_DEP_1)
	v_and_b32_e32 v8, 0x7fffffff, v7
	v_cmpx_gt_u32_e32 0x47800000, v8
	s_xor_b32 s3, exec_lo, s3
	s_cbranch_execz .LBB48_2923
; %bb.2918:
	s_mov_b32 s6, exec_lo
                                        ; implicit-def: $vgpr6
	v_cmpx_lt_u32_e32 0x387fffff, v8
	s_xor_b32 s6, exec_lo, s6
; %bb.2919:
	v_bfe_u32 v6, v1, 5, 1
	s_delay_alu instid0(VALU_DEP_1) | instskip(NEXT) | instid1(VALU_DEP_1)
	v_add3_u32 v6, v7, v6, 0x80fffff
                                        ; implicit-def: $vgpr7
	v_lshrrev_b32_e32 v6, 21, v6
; %bb.2920:
	s_and_not1_saveexec_b32 s6, s6
; %bb.2921:
	v_add_f32_e64 v6, 0x43000000, |v7|
; %bb.2922:
	s_or_b32 exec_lo, exec_lo, s6
                                        ; implicit-def: $vgpr8
.LBB48_2923:
	s_and_not1_saveexec_b32 s3, s3
; %bb.2924:
	v_mov_b32_e32 v6, 0x7f
	v_cmp_lt_u32_e32 vcc_lo, 0x7f800000, v8
	s_delay_alu instid0(VALU_DEP_2)
	v_cndmask_b32_e32 v6, 0x7c, v6, vcc_lo
; %bb.2925:
	s_or_b32 exec_lo, exec_lo, s3
	v_lshrrev_b32_e32 v1, 8, v1
	s_delay_alu instid0(VALU_DEP_1)
	v_and_or_b32 v1, 0x80, v1, v6
	global_store_b8 v[4:5], v1, off
.LBB48_2926:
	s_mov_b32 s3, 0
	s_mov_b32 s6, -1
.LBB48_2927:
	s_and_not1_b32 vcc_lo, exec_lo, s3
	s_mov_b32 s3, 0
	s_cbranch_vccnz .LBB48_2934
; %bb.2928:
	s_cmp_gt_i32 s2, 14
	s_mov_b32 s3, -1
	s_cbranch_scc0 .LBB48_2932
; %bb.2929:
	s_cmp_eq_u32 s2, 15
	s_mov_b32 s0, -1
	s_cbranch_scc0 .LBB48_2931
; %bb.2930:
	s_mov_b32 s0, 0
	s_mov_b32 s6, -1
	global_store_b16 v[4:5], v3, off
.LBB48_2931:
	s_mov_b32 s3, 0
.LBB48_2932:
	s_delay_alu instid0(SALU_CYCLE_1)
	s_and_b32 vcc_lo, exec_lo, s3
	s_mov_b32 s3, 0
	s_cbranch_vccz .LBB48_2934
; %bb.2933:
	s_cmp_lg_u32 s2, 11
	s_mov_b32 s3, -1
	s_cselect_b32 s0, -1, 0
.LBB48_2934:
	s_delay_alu instid0(SALU_CYCLE_1)
	s_and_b32 vcc_lo, exec_lo, s0
	s_cbranch_vccnz .LBB48_3184
; %bb.2935:
	s_and_not1_b32 vcc_lo, exec_lo, s3
	s_cbranch_vccnz .LBB48_2937
.LBB48_2936:
	s_wait_xcnt 0x0
	v_and_b32_e32 v1, 0x7fff, v3
	s_mov_b32 s6, -1
	s_delay_alu instid0(VALU_DEP_1)
	v_cmp_ne_u16_e32 vcc_lo, 0, v1
	v_cndmask_b32_e64 v1, 0, 1, vcc_lo
	global_store_b8 v[4:5], v1, off
.LBB48_2937:
	s_mov_b32 s0, 0
	s_branch .LBB48_2939
.LBB48_2938:
	s_mov_b32 s0, -1
	s_mov_b32 s6, 0
.LBB48_2939:
	s_and_b32 vcc_lo, exec_lo, s0
	s_cbranch_vccz .LBB48_2978
; %bb.2940:
	s_cmp_lt_i32 s2, 5
	s_mov_b32 s0, -1
	s_cbranch_scc1 .LBB48_2961
; %bb.2941:
	s_cmp_lt_i32 s2, 8
	s_cbranch_scc1 .LBB48_2951
; %bb.2942:
	s_cmp_lt_i32 s2, 9
	s_cbranch_scc1 .LBB48_2948
; %bb.2943:
	s_cmp_gt_i32 s2, 9
	s_cbranch_scc0 .LBB48_2945
; %bb.2944:
	s_wait_xcnt 0x0
	v_dual_mov_b32 v8, 0 :: v_dual_lshlrev_b32 v1, 16, v3
	s_mov_b32 s0, 0
	s_delay_alu instid0(VALU_DEP_1) | instskip(NEXT) | instid1(VALU_DEP_2)
	v_cvt_f64_f32_e32 v[6:7], v1
	v_mov_b32_e32 v9, v8
	global_store_b128 v[4:5], v[6:9], off
.LBB48_2945:
	s_and_not1_b32 vcc_lo, exec_lo, s0
	s_cbranch_vccnz .LBB48_2947
; %bb.2946:
	s_wait_xcnt 0x0
	v_dual_mov_b32 v7, 0 :: v_dual_lshlrev_b32 v6, 16, v3
	global_store_b64 v[4:5], v[6:7], off
.LBB48_2947:
	s_mov_b32 s0, 0
.LBB48_2948:
	s_delay_alu instid0(SALU_CYCLE_1)
	s_and_not1_b32 vcc_lo, exec_lo, s0
	s_cbranch_vccnz .LBB48_2950
; %bb.2949:
	s_wait_xcnt 0x0
	v_lshlrev_b32_e32 v1, 16, v3
	s_delay_alu instid0(VALU_DEP_1) | instskip(NEXT) | instid1(VALU_DEP_1)
	v_cvt_f16_f32_e32 v1, v1
	v_and_b32_e32 v1, 0xffff, v1
	global_store_b32 v[4:5], v1, off
.LBB48_2950:
	s_mov_b32 s0, 0
.LBB48_2951:
	s_delay_alu instid0(SALU_CYCLE_1)
	s_and_not1_b32 vcc_lo, exec_lo, s0
	s_cbranch_vccnz .LBB48_2960
; %bb.2952:
	s_cmp_lt_i32 s2, 6
	s_mov_b32 s0, -1
	s_cbranch_scc1 .LBB48_2958
; %bb.2953:
	s_cmp_gt_i32 s2, 6
	s_cbranch_scc0 .LBB48_2955
; %bb.2954:
	s_wait_xcnt 0x0
	v_lshlrev_b32_e32 v1, 16, v3
	s_mov_b32 s0, 0
	s_delay_alu instid0(VALU_DEP_1)
	v_cvt_f64_f32_e32 v[6:7], v1
	global_store_b64 v[4:5], v[6:7], off
.LBB48_2955:
	s_and_not1_b32 vcc_lo, exec_lo, s0
	s_cbranch_vccnz .LBB48_2957
; %bb.2956:
	s_wait_xcnt 0x0
	v_lshlrev_b32_e32 v1, 16, v3
	global_store_b32 v[4:5], v1, off
.LBB48_2957:
	s_mov_b32 s0, 0
.LBB48_2958:
	s_delay_alu instid0(SALU_CYCLE_1)
	s_and_not1_b32 vcc_lo, exec_lo, s0
	s_cbranch_vccnz .LBB48_2960
; %bb.2959:
	s_wait_xcnt 0x0
	v_lshlrev_b32_e32 v1, 16, v3
	s_delay_alu instid0(VALU_DEP_1)
	v_cvt_f16_f32_e32 v1, v1
	global_store_b16 v[4:5], v1, off
.LBB48_2960:
	s_mov_b32 s0, 0
.LBB48_2961:
	s_delay_alu instid0(SALU_CYCLE_1)
	s_and_not1_b32 vcc_lo, exec_lo, s0
	s_cbranch_vccnz .LBB48_2977
; %bb.2962:
	s_cmp_lt_i32 s2, 2
	s_mov_b32 s0, -1
	s_cbranch_scc1 .LBB48_2972
; %bb.2963:
	s_cmp_lt_i32 s2, 3
	s_cbranch_scc1 .LBB48_2969
; %bb.2964:
	s_cmp_gt_i32 s2, 3
	s_cbranch_scc0 .LBB48_2966
; %bb.2965:
	s_wait_xcnt 0x0
	v_lshlrev_b32_e32 v1, 16, v3
	s_mov_b32 s0, 0
	s_delay_alu instid0(VALU_DEP_1) | instskip(NEXT) | instid1(VALU_DEP_1)
	v_trunc_f32_e32 v1, v1
	v_mul_f32_e64 v6, 0x2f800000, |v1|
	s_delay_alu instid0(VALU_DEP_1) | instskip(SKIP_1) | instid1(VALU_DEP_2)
	v_floor_f32_e32 v7, v6
	v_ashrrev_i32_e32 v6, 31, v1
	v_fma_f32 v8, 0xcf800000, v7, |v1|
	v_cvt_u32_f32_e32 v1, v7
	s_delay_alu instid0(VALU_DEP_3) | instskip(NEXT) | instid1(VALU_DEP_3)
	v_mov_b32_e32 v7, v6
	v_cvt_u32_f32_e32 v8, v8
	s_delay_alu instid0(VALU_DEP_3) | instskip(NEXT) | instid1(VALU_DEP_2)
	v_xor_b32_e32 v9, v1, v6
	v_xor_b32_e32 v8, v8, v6
	s_delay_alu instid0(VALU_DEP_1)
	v_sub_nc_u64_e32 v[6:7], v[8:9], v[6:7]
	global_store_b64 v[4:5], v[6:7], off
.LBB48_2966:
	s_and_not1_b32 vcc_lo, exec_lo, s0
	s_cbranch_vccnz .LBB48_2968
; %bb.2967:
	s_wait_xcnt 0x0
	v_lshlrev_b32_e32 v1, 16, v3
	s_delay_alu instid0(VALU_DEP_1)
	v_cvt_i32_f32_e32 v1, v1
	global_store_b32 v[4:5], v1, off
.LBB48_2968:
	s_mov_b32 s0, 0
.LBB48_2969:
	s_delay_alu instid0(SALU_CYCLE_1)
	s_and_not1_b32 vcc_lo, exec_lo, s0
	s_cbranch_vccnz .LBB48_2971
; %bb.2970:
	s_wait_xcnt 0x0
	v_lshlrev_b32_e32 v1, 16, v3
	s_delay_alu instid0(VALU_DEP_1)
	v_cvt_i32_f32_e32 v1, v1
	global_store_b16 v[4:5], v1, off
.LBB48_2971:
	s_mov_b32 s0, 0
.LBB48_2972:
	s_delay_alu instid0(SALU_CYCLE_1)
	s_and_not1_b32 vcc_lo, exec_lo, s0
	s_cbranch_vccnz .LBB48_2977
; %bb.2973:
	s_wait_xcnt 0x0
	v_lshlrev_b32_e32 v1, 16, v3
	s_cmp_gt_i32 s2, 0
	s_mov_b32 s0, -1
	s_cbranch_scc0 .LBB48_2975
; %bb.2974:
	s_delay_alu instid0(VALU_DEP_1)
	v_cvt_i32_f32_e32 v3, v1
	s_mov_b32 s0, 0
	global_store_b8 v[4:5], v3, off
.LBB48_2975:
	s_and_not1_b32 vcc_lo, exec_lo, s0
	s_cbranch_vccnz .LBB48_2977
; %bb.2976:
	v_trunc_f32_e32 v1, v1
	s_wait_xcnt 0x0
	s_delay_alu instid0(VALU_DEP_1) | instskip(NEXT) | instid1(VALU_DEP_1)
	v_mul_f32_e64 v3, 0x2f800000, |v1|
	v_floor_f32_e32 v3, v3
	s_delay_alu instid0(VALU_DEP_1) | instskip(SKIP_1) | instid1(VALU_DEP_2)
	v_fma_f32 v3, 0xcf800000, v3, |v1|
	v_ashrrev_i32_e32 v1, 31, v1
	v_cvt_u32_f32_e32 v3, v3
	s_delay_alu instid0(VALU_DEP_1) | instskip(NEXT) | instid1(VALU_DEP_1)
	v_xor_b32_e32 v3, v3, v1
	v_sub_nc_u32_e32 v1, v3, v1
	global_store_b8 v[4:5], v1, off
.LBB48_2977:
	s_mov_b32 s6, -1
.LBB48_2978:
	s_delay_alu instid0(SALU_CYCLE_1)
	s_and_not1_b32 vcc_lo, exec_lo, s6
	s_cbranch_vccnz .LBB48_3174
; %bb.2979:
	s_wait_xcnt 0x0
	v_mov_b32_e32 v3, 0
	s_cmp_lt_i32 s2, 11
	s_delay_alu instid0(VALU_DEP_1)
	v_add_nc_u64_e32 v[2:3], s[4:5], v[2:3]
	s_cbranch_scc1 .LBB48_3057
; %bb.2980:
	s_mov_b32 s7, -1
	s_mov_b32 s3, 0
	s_cmp_gt_i32 s2, 25
	s_mov_b32 s6, 0
	s_mov_b32 s0, 0
	s_cbranch_scc0 .LBB48_3013
; %bb.2981:
	s_cmp_gt_i32 s2, 28
	s_cbranch_scc0 .LBB48_2996
; %bb.2982:
	s_cmp_gt_i32 s2, 43
	;; [unrolled: 3-line block ×3, first 2 shown]
	s_cbranch_scc0 .LBB48_2986
; %bb.2984:
	s_mov_b32 s0, -1
	s_mov_b32 s7, 0
	s_cmp_eq_u32 s2, 46
	s_cbranch_scc0 .LBB48_2986
; %bb.2985:
	v_and_b32_e32 v1, 0xffff, v16
	s_mov_b32 s0, 0
	s_mov_b32 s6, -1
	global_store_b32 v[2:3], v1, off
.LBB48_2986:
	s_and_b32 vcc_lo, exec_lo, s7
	s_cbranch_vccz .LBB48_2991
; %bb.2987:
	s_cmp_eq_u32 s2, 44
	s_mov_b32 s0, -1
	s_cbranch_scc0 .LBB48_2991
; %bb.2988:
	s_wait_xcnt 0x0
	v_and_b32_e32 v1, 0xffff, v16
	v_mov_b32_e32 v4, 0xff
	s_mov_b32 s6, exec_lo
	s_delay_alu instid0(VALU_DEP_2) | instskip(NEXT) | instid1(VALU_DEP_1)
	v_bfe_u32 v5, v1, 7, 8
	v_cmpx_ne_u32_e32 0xff, v5
	s_cbranch_execz .LBB48_2990
; %bb.2989:
	v_dual_lshlrev_b32 v4, 16, v1 :: v_dual_bitop2_b32 v6, 64, v1 bitop3:0x40
	v_lshrrev_b32_e32 v1, 7, v1
	s_delay_alu instid0(VALU_DEP_2) | instskip(NEXT) | instid1(VALU_DEP_3)
	v_and_or_b32 v4, 0x3f0000, v4, v5
	v_cmp_ne_u32_e32 vcc_lo, 0, v6
	s_delay_alu instid0(VALU_DEP_2) | instskip(SKIP_1) | instid1(SALU_CYCLE_1)
	v_cmp_ne_u32_e64 s0, 0, v4
	s_and_b32 s0, vcc_lo, s0
	v_cndmask_b32_e64 v4, 0, 1, s0
	s_delay_alu instid0(VALU_DEP_1)
	v_add_nc_u32_e32 v4, v1, v4
.LBB48_2990:
	s_or_b32 exec_lo, exec_lo, s6
	s_mov_b32 s0, 0
	s_mov_b32 s6, -1
	global_store_b8 v[2:3], v4, off
.LBB48_2991:
	s_mov_b32 s7, 0
.LBB48_2992:
	s_delay_alu instid0(SALU_CYCLE_1)
	s_and_b32 vcc_lo, exec_lo, s7
	s_cbranch_vccz .LBB48_2995
; %bb.2993:
	s_cmp_eq_u32 s2, 29
	s_mov_b32 s0, -1
	s_cbranch_scc0 .LBB48_2995
; %bb.2994:
	s_wait_xcnt 0x0
	v_lshlrev_b32_e32 v1, 16, v16
	s_mov_b32 s0, 0
	s_mov_b32 s6, -1
	s_delay_alu instid0(VALU_DEP_1) | instskip(NEXT) | instid1(VALU_DEP_1)
	v_trunc_f32_e32 v1, v1
	v_mul_f32_e32 v4, 0x2f800000, v1
	s_delay_alu instid0(VALU_DEP_1) | instskip(NEXT) | instid1(VALU_DEP_1)
	v_floor_f32_e32 v4, v4
	v_fmamk_f32 v1, v4, 0xcf800000, v1
	v_cvt_u32_f32_e32 v5, v4
	s_delay_alu instid0(VALU_DEP_2)
	v_cvt_u32_f32_e32 v4, v1
	global_store_b64 v[2:3], v[4:5], off
.LBB48_2995:
	s_mov_b32 s7, 0
.LBB48_2996:
	s_delay_alu instid0(SALU_CYCLE_1)
	s_and_b32 vcc_lo, exec_lo, s7
	s_cbranch_vccz .LBB48_3012
; %bb.2997:
	s_cmp_lt_i32 s2, 27
	s_mov_b32 s6, -1
	s_cbranch_scc1 .LBB48_3003
; %bb.2998:
	s_cmp_gt_i32 s2, 27
	s_cbranch_scc0 .LBB48_3000
; %bb.2999:
	s_wait_xcnt 0x0
	v_lshlrev_b32_e32 v1, 16, v16
	s_mov_b32 s6, 0
	s_delay_alu instid0(VALU_DEP_1)
	v_cvt_u32_f32_e32 v1, v1
	global_store_b32 v[2:3], v1, off
.LBB48_3000:
	s_and_not1_b32 vcc_lo, exec_lo, s6
	s_cbranch_vccnz .LBB48_3002
; %bb.3001:
	s_wait_xcnt 0x0
	v_lshlrev_b32_e32 v1, 16, v16
	s_delay_alu instid0(VALU_DEP_1)
	v_cvt_u32_f32_e32 v1, v1
	global_store_b16 v[2:3], v1, off
.LBB48_3002:
	s_mov_b32 s6, 0
.LBB48_3003:
	s_delay_alu instid0(SALU_CYCLE_1)
	s_and_not1_b32 vcc_lo, exec_lo, s6
	s_cbranch_vccnz .LBB48_3011
; %bb.3004:
	s_wait_xcnt 0x0
	v_dual_mov_b32 v6, 0x80 :: v_dual_lshlrev_b32 v5, 16, v16
	s_mov_b32 s6, exec_lo
	s_delay_alu instid0(VALU_DEP_1) | instskip(NEXT) | instid1(VALU_DEP_1)
	v_and_b32_e32 v4, 0x7fffffff, v5
	v_cmpx_gt_u32_e32 0x43800000, v4
	s_cbranch_execz .LBB48_3010
; %bb.3005:
	v_and_b32_e32 v1, 0xffff, v16
	v_cmp_lt_u32_e32 vcc_lo, 0x3bffffff, v4
	s_mov_b32 s7, 0
                                        ; implicit-def: $vgpr4
	s_and_saveexec_b32 s11, vcc_lo
	s_delay_alu instid0(SALU_CYCLE_1)
	s_xor_b32 s11, exec_lo, s11
	s_cbranch_execz .LBB48_3187
; %bb.3006:
	v_bfe_u32 v4, v1, 4, 1
	s_mov_b32 s7, exec_lo
	s_delay_alu instid0(VALU_DEP_1) | instskip(NEXT) | instid1(VALU_DEP_1)
	v_add3_u32 v4, v5, v4, 0x487ffff
                                        ; implicit-def: $vgpr5
	v_lshrrev_b32_e32 v4, 20, v4
	s_and_not1_saveexec_b32 s11, s11
	s_cbranch_execnz .LBB48_3188
.LBB48_3007:
	s_or_b32 exec_lo, exec_lo, s11
	v_mov_b32_e32 v6, 0
	s_and_saveexec_b32 s11, s7
.LBB48_3008:
	v_lshrrev_b32_e32 v1, 8, v1
	s_delay_alu instid0(VALU_DEP_1)
	v_and_or_b32 v6, 0x80, v1, v4
.LBB48_3009:
	s_or_b32 exec_lo, exec_lo, s11
.LBB48_3010:
	s_delay_alu instid0(SALU_CYCLE_1)
	s_or_b32 exec_lo, exec_lo, s6
	global_store_b8 v[2:3], v6, off
.LBB48_3011:
	s_mov_b32 s6, -1
.LBB48_3012:
	s_mov_b32 s7, 0
.LBB48_3013:
	s_delay_alu instid0(SALU_CYCLE_1)
	s_and_b32 vcc_lo, exec_lo, s7
	s_cbranch_vccz .LBB48_3053
; %bb.3014:
	s_cmp_gt_i32 s2, 22
	s_mov_b32 s3, -1
	s_cbranch_scc0 .LBB48_3046
; %bb.3015:
	s_cmp_lt_i32 s2, 24
	s_cbranch_scc1 .LBB48_3035
; %bb.3016:
	s_cmp_gt_i32 s2, 24
	s_cbranch_scc0 .LBB48_3024
; %bb.3017:
	s_wait_xcnt 0x0
	v_dual_mov_b32 v6, 0x80 :: v_dual_lshlrev_b32 v5, 16, v16
	s_mov_b32 s3, exec_lo
	s_delay_alu instid0(VALU_DEP_1) | instskip(NEXT) | instid1(VALU_DEP_1)
	v_and_b32_e32 v4, 0x7fffffff, v5
	v_cmpx_gt_u32_e32 0x47800000, v4
	s_cbranch_execz .LBB48_3023
; %bb.3018:
	v_and_b32_e32 v1, 0xffff, v16
	v_cmp_lt_u32_e32 vcc_lo, 0x37ffffff, v4
	s_mov_b32 s6, 0
                                        ; implicit-def: $vgpr4
	s_and_saveexec_b32 s7, vcc_lo
	s_delay_alu instid0(SALU_CYCLE_1)
	s_xor_b32 s7, exec_lo, s7
	s_cbranch_execz .LBB48_3190
; %bb.3019:
	v_bfe_u32 v4, v1, 5, 1
	s_mov_b32 s6, exec_lo
	s_delay_alu instid0(VALU_DEP_1) | instskip(NEXT) | instid1(VALU_DEP_1)
	v_add3_u32 v4, v5, v4, 0x88fffff
                                        ; implicit-def: $vgpr5
	v_lshrrev_b32_e32 v4, 21, v4
	s_and_not1_saveexec_b32 s7, s7
	s_cbranch_execnz .LBB48_3191
.LBB48_3020:
	s_or_b32 exec_lo, exec_lo, s7
	v_mov_b32_e32 v6, 0
	s_and_saveexec_b32 s7, s6
.LBB48_3021:
	v_lshrrev_b32_e32 v1, 8, v1
	s_delay_alu instid0(VALU_DEP_1)
	v_and_or_b32 v6, 0x80, v1, v4
.LBB48_3022:
	s_or_b32 exec_lo, exec_lo, s7
.LBB48_3023:
	s_delay_alu instid0(SALU_CYCLE_1)
	s_or_b32 exec_lo, exec_lo, s3
	s_mov_b32 s3, 0
	global_store_b8 v[2:3], v6, off
.LBB48_3024:
	s_and_b32 vcc_lo, exec_lo, s3
	s_cbranch_vccz .LBB48_3034
; %bb.3025:
	s_wait_xcnt 0x0
	v_lshlrev_b32_e32 v5, 16, v16
	v_and_b32_e32 v1, 0xffff, v16
	s_mov_b32 s3, exec_lo
                                        ; implicit-def: $vgpr4
	s_delay_alu instid0(VALU_DEP_2) | instskip(NEXT) | instid1(VALU_DEP_1)
	v_and_b32_e32 v6, 0x7fffffff, v5
	v_cmpx_gt_u32_e32 0x43f00000, v6
	s_xor_b32 s3, exec_lo, s3
	s_cbranch_execz .LBB48_3031
; %bb.3026:
	s_mov_b32 s6, exec_lo
                                        ; implicit-def: $vgpr4
	v_cmpx_lt_u32_e32 0x3c7fffff, v6
	s_xor_b32 s6, exec_lo, s6
; %bb.3027:
	v_bfe_u32 v4, v1, 4, 1
	s_delay_alu instid0(VALU_DEP_1) | instskip(NEXT) | instid1(VALU_DEP_1)
	v_add3_u32 v4, v5, v4, 0x407ffff
	v_and_b32_e32 v5, 0xff00000, v4
	v_lshrrev_b32_e32 v4, 20, v4
	s_delay_alu instid0(VALU_DEP_2) | instskip(NEXT) | instid1(VALU_DEP_2)
	v_cmp_ne_u32_e32 vcc_lo, 0x7f00000, v5
                                        ; implicit-def: $vgpr5
	v_cndmask_b32_e32 v4, 0x7e, v4, vcc_lo
; %bb.3028:
	s_and_not1_saveexec_b32 s6, s6
; %bb.3029:
	v_add_f32_e64 v4, 0x46800000, |v5|
; %bb.3030:
	s_or_b32 exec_lo, exec_lo, s6
                                        ; implicit-def: $vgpr6
.LBB48_3031:
	s_and_not1_saveexec_b32 s3, s3
; %bb.3032:
	v_mov_b32_e32 v4, 0x7f
	v_cmp_lt_u32_e32 vcc_lo, 0x7f800000, v6
	s_delay_alu instid0(VALU_DEP_2)
	v_cndmask_b32_e32 v4, 0x7e, v4, vcc_lo
; %bb.3033:
	s_or_b32 exec_lo, exec_lo, s3
	v_lshrrev_b32_e32 v1, 8, v1
	s_delay_alu instid0(VALU_DEP_1)
	v_and_or_b32 v1, 0x80, v1, v4
	global_store_b8 v[2:3], v1, off
.LBB48_3034:
	s_mov_b32 s3, 0
.LBB48_3035:
	s_delay_alu instid0(SALU_CYCLE_1)
	s_and_not1_b32 vcc_lo, exec_lo, s3
	s_cbranch_vccnz .LBB48_3045
; %bb.3036:
	s_wait_xcnt 0x0
	v_lshlrev_b32_e32 v5, 16, v16
	v_and_b32_e32 v1, 0xffff, v16
	s_mov_b32 s3, exec_lo
                                        ; implicit-def: $vgpr4
	s_delay_alu instid0(VALU_DEP_2) | instskip(NEXT) | instid1(VALU_DEP_1)
	v_and_b32_e32 v6, 0x7fffffff, v5
	v_cmpx_gt_u32_e32 0x47800000, v6
	s_xor_b32 s3, exec_lo, s3
	s_cbranch_execz .LBB48_3042
; %bb.3037:
	s_mov_b32 s6, exec_lo
                                        ; implicit-def: $vgpr4
	v_cmpx_lt_u32_e32 0x387fffff, v6
	s_xor_b32 s6, exec_lo, s6
; %bb.3038:
	v_bfe_u32 v4, v1, 5, 1
	s_delay_alu instid0(VALU_DEP_1) | instskip(NEXT) | instid1(VALU_DEP_1)
	v_add3_u32 v4, v5, v4, 0x80fffff
                                        ; implicit-def: $vgpr5
	v_lshrrev_b32_e32 v4, 21, v4
; %bb.3039:
	s_and_not1_saveexec_b32 s6, s6
; %bb.3040:
	v_add_f32_e64 v4, 0x43000000, |v5|
; %bb.3041:
	s_or_b32 exec_lo, exec_lo, s6
                                        ; implicit-def: $vgpr6
.LBB48_3042:
	s_and_not1_saveexec_b32 s3, s3
; %bb.3043:
	v_mov_b32_e32 v4, 0x7f
	v_cmp_lt_u32_e32 vcc_lo, 0x7f800000, v6
	s_delay_alu instid0(VALU_DEP_2)
	v_cndmask_b32_e32 v4, 0x7c, v4, vcc_lo
; %bb.3044:
	s_or_b32 exec_lo, exec_lo, s3
	v_lshrrev_b32_e32 v1, 8, v1
	s_delay_alu instid0(VALU_DEP_1)
	v_and_or_b32 v1, 0x80, v1, v4
	global_store_b8 v[2:3], v1, off
.LBB48_3045:
	s_mov_b32 s3, 0
	s_mov_b32 s6, -1
.LBB48_3046:
	s_and_not1_b32 vcc_lo, exec_lo, s3
	s_mov_b32 s3, 0
	s_cbranch_vccnz .LBB48_3053
; %bb.3047:
	s_cmp_gt_i32 s2, 14
	s_mov_b32 s3, -1
	s_cbranch_scc0 .LBB48_3051
; %bb.3048:
	s_cmp_eq_u32 s2, 15
	s_mov_b32 s0, -1
	s_cbranch_scc0 .LBB48_3050
; %bb.3049:
	s_mov_b32 s0, 0
	s_mov_b32 s6, -1
	global_store_b16 v[2:3], v16, off
.LBB48_3050:
	s_mov_b32 s3, 0
.LBB48_3051:
	s_delay_alu instid0(SALU_CYCLE_1)
	s_and_b32 vcc_lo, exec_lo, s3
	s_mov_b32 s3, 0
	s_cbranch_vccz .LBB48_3053
; %bb.3052:
	s_cmp_lg_u32 s2, 11
	s_mov_b32 s3, -1
	s_cselect_b32 s0, -1, 0
.LBB48_3053:
	s_delay_alu instid0(SALU_CYCLE_1)
	s_and_b32 vcc_lo, exec_lo, s0
	s_cbranch_vccnz .LBB48_3189
; %bb.3054:
	s_and_not1_b32 vcc_lo, exec_lo, s3
	s_cbranch_vccnz .LBB48_3056
.LBB48_3055:
	s_wait_xcnt 0x0
	v_and_b32_e32 v1, 0x7fff, v16
	s_mov_b32 s6, -1
	s_delay_alu instid0(VALU_DEP_1)
	v_cmp_ne_u16_e32 vcc_lo, 0, v1
	v_cndmask_b32_e64 v1, 0, 1, vcc_lo
	global_store_b8 v[2:3], v1, off
.LBB48_3056:
	s_mov_b32 s0, 0
	s_branch .LBB48_3058
.LBB48_3057:
	s_mov_b32 s0, -1
	s_mov_b32 s6, 0
.LBB48_3058:
	s_and_b32 vcc_lo, exec_lo, s0
	s_cbranch_vccz .LBB48_3097
; %bb.3059:
	s_cmp_lt_i32 s2, 5
	s_mov_b32 s0, -1
	s_cbranch_scc1 .LBB48_3080
; %bb.3060:
	s_cmp_lt_i32 s2, 8
	s_cbranch_scc1 .LBB48_3070
; %bb.3061:
	s_cmp_lt_i32 s2, 9
	s_cbranch_scc1 .LBB48_3067
; %bb.3062:
	s_cmp_gt_i32 s2, 9
	s_cbranch_scc0 .LBB48_3064
; %bb.3063:
	s_wait_xcnt 0x0
	v_dual_mov_b32 v6, 0 :: v_dual_lshlrev_b32 v1, 16, v16
	s_mov_b32 s0, 0
	s_delay_alu instid0(VALU_DEP_1) | instskip(NEXT) | instid1(VALU_DEP_2)
	v_cvt_f64_f32_e32 v[4:5], v1
	v_mov_b32_e32 v7, v6
	global_store_b128 v[2:3], v[4:7], off
.LBB48_3064:
	s_and_not1_b32 vcc_lo, exec_lo, s0
	s_cbranch_vccnz .LBB48_3066
; %bb.3065:
	s_wait_xcnt 0x0
	v_dual_mov_b32 v5, 0 :: v_dual_lshlrev_b32 v4, 16, v16
	global_store_b64 v[2:3], v[4:5], off
.LBB48_3066:
	s_mov_b32 s0, 0
.LBB48_3067:
	s_delay_alu instid0(SALU_CYCLE_1)
	s_and_not1_b32 vcc_lo, exec_lo, s0
	s_cbranch_vccnz .LBB48_3069
; %bb.3068:
	s_wait_xcnt 0x0
	v_lshlrev_b32_e32 v1, 16, v16
	s_delay_alu instid0(VALU_DEP_1) | instskip(NEXT) | instid1(VALU_DEP_1)
	v_cvt_f16_f32_e32 v1, v1
	v_and_b32_e32 v1, 0xffff, v1
	global_store_b32 v[2:3], v1, off
.LBB48_3069:
	s_mov_b32 s0, 0
.LBB48_3070:
	s_delay_alu instid0(SALU_CYCLE_1)
	s_and_not1_b32 vcc_lo, exec_lo, s0
	s_cbranch_vccnz .LBB48_3079
; %bb.3071:
	s_cmp_lt_i32 s2, 6
	s_mov_b32 s0, -1
	s_cbranch_scc1 .LBB48_3077
; %bb.3072:
	s_cmp_gt_i32 s2, 6
	s_cbranch_scc0 .LBB48_3074
; %bb.3073:
	s_wait_xcnt 0x0
	v_lshlrev_b32_e32 v1, 16, v16
	s_mov_b32 s0, 0
	s_delay_alu instid0(VALU_DEP_1)
	v_cvt_f64_f32_e32 v[4:5], v1
	global_store_b64 v[2:3], v[4:5], off
.LBB48_3074:
	s_and_not1_b32 vcc_lo, exec_lo, s0
	s_cbranch_vccnz .LBB48_3076
; %bb.3075:
	s_wait_xcnt 0x0
	v_lshlrev_b32_e32 v1, 16, v16
	global_store_b32 v[2:3], v1, off
.LBB48_3076:
	s_mov_b32 s0, 0
.LBB48_3077:
	s_delay_alu instid0(SALU_CYCLE_1)
	s_and_not1_b32 vcc_lo, exec_lo, s0
	s_cbranch_vccnz .LBB48_3079
; %bb.3078:
	s_wait_xcnt 0x0
	v_lshlrev_b32_e32 v1, 16, v16
	s_delay_alu instid0(VALU_DEP_1)
	v_cvt_f16_f32_e32 v1, v1
	global_store_b16 v[2:3], v1, off
.LBB48_3079:
	s_mov_b32 s0, 0
.LBB48_3080:
	s_delay_alu instid0(SALU_CYCLE_1)
	s_and_not1_b32 vcc_lo, exec_lo, s0
	s_cbranch_vccnz .LBB48_3096
; %bb.3081:
	s_cmp_lt_i32 s2, 2
	s_mov_b32 s0, -1
	s_cbranch_scc1 .LBB48_3091
; %bb.3082:
	s_cmp_lt_i32 s2, 3
	s_cbranch_scc1 .LBB48_3088
; %bb.3083:
	s_cmp_gt_i32 s2, 3
	s_cbranch_scc0 .LBB48_3085
; %bb.3084:
	s_wait_xcnt 0x0
	v_lshlrev_b32_e32 v1, 16, v16
	s_mov_b32 s0, 0
	s_delay_alu instid0(VALU_DEP_1) | instskip(NEXT) | instid1(VALU_DEP_1)
	v_trunc_f32_e32 v1, v1
	v_mul_f32_e64 v4, 0x2f800000, |v1|
	s_delay_alu instid0(VALU_DEP_1) | instskip(SKIP_1) | instid1(VALU_DEP_2)
	v_floor_f32_e32 v5, v4
	v_ashrrev_i32_e32 v4, 31, v1
	v_fma_f32 v6, 0xcf800000, v5, |v1|
	v_cvt_u32_f32_e32 v1, v5
	s_delay_alu instid0(VALU_DEP_3) | instskip(NEXT) | instid1(VALU_DEP_3)
	v_mov_b32_e32 v5, v4
	v_cvt_u32_f32_e32 v6, v6
	s_delay_alu instid0(VALU_DEP_3) | instskip(NEXT) | instid1(VALU_DEP_2)
	v_xor_b32_e32 v7, v1, v4
	v_xor_b32_e32 v6, v6, v4
	s_delay_alu instid0(VALU_DEP_1)
	v_sub_nc_u64_e32 v[4:5], v[6:7], v[4:5]
	global_store_b64 v[2:3], v[4:5], off
.LBB48_3085:
	s_and_not1_b32 vcc_lo, exec_lo, s0
	s_cbranch_vccnz .LBB48_3087
; %bb.3086:
	s_wait_xcnt 0x0
	v_lshlrev_b32_e32 v1, 16, v16
	s_delay_alu instid0(VALU_DEP_1)
	v_cvt_i32_f32_e32 v1, v1
	global_store_b32 v[2:3], v1, off
.LBB48_3087:
	s_mov_b32 s0, 0
.LBB48_3088:
	s_delay_alu instid0(SALU_CYCLE_1)
	s_and_not1_b32 vcc_lo, exec_lo, s0
	s_cbranch_vccnz .LBB48_3090
; %bb.3089:
	s_wait_xcnt 0x0
	v_lshlrev_b32_e32 v1, 16, v16
	s_delay_alu instid0(VALU_DEP_1)
	v_cvt_i32_f32_e32 v1, v1
	global_store_b16 v[2:3], v1, off
.LBB48_3090:
	s_mov_b32 s0, 0
.LBB48_3091:
	s_delay_alu instid0(SALU_CYCLE_1)
	s_and_not1_b32 vcc_lo, exec_lo, s0
	s_cbranch_vccnz .LBB48_3096
; %bb.3092:
	s_cmp_gt_i32 s2, 0
	s_mov_b32 s0, -1
	s_cbranch_scc0 .LBB48_3094
; %bb.3093:
	s_wait_xcnt 0x0
	v_lshlrev_b32_e32 v1, 16, v16
	s_mov_b32 s0, 0
	s_delay_alu instid0(VALU_DEP_1)
	v_cvt_i32_f32_e32 v1, v1
	global_store_b8 v[2:3], v1, off
.LBB48_3094:
	s_and_not1_b32 vcc_lo, exec_lo, s0
	s_cbranch_vccnz .LBB48_3096
; %bb.3095:
	s_wait_xcnt 0x0
	v_lshlrev_b32_e32 v1, 16, v16
	s_delay_alu instid0(VALU_DEP_1) | instskip(NEXT) | instid1(VALU_DEP_1)
	v_trunc_f32_e32 v1, v1
	v_mul_f32_e64 v4, 0x2f800000, |v1|
	s_delay_alu instid0(VALU_DEP_1) | instskip(NEXT) | instid1(VALU_DEP_1)
	v_floor_f32_e32 v4, v4
	v_fma_f32 v4, 0xcf800000, v4, |v1|
	v_ashrrev_i32_e32 v1, 31, v1
	s_delay_alu instid0(VALU_DEP_2) | instskip(NEXT) | instid1(VALU_DEP_1)
	v_cvt_u32_f32_e32 v4, v4
	v_xor_b32_e32 v4, v4, v1
	s_delay_alu instid0(VALU_DEP_1)
	v_sub_nc_u32_e32 v1, v4, v1
	global_store_b8 v[2:3], v1, off
.LBB48_3096:
	s_mov_b32 s6, -1
.LBB48_3097:
	s_delay_alu instid0(SALU_CYCLE_1)
	s_and_not1_b32 vcc_lo, exec_lo, s6
	s_cbranch_vccnz .LBB48_3174
; %bb.3098:
	s_wait_xcnt 0x0
	v_mov_b32_e32 v1, 0
	s_cmp_lt_i32 s2, 11
	s_delay_alu instid0(VALU_DEP_1)
	v_add_nc_u64_e32 v[2:3], s[4:5], v[0:1]
	s_cbranch_scc1 .LBB48_3175
; %bb.3099:
	s_mov_b32 s4, -1
	s_mov_b32 s3, 0
	s_cmp_gt_i32 s2, 25
	s_mov_b32 s0, 0
	s_cbranch_scc0 .LBB48_3132
; %bb.3100:
	s_cmp_gt_i32 s2, 28
	s_cbranch_scc0 .LBB48_3116
; %bb.3101:
	s_cmp_gt_i32 s2, 43
	;; [unrolled: 3-line block ×3, first 2 shown]
	s_cbranch_scc0 .LBB48_3106
; %bb.3103:
	s_cmp_eq_u32 s2, 46
	s_mov_b32 s0, -1
	s_cbranch_scc0 .LBB48_3105
; %bb.3104:
	v_and_b32_e32 v0, 0xffff, v12
	s_mov_b32 s0, 0
	global_store_b32 v[2:3], v0, off
.LBB48_3105:
	s_mov_b32 s4, 0
.LBB48_3106:
	s_delay_alu instid0(SALU_CYCLE_1)
	s_and_b32 vcc_lo, exec_lo, s4
	s_cbranch_vccz .LBB48_3111
; %bb.3107:
	s_cmp_eq_u32 s2, 44
	s_mov_b32 s0, -1
	s_cbranch_scc0 .LBB48_3111
; %bb.3108:
	s_wait_xcnt 0x0
	v_and_b32_e32 v0, 0xffff, v12
	v_mov_b32_e32 v1, 0xff
	s_mov_b32 s4, exec_lo
	s_delay_alu instid0(VALU_DEP_2) | instskip(NEXT) | instid1(VALU_DEP_1)
	v_bfe_u32 v4, v0, 7, 8
	v_cmpx_ne_u32_e32 0xff, v4
	s_cbranch_execz .LBB48_3110
; %bb.3109:
	v_dual_lshlrev_b32 v1, 16, v0 :: v_dual_bitop2_b32 v5, 64, v0 bitop3:0x40
	v_lshrrev_b32_e32 v0, 7, v0
	s_delay_alu instid0(VALU_DEP_2) | instskip(NEXT) | instid1(VALU_DEP_3)
	v_and_or_b32 v1, 0x3f0000, v1, v4
	v_cmp_ne_u32_e32 vcc_lo, 0, v5
	s_delay_alu instid0(VALU_DEP_2) | instskip(SKIP_1) | instid1(SALU_CYCLE_1)
	v_cmp_ne_u32_e64 s0, 0, v1
	s_and_b32 s0, vcc_lo, s0
	v_cndmask_b32_e64 v1, 0, 1, s0
	s_delay_alu instid0(VALU_DEP_1)
	v_add_nc_u32_e32 v1, v0, v1
.LBB48_3110:
	s_or_b32 exec_lo, exec_lo, s4
	s_mov_b32 s0, 0
	global_store_b8 v[2:3], v1, off
.LBB48_3111:
	s_mov_b32 s4, 0
.LBB48_3112:
	s_delay_alu instid0(SALU_CYCLE_1)
	s_and_b32 vcc_lo, exec_lo, s4
	s_cbranch_vccz .LBB48_3115
; %bb.3113:
	s_cmp_eq_u32 s2, 29
	s_mov_b32 s0, -1
	s_cbranch_scc0 .LBB48_3115
; %bb.3114:
	s_wait_xcnt 0x0
	v_lshlrev_b32_e32 v0, 16, v12
	s_mov_b32 s0, 0
	s_delay_alu instid0(VALU_DEP_1) | instskip(NEXT) | instid1(VALU_DEP_1)
	v_trunc_f32_e32 v0, v0
	v_mul_f32_e32 v1, 0x2f800000, v0
	s_delay_alu instid0(VALU_DEP_1) | instskip(NEXT) | instid1(VALU_DEP_1)
	v_floor_f32_e32 v1, v1
	v_fmamk_f32 v0, v1, 0xcf800000, v0
	v_cvt_u32_f32_e32 v1, v1
	s_delay_alu instid0(VALU_DEP_2)
	v_cvt_u32_f32_e32 v0, v0
	global_store_b64 v[2:3], v[0:1], off
.LBB48_3115:
	s_mov_b32 s4, 0
.LBB48_3116:
	s_delay_alu instid0(SALU_CYCLE_1)
	s_and_b32 vcc_lo, exec_lo, s4
	s_cbranch_vccz .LBB48_3131
; %bb.3117:
	s_cmp_lt_i32 s2, 27
	s_mov_b32 s4, -1
	s_cbranch_scc1 .LBB48_3123
; %bb.3118:
	s_cmp_gt_i32 s2, 27
	s_cbranch_scc0 .LBB48_3120
; %bb.3119:
	s_wait_xcnt 0x0
	v_lshlrev_b32_e32 v0, 16, v12
	s_mov_b32 s4, 0
	s_delay_alu instid0(VALU_DEP_1)
	v_cvt_u32_f32_e32 v0, v0
	global_store_b32 v[2:3], v0, off
.LBB48_3120:
	s_and_not1_b32 vcc_lo, exec_lo, s4
	s_cbranch_vccnz .LBB48_3122
; %bb.3121:
	s_wait_xcnt 0x0
	v_lshlrev_b32_e32 v0, 16, v12
	s_delay_alu instid0(VALU_DEP_1)
	v_cvt_u32_f32_e32 v0, v0
	global_store_b16 v[2:3], v0, off
.LBB48_3122:
	s_mov_b32 s4, 0
.LBB48_3123:
	s_delay_alu instid0(SALU_CYCLE_1)
	s_and_not1_b32 vcc_lo, exec_lo, s4
	s_cbranch_vccnz .LBB48_3131
; %bb.3124:
	v_dual_mov_b32 v5, 0x80 :: v_dual_lshlrev_b32 v4, 16, v12
	s_mov_b32 s4, exec_lo
	s_wait_xcnt 0x0
	s_delay_alu instid0(VALU_DEP_1) | instskip(NEXT) | instid1(VALU_DEP_1)
	v_and_b32_e32 v1, 0x7fffffff, v4
	v_cmpx_gt_u32_e32 0x43800000, v1
	s_cbranch_execz .LBB48_3130
; %bb.3125:
	v_and_b32_e32 v0, 0xffff, v12
	v_cmp_lt_u32_e32 vcc_lo, 0x3bffffff, v1
	s_mov_b32 s5, 0
                                        ; implicit-def: $vgpr1
	s_and_saveexec_b32 s6, vcc_lo
	s_delay_alu instid0(SALU_CYCLE_1)
	s_xor_b32 s6, exec_lo, s6
	s_cbranch_execz .LBB48_3192
; %bb.3126:
	v_bfe_u32 v1, v0, 4, 1
	s_mov_b32 s5, exec_lo
	s_delay_alu instid0(VALU_DEP_1) | instskip(NEXT) | instid1(VALU_DEP_1)
	v_add3_u32 v1, v4, v1, 0x487ffff
                                        ; implicit-def: $vgpr4
	v_lshrrev_b32_e32 v1, 20, v1
	s_and_not1_saveexec_b32 s6, s6
	s_cbranch_execnz .LBB48_3193
.LBB48_3127:
	s_or_b32 exec_lo, exec_lo, s6
	v_mov_b32_e32 v5, 0
	s_and_saveexec_b32 s6, s5
.LBB48_3128:
	v_lshrrev_b32_e32 v0, 8, v0
	s_delay_alu instid0(VALU_DEP_1)
	v_and_or_b32 v5, 0x80, v0, v1
.LBB48_3129:
	s_or_b32 exec_lo, exec_lo, s6
.LBB48_3130:
	s_delay_alu instid0(SALU_CYCLE_1)
	s_or_b32 exec_lo, exec_lo, s4
	global_store_b8 v[2:3], v5, off
.LBB48_3131:
	s_mov_b32 s4, 0
.LBB48_3132:
	s_delay_alu instid0(SALU_CYCLE_1)
	s_and_b32 vcc_lo, exec_lo, s4
	s_cbranch_vccz .LBB48_3172
; %bb.3133:
	s_cmp_gt_i32 s2, 22
	s_mov_b32 s3, -1
	s_cbranch_scc0 .LBB48_3165
; %bb.3134:
	s_cmp_lt_i32 s2, 24
	s_cbranch_scc1 .LBB48_3154
; %bb.3135:
	s_cmp_gt_i32 s2, 24
	s_cbranch_scc0 .LBB48_3143
; %bb.3136:
	s_wait_xcnt 0x0
	v_dual_mov_b32 v5, 0x80 :: v_dual_lshlrev_b32 v4, 16, v12
	s_mov_b32 s3, exec_lo
	s_delay_alu instid0(VALU_DEP_1) | instskip(NEXT) | instid1(VALU_DEP_1)
	v_and_b32_e32 v1, 0x7fffffff, v4
	v_cmpx_gt_u32_e32 0x47800000, v1
	s_cbranch_execz .LBB48_3142
; %bb.3137:
	v_and_b32_e32 v0, 0xffff, v12
	v_cmp_lt_u32_e32 vcc_lo, 0x37ffffff, v1
	s_mov_b32 s4, 0
                                        ; implicit-def: $vgpr1
	s_and_saveexec_b32 s5, vcc_lo
	s_delay_alu instid0(SALU_CYCLE_1)
	s_xor_b32 s5, exec_lo, s5
	s_cbranch_execz .LBB48_3195
; %bb.3138:
	v_bfe_u32 v1, v0, 5, 1
	s_mov_b32 s4, exec_lo
	s_delay_alu instid0(VALU_DEP_1) | instskip(NEXT) | instid1(VALU_DEP_1)
	v_add3_u32 v1, v4, v1, 0x88fffff
                                        ; implicit-def: $vgpr4
	v_lshrrev_b32_e32 v1, 21, v1
	s_and_not1_saveexec_b32 s5, s5
	s_cbranch_execnz .LBB48_3196
.LBB48_3139:
	s_or_b32 exec_lo, exec_lo, s5
	v_mov_b32_e32 v5, 0
	s_and_saveexec_b32 s5, s4
.LBB48_3140:
	v_lshrrev_b32_e32 v0, 8, v0
	s_delay_alu instid0(VALU_DEP_1)
	v_and_or_b32 v5, 0x80, v0, v1
.LBB48_3141:
	s_or_b32 exec_lo, exec_lo, s5
.LBB48_3142:
	s_delay_alu instid0(SALU_CYCLE_1)
	s_or_b32 exec_lo, exec_lo, s3
	s_mov_b32 s3, 0
	global_store_b8 v[2:3], v5, off
.LBB48_3143:
	s_and_b32 vcc_lo, exec_lo, s3
	s_cbranch_vccz .LBB48_3153
; %bb.3144:
	v_lshlrev_b32_e32 v4, 16, v12
	s_wait_xcnt 0x0
	v_and_b32_e32 v0, 0xffff, v12
	s_mov_b32 s3, exec_lo
                                        ; implicit-def: $vgpr1
	s_delay_alu instid0(VALU_DEP_2) | instskip(NEXT) | instid1(VALU_DEP_1)
	v_and_b32_e32 v5, 0x7fffffff, v4
	v_cmpx_gt_u32_e32 0x43f00000, v5
	s_xor_b32 s3, exec_lo, s3
	s_cbranch_execz .LBB48_3150
; %bb.3145:
	s_mov_b32 s4, exec_lo
                                        ; implicit-def: $vgpr1
	v_cmpx_lt_u32_e32 0x3c7fffff, v5
	s_xor_b32 s4, exec_lo, s4
; %bb.3146:
	v_bfe_u32 v1, v0, 4, 1
	s_delay_alu instid0(VALU_DEP_1) | instskip(NEXT) | instid1(VALU_DEP_1)
	v_add3_u32 v1, v4, v1, 0x407ffff
	v_and_b32_e32 v4, 0xff00000, v1
	v_lshrrev_b32_e32 v1, 20, v1
	s_delay_alu instid0(VALU_DEP_2) | instskip(NEXT) | instid1(VALU_DEP_2)
	v_cmp_ne_u32_e32 vcc_lo, 0x7f00000, v4
                                        ; implicit-def: $vgpr4
	v_cndmask_b32_e32 v1, 0x7e, v1, vcc_lo
; %bb.3147:
	s_and_not1_saveexec_b32 s4, s4
; %bb.3148:
	v_add_f32_e64 v1, 0x46800000, |v4|
; %bb.3149:
	s_or_b32 exec_lo, exec_lo, s4
                                        ; implicit-def: $vgpr5
.LBB48_3150:
	s_and_not1_saveexec_b32 s3, s3
; %bb.3151:
	v_mov_b32_e32 v1, 0x7f
	v_cmp_lt_u32_e32 vcc_lo, 0x7f800000, v5
	s_delay_alu instid0(VALU_DEP_2)
	v_cndmask_b32_e32 v1, 0x7e, v1, vcc_lo
; %bb.3152:
	s_or_b32 exec_lo, exec_lo, s3
	v_lshrrev_b32_e32 v0, 8, v0
	s_delay_alu instid0(VALU_DEP_1)
	v_and_or_b32 v0, 0x80, v0, v1
	global_store_b8 v[2:3], v0, off
.LBB48_3153:
	s_mov_b32 s3, 0
.LBB48_3154:
	s_delay_alu instid0(SALU_CYCLE_1)
	s_and_not1_b32 vcc_lo, exec_lo, s3
	s_cbranch_vccnz .LBB48_3164
; %bb.3155:
	v_lshlrev_b32_e32 v4, 16, v12
	s_wait_xcnt 0x0
	v_and_b32_e32 v0, 0xffff, v12
	s_mov_b32 s3, exec_lo
                                        ; implicit-def: $vgpr1
	s_delay_alu instid0(VALU_DEP_2) | instskip(NEXT) | instid1(VALU_DEP_1)
	v_and_b32_e32 v5, 0x7fffffff, v4
	v_cmpx_gt_u32_e32 0x47800000, v5
	s_xor_b32 s3, exec_lo, s3
	s_cbranch_execz .LBB48_3161
; %bb.3156:
	s_mov_b32 s4, exec_lo
                                        ; implicit-def: $vgpr1
	v_cmpx_lt_u32_e32 0x387fffff, v5
	s_xor_b32 s4, exec_lo, s4
; %bb.3157:
	v_bfe_u32 v1, v0, 5, 1
	s_delay_alu instid0(VALU_DEP_1) | instskip(NEXT) | instid1(VALU_DEP_1)
	v_add3_u32 v1, v4, v1, 0x80fffff
                                        ; implicit-def: $vgpr4
	v_lshrrev_b32_e32 v1, 21, v1
; %bb.3158:
	s_and_not1_saveexec_b32 s4, s4
; %bb.3159:
	v_add_f32_e64 v1, 0x43000000, |v4|
; %bb.3160:
	s_or_b32 exec_lo, exec_lo, s4
                                        ; implicit-def: $vgpr5
.LBB48_3161:
	s_and_not1_saveexec_b32 s3, s3
; %bb.3162:
	v_mov_b32_e32 v1, 0x7f
	v_cmp_lt_u32_e32 vcc_lo, 0x7f800000, v5
	s_delay_alu instid0(VALU_DEP_2)
	v_cndmask_b32_e32 v1, 0x7c, v1, vcc_lo
; %bb.3163:
	s_or_b32 exec_lo, exec_lo, s3
	v_lshrrev_b32_e32 v0, 8, v0
	s_delay_alu instid0(VALU_DEP_1)
	v_and_or_b32 v0, 0x80, v0, v1
	global_store_b8 v[2:3], v0, off
.LBB48_3164:
	s_mov_b32 s3, 0
.LBB48_3165:
	s_delay_alu instid0(SALU_CYCLE_1)
	s_and_not1_b32 vcc_lo, exec_lo, s3
	s_mov_b32 s3, 0
	s_cbranch_vccnz .LBB48_3172
; %bb.3166:
	s_cmp_gt_i32 s2, 14
	s_mov_b32 s3, -1
	s_cbranch_scc0 .LBB48_3170
; %bb.3167:
	s_cmp_eq_u32 s2, 15
	s_mov_b32 s0, -1
	s_cbranch_scc0 .LBB48_3169
; %bb.3168:
	s_mov_b32 s0, 0
	global_store_b16 v[2:3], v12, off
.LBB48_3169:
	s_mov_b32 s3, 0
.LBB48_3170:
	s_delay_alu instid0(SALU_CYCLE_1)
	s_and_b32 vcc_lo, exec_lo, s3
	s_mov_b32 s3, 0
	s_cbranch_vccz .LBB48_3172
; %bb.3171:
	s_cmp_lg_u32 s2, 11
	s_mov_b32 s3, -1
	s_cselect_b32 s0, -1, 0
.LBB48_3172:
	s_delay_alu instid0(SALU_CYCLE_1)
	s_and_b32 vcc_lo, exec_lo, s0
	s_cbranch_vccnz .LBB48_3194
.LBB48_3173:
	s_mov_b32 s0, 0
	s_branch .LBB48_2775
.LBB48_3174:
	s_mov_b32 s0, 0
	s_mov_b32 s3, 0
                                        ; implicit-def: $vgpr2_vgpr3
                                        ; implicit-def: $sgpr1
	s_branch .LBB48_2775
.LBB48_3175:
	s_mov_b32 s3, 0
	s_mov_b32 s0, -1
	s_branch .LBB48_2775
.LBB48_3176:
	s_or_b32 s10, s10, exec_lo
	s_trap 2
	s_cbranch_execz .LBB48_2642
	s_branch .LBB48_2643
.LBB48_3177:
	s_and_not1_saveexec_b32 s11, s11
	s_cbranch_execz .LBB48_2724
.LBB48_3178:
	v_add_f32_e64 v8, 0x46000000, |v9|
	s_and_not1_b32 s7, s7, exec_lo
	s_delay_alu instid0(VALU_DEP_1) | instskip(NEXT) | instid1(VALU_DEP_1)
	v_and_b32_e32 v8, 0xff, v8
	v_cmp_ne_u32_e32 vcc_lo, 0, v8
	s_and_b32 s12, vcc_lo, exec_lo
	s_delay_alu instid0(SALU_CYCLE_1)
	s_or_b32 s7, s7, s12
	s_or_b32 exec_lo, exec_lo, s11
	v_mov_b32_e32 v10, 0
	s_and_saveexec_b32 s11, s7
	s_cbranch_execnz .LBB48_2725
	s_branch .LBB48_2726
.LBB48_3179:
	s_or_b32 s10, s10, exec_lo
	s_trap 2
	s_cbranch_execz .LBB48_2772
	s_branch .LBB48_2773
.LBB48_3180:
	s_and_not1_saveexec_b32 s7, s7
	s_cbranch_execz .LBB48_2737
.LBB48_3181:
	v_add_f32_e64 v8, 0x42800000, |v9|
	s_and_not1_b32 s6, s6, exec_lo
	s_delay_alu instid0(VALU_DEP_1) | instskip(NEXT) | instid1(VALU_DEP_1)
	v_and_b32_e32 v8, 0xff, v8
	v_cmp_ne_u32_e32 vcc_lo, 0, v8
	s_and_b32 s11, vcc_lo, exec_lo
	s_delay_alu instid0(SALU_CYCLE_1)
	s_or_b32 s6, s6, s11
	s_or_b32 exec_lo, exec_lo, s7
	v_mov_b32_e32 v10, 0
	s_and_saveexec_b32 s7, s6
	s_cbranch_execnz .LBB48_2738
	s_branch .LBB48_2739
.LBB48_3182:
	s_and_not1_saveexec_b32 s11, s11
	s_cbranch_execz .LBB48_2888
.LBB48_3183:
	v_add_f32_e64 v6, 0x46000000, |v7|
	s_and_not1_b32 s7, s7, exec_lo
	s_delay_alu instid0(VALU_DEP_1) | instskip(NEXT) | instid1(VALU_DEP_1)
	v_and_b32_e32 v6, 0xff, v6
	v_cmp_ne_u32_e32 vcc_lo, 0, v6
	s_and_b32 s12, vcc_lo, exec_lo
	s_delay_alu instid0(SALU_CYCLE_1)
	s_or_b32 s7, s7, s12
	s_or_b32 exec_lo, exec_lo, s11
	v_mov_b32_e32 v8, 0
	s_and_saveexec_b32 s11, s7
	s_cbranch_execnz .LBB48_2889
	s_branch .LBB48_2890
.LBB48_3184:
	s_or_b32 s10, s10, exec_lo
	s_trap 2
	s_cbranch_execz .LBB48_2936
	s_branch .LBB48_2937
.LBB48_3185:
	s_and_not1_saveexec_b32 s7, s7
	s_cbranch_execz .LBB48_2901
.LBB48_3186:
	v_add_f32_e64 v6, 0x42800000, |v7|
	s_and_not1_b32 s6, s6, exec_lo
	s_delay_alu instid0(VALU_DEP_1) | instskip(NEXT) | instid1(VALU_DEP_1)
	v_and_b32_e32 v6, 0xff, v6
	v_cmp_ne_u32_e32 vcc_lo, 0, v6
	s_and_b32 s11, vcc_lo, exec_lo
	s_delay_alu instid0(SALU_CYCLE_1)
	s_or_b32 s6, s6, s11
	s_or_b32 exec_lo, exec_lo, s7
	v_mov_b32_e32 v8, 0
	s_and_saveexec_b32 s7, s6
	s_cbranch_execnz .LBB48_2902
	s_branch .LBB48_2903
.LBB48_3187:
	s_and_not1_saveexec_b32 s11, s11
	s_cbranch_execz .LBB48_3007
.LBB48_3188:
	v_add_f32_e64 v4, 0x46000000, |v5|
	s_and_not1_b32 s7, s7, exec_lo
	s_delay_alu instid0(VALU_DEP_1) | instskip(NEXT) | instid1(VALU_DEP_1)
	v_and_b32_e32 v4, 0xff, v4
	v_cmp_ne_u32_e32 vcc_lo, 0, v4
	s_and_b32 s12, vcc_lo, exec_lo
	s_delay_alu instid0(SALU_CYCLE_1)
	s_or_b32 s7, s7, s12
	s_or_b32 exec_lo, exec_lo, s11
	v_mov_b32_e32 v6, 0
	s_and_saveexec_b32 s11, s7
	s_cbranch_execnz .LBB48_3008
	s_branch .LBB48_3009
.LBB48_3189:
	s_or_b32 s10, s10, exec_lo
	s_trap 2
	s_cbranch_execz .LBB48_3055
	s_branch .LBB48_3056
.LBB48_3190:
	s_and_not1_saveexec_b32 s7, s7
	s_cbranch_execz .LBB48_3020
.LBB48_3191:
	v_add_f32_e64 v4, 0x42800000, |v5|
	s_and_not1_b32 s6, s6, exec_lo
	s_delay_alu instid0(VALU_DEP_1) | instskip(NEXT) | instid1(VALU_DEP_1)
	v_and_b32_e32 v4, 0xff, v4
	v_cmp_ne_u32_e32 vcc_lo, 0, v4
	s_and_b32 s11, vcc_lo, exec_lo
	s_delay_alu instid0(SALU_CYCLE_1)
	s_or_b32 s6, s6, s11
	s_or_b32 exec_lo, exec_lo, s7
	v_mov_b32_e32 v6, 0
	s_and_saveexec_b32 s7, s6
	s_cbranch_execnz .LBB48_3021
	s_branch .LBB48_3022
.LBB48_3192:
	s_and_not1_saveexec_b32 s6, s6
	s_cbranch_execz .LBB48_3127
.LBB48_3193:
	v_add_f32_e64 v1, 0x46000000, |v4|
	s_and_not1_b32 s5, s5, exec_lo
	s_delay_alu instid0(VALU_DEP_1) | instskip(NEXT) | instid1(VALU_DEP_1)
	v_and_b32_e32 v1, 0xff, v1
	v_cmp_ne_u32_e32 vcc_lo, 0, v1
	s_and_b32 s7, vcc_lo, exec_lo
	s_delay_alu instid0(SALU_CYCLE_1)
	s_or_b32 s5, s5, s7
	s_or_b32 exec_lo, exec_lo, s6
	v_mov_b32_e32 v5, 0
	s_and_saveexec_b32 s6, s5
	s_cbranch_execnz .LBB48_3128
	s_branch .LBB48_3129
.LBB48_3194:
	s_mov_b32 s3, 0
	s_or_b32 s10, s10, exec_lo
	s_trap 2
	s_branch .LBB48_3173
.LBB48_3195:
	s_and_not1_saveexec_b32 s5, s5
	s_cbranch_execz .LBB48_3139
.LBB48_3196:
	v_add_f32_e64 v1, 0x42800000, |v4|
	s_and_not1_b32 s4, s4, exec_lo
	s_delay_alu instid0(VALU_DEP_1) | instskip(NEXT) | instid1(VALU_DEP_1)
	v_and_b32_e32 v1, 0xff, v1
	v_cmp_ne_u32_e32 vcc_lo, 0, v1
	s_and_b32 s6, vcc_lo, exec_lo
	s_delay_alu instid0(SALU_CYCLE_1)
	s_or_b32 s4, s4, s6
	s_or_b32 exec_lo, exec_lo, s5
	v_mov_b32_e32 v5, 0
	s_and_saveexec_b32 s5, s4
	s_cbranch_execnz .LBB48_3140
	s_branch .LBB48_3141
	.section	.rodata,"a",@progbits
	.p2align	6, 0x0
	.amdhsa_kernel _ZN2at6native32elementwise_kernel_manual_unrollILi128ELi4EZNS0_15gpu_kernel_implIZZZNS0_12prelu_kernelERNS_14TensorIteratorEENKUlvE_clEvENKUlvE1_clEvEUlN3c108BFloat16ES8_E_EEvRNS_18TensorIteratorBaseERKT_EUlibE0_EEviT1_
		.amdhsa_group_segment_fixed_size 0
		.amdhsa_private_segment_fixed_size 0
		.amdhsa_kernarg_size 432
		.amdhsa_user_sgpr_count 2
		.amdhsa_user_sgpr_dispatch_ptr 0
		.amdhsa_user_sgpr_queue_ptr 0
		.amdhsa_user_sgpr_kernarg_segment_ptr 1
		.amdhsa_user_sgpr_dispatch_id 0
		.amdhsa_user_sgpr_kernarg_preload_length 0
		.amdhsa_user_sgpr_kernarg_preload_offset 0
		.amdhsa_user_sgpr_private_segment_size 0
		.amdhsa_wavefront_size32 1
		.amdhsa_uses_dynamic_stack 0
		.amdhsa_enable_private_segment 0
		.amdhsa_system_sgpr_workgroup_id_x 1
		.amdhsa_system_sgpr_workgroup_id_y 0
		.amdhsa_system_sgpr_workgroup_id_z 0
		.amdhsa_system_sgpr_workgroup_info 0
		.amdhsa_system_vgpr_workitem_id 0
		.amdhsa_next_free_vgpr 26
		.amdhsa_next_free_sgpr 60
		.amdhsa_named_barrier_count 0
		.amdhsa_reserve_vcc 1
		.amdhsa_float_round_mode_32 0
		.amdhsa_float_round_mode_16_64 0
		.amdhsa_float_denorm_mode_32 3
		.amdhsa_float_denorm_mode_16_64 3
		.amdhsa_fp16_overflow 0
		.amdhsa_memory_ordered 1
		.amdhsa_forward_progress 1
		.amdhsa_inst_pref_size 255
		.amdhsa_round_robin_scheduling 0
		.amdhsa_exception_fp_ieee_invalid_op 0
		.amdhsa_exception_fp_denorm_src 0
		.amdhsa_exception_fp_ieee_div_zero 0
		.amdhsa_exception_fp_ieee_overflow 0
		.amdhsa_exception_fp_ieee_underflow 0
		.amdhsa_exception_fp_ieee_inexact 0
		.amdhsa_exception_int_div_zero 0
	.end_amdhsa_kernel
	.section	.text._ZN2at6native32elementwise_kernel_manual_unrollILi128ELi4EZNS0_15gpu_kernel_implIZZZNS0_12prelu_kernelERNS_14TensorIteratorEENKUlvE_clEvENKUlvE1_clEvEUlN3c108BFloat16ES8_E_EEvRNS_18TensorIteratorBaseERKT_EUlibE0_EEviT1_,"axG",@progbits,_ZN2at6native32elementwise_kernel_manual_unrollILi128ELi4EZNS0_15gpu_kernel_implIZZZNS0_12prelu_kernelERNS_14TensorIteratorEENKUlvE_clEvENKUlvE1_clEvEUlN3c108BFloat16ES8_E_EEvRNS_18TensorIteratorBaseERKT_EUlibE0_EEviT1_,comdat
.Lfunc_end48:
	.size	_ZN2at6native32elementwise_kernel_manual_unrollILi128ELi4EZNS0_15gpu_kernel_implIZZZNS0_12prelu_kernelERNS_14TensorIteratorEENKUlvE_clEvENKUlvE1_clEvEUlN3c108BFloat16ES8_E_EEvRNS_18TensorIteratorBaseERKT_EUlibE0_EEviT1_, .Lfunc_end48-_ZN2at6native32elementwise_kernel_manual_unrollILi128ELi4EZNS0_15gpu_kernel_implIZZZNS0_12prelu_kernelERNS_14TensorIteratorEENKUlvE_clEvENKUlvE1_clEvEUlN3c108BFloat16ES8_E_EEvRNS_18TensorIteratorBaseERKT_EUlibE0_EEviT1_
                                        ; -- End function
	.set _ZN2at6native32elementwise_kernel_manual_unrollILi128ELi4EZNS0_15gpu_kernel_implIZZZNS0_12prelu_kernelERNS_14TensorIteratorEENKUlvE_clEvENKUlvE1_clEvEUlN3c108BFloat16ES8_E_EEvRNS_18TensorIteratorBaseERKT_EUlibE0_EEviT1_.num_vgpr, 26
	.set _ZN2at6native32elementwise_kernel_manual_unrollILi128ELi4EZNS0_15gpu_kernel_implIZZZNS0_12prelu_kernelERNS_14TensorIteratorEENKUlvE_clEvENKUlvE1_clEvEUlN3c108BFloat16ES8_E_EEvRNS_18TensorIteratorBaseERKT_EUlibE0_EEviT1_.num_agpr, 0
	.set _ZN2at6native32elementwise_kernel_manual_unrollILi128ELi4EZNS0_15gpu_kernel_implIZZZNS0_12prelu_kernelERNS_14TensorIteratorEENKUlvE_clEvENKUlvE1_clEvEUlN3c108BFloat16ES8_E_EEvRNS_18TensorIteratorBaseERKT_EUlibE0_EEviT1_.numbered_sgpr, 60
	.set _ZN2at6native32elementwise_kernel_manual_unrollILi128ELi4EZNS0_15gpu_kernel_implIZZZNS0_12prelu_kernelERNS_14TensorIteratorEENKUlvE_clEvENKUlvE1_clEvEUlN3c108BFloat16ES8_E_EEvRNS_18TensorIteratorBaseERKT_EUlibE0_EEviT1_.num_named_barrier, 0
	.set _ZN2at6native32elementwise_kernel_manual_unrollILi128ELi4EZNS0_15gpu_kernel_implIZZZNS0_12prelu_kernelERNS_14TensorIteratorEENKUlvE_clEvENKUlvE1_clEvEUlN3c108BFloat16ES8_E_EEvRNS_18TensorIteratorBaseERKT_EUlibE0_EEviT1_.private_seg_size, 0
	.set _ZN2at6native32elementwise_kernel_manual_unrollILi128ELi4EZNS0_15gpu_kernel_implIZZZNS0_12prelu_kernelERNS_14TensorIteratorEENKUlvE_clEvENKUlvE1_clEvEUlN3c108BFloat16ES8_E_EEvRNS_18TensorIteratorBaseERKT_EUlibE0_EEviT1_.uses_vcc, 1
	.set _ZN2at6native32elementwise_kernel_manual_unrollILi128ELi4EZNS0_15gpu_kernel_implIZZZNS0_12prelu_kernelERNS_14TensorIteratorEENKUlvE_clEvENKUlvE1_clEvEUlN3c108BFloat16ES8_E_EEvRNS_18TensorIteratorBaseERKT_EUlibE0_EEviT1_.uses_flat_scratch, 0
	.set _ZN2at6native32elementwise_kernel_manual_unrollILi128ELi4EZNS0_15gpu_kernel_implIZZZNS0_12prelu_kernelERNS_14TensorIteratorEENKUlvE_clEvENKUlvE1_clEvEUlN3c108BFloat16ES8_E_EEvRNS_18TensorIteratorBaseERKT_EUlibE0_EEviT1_.has_dyn_sized_stack, 0
	.set _ZN2at6native32elementwise_kernel_manual_unrollILi128ELi4EZNS0_15gpu_kernel_implIZZZNS0_12prelu_kernelERNS_14TensorIteratorEENKUlvE_clEvENKUlvE1_clEvEUlN3c108BFloat16ES8_E_EEvRNS_18TensorIteratorBaseERKT_EUlibE0_EEviT1_.has_recursion, 0
	.set _ZN2at6native32elementwise_kernel_manual_unrollILi128ELi4EZNS0_15gpu_kernel_implIZZZNS0_12prelu_kernelERNS_14TensorIteratorEENKUlvE_clEvENKUlvE1_clEvEUlN3c108BFloat16ES8_E_EEvRNS_18TensorIteratorBaseERKT_EUlibE0_EEviT1_.has_indirect_call, 0
	.section	.AMDGPU.csdata,"",@progbits
; Kernel info:
; codeLenInByte = 73876
; TotalNumSgprs: 62
; NumVgprs: 26
; ScratchSize: 0
; MemoryBound: 0
; FloatMode: 240
; IeeeMode: 1
; LDSByteSize: 0 bytes/workgroup (compile time only)
; SGPRBlocks: 0
; VGPRBlocks: 1
; NumSGPRsForWavesPerEU: 62
; NumVGPRsForWavesPerEU: 26
; NamedBarCnt: 0
; Occupancy: 16
; WaveLimiterHint : 1
; COMPUTE_PGM_RSRC2:SCRATCH_EN: 0
; COMPUTE_PGM_RSRC2:USER_SGPR: 2
; COMPUTE_PGM_RSRC2:TRAP_HANDLER: 0
; COMPUTE_PGM_RSRC2:TGID_X_EN: 1
; COMPUTE_PGM_RSRC2:TGID_Y_EN: 0
; COMPUTE_PGM_RSRC2:TGID_Z_EN: 0
; COMPUTE_PGM_RSRC2:TIDIG_COMP_CNT: 0
	.section	.text._ZN2at6native29vectorized_elementwise_kernelILi16EZZZNS0_12prelu_kernelERNS_14TensorIteratorEENKUlvE_clEvENKUlvE2_clEvEUlN3c104HalfES7_E_St5arrayIPcLm3EEEEviT0_T1_,"axG",@progbits,_ZN2at6native29vectorized_elementwise_kernelILi16EZZZNS0_12prelu_kernelERNS_14TensorIteratorEENKUlvE_clEvENKUlvE2_clEvEUlN3c104HalfES7_E_St5arrayIPcLm3EEEEviT0_T1_,comdat
	.globl	_ZN2at6native29vectorized_elementwise_kernelILi16EZZZNS0_12prelu_kernelERNS_14TensorIteratorEENKUlvE_clEvENKUlvE2_clEvEUlN3c104HalfES7_E_St5arrayIPcLm3EEEEviT0_T1_ ; -- Begin function _ZN2at6native29vectorized_elementwise_kernelILi16EZZZNS0_12prelu_kernelERNS_14TensorIteratorEENKUlvE_clEvENKUlvE2_clEvEUlN3c104HalfES7_E_St5arrayIPcLm3EEEEviT0_T1_
	.p2align	8
	.type	_ZN2at6native29vectorized_elementwise_kernelILi16EZZZNS0_12prelu_kernelERNS_14TensorIteratorEENKUlvE_clEvENKUlvE2_clEvEUlN3c104HalfES7_E_St5arrayIPcLm3EEEEviT0_T1_,@function
_ZN2at6native29vectorized_elementwise_kernelILi16EZZZNS0_12prelu_kernelERNS_14TensorIteratorEENKUlvE_clEvENKUlvE2_clEvEUlN3c104HalfES7_E_St5arrayIPcLm3EEEEviT0_T1_: ; @_ZN2at6native29vectorized_elementwise_kernelILi16EZZZNS0_12prelu_kernelERNS_14TensorIteratorEENKUlvE_clEvENKUlvE2_clEvEUlN3c104HalfES7_E_St5arrayIPcLm3EEEEviT0_T1_
; %bb.0:
	s_clause 0x2
	s_load_b32 s3, s[0:1], 0x0
	s_load_b128 s[4:7], s[0:1], 0x8
	s_load_b64 s[8:9], s[0:1], 0x18
	s_wait_xcnt 0x0
	s_bfe_u32 s0, ttmp6, 0x4000c
	s_and_b32 s1, ttmp6, 15
	s_add_co_i32 s0, s0, 1
	s_getreg_b32 s2, hwreg(HW_REG_IB_STS2, 6, 4)
	s_mul_i32 s0, ttmp9, s0
	s_delay_alu instid0(SALU_CYCLE_1) | instskip(SKIP_2) | instid1(SALU_CYCLE_1)
	s_add_co_i32 s1, s1, s0
	s_cmp_eq_u32 s2, 0
	s_cselect_b32 s0, ttmp9, s1
	s_lshl_b32 s2, s0, 11
	s_mov_b32 s0, -1
	s_wait_kmcnt 0x0
	s_sub_co_i32 s1, s3, s2
	s_delay_alu instid0(SALU_CYCLE_1)
	s_cmp_gt_i32 s1, 0x7ff
	s_cbranch_scc0 .LBB49_2
; %bb.1:
	s_ashr_i32 s3, s2, 31
	s_mov_b32 s0, 0
	s_lshl_b64 s[10:11], s[2:3], 1
	s_delay_alu instid0(SALU_CYCLE_1)
	s_add_nc_u64 s[12:13], s[6:7], s[10:11]
	s_add_nc_u64 s[14:15], s[8:9], s[10:11]
	s_clause 0x1
	global_load_b128 v[2:5], v0, s[12:13] scale_offset
	global_load_b128 v[6:9], v0, s[14:15] scale_offset
	s_add_nc_u64 s[10:11], s[4:5], s[10:11]
	s_wait_loadcnt 0x1
	v_cmp_lt_f16_e32 vcc_lo, 0, v2
	s_wait_loadcnt 0x0
	v_pk_mul_f16 v6, v6, v2
	v_dual_lshrrev_b32 v1, 16, v3 :: v_dual_lshrrev_b32 v10, 16, v2
	v_pk_mul_f16 v7, v7, v3
	v_pk_mul_f16 v8, v8, v4
	s_delay_alu instid0(VALU_DEP_4)
	v_cndmask_b32_e32 v2, v6, v2, vcc_lo
	v_cmp_lt_f16_e32 vcc_lo, 0, v3
	v_dual_lshrrev_b32 v11, 16, v5 :: v_dual_lshrrev_b32 v12, 16, v4
	v_pk_mul_f16 v9, v9, v5
	v_dual_cndmask_b32 v3, v7, v3 :: v_dual_lshrrev_b32 v6, 16, v6
	v_cmp_lt_f16_e32 vcc_lo, 0, v4
	s_delay_alu instid0(VALU_DEP_3)
	v_dual_lshrrev_b32 v7, 16, v7 :: v_dual_lshrrev_b32 v13, 16, v9
	v_cndmask_b32_e32 v4, v8, v4, vcc_lo
	v_cmp_lt_f16_e32 vcc_lo, 0, v5
	v_dual_cndmask_b32 v5, v9, v5 :: v_dual_lshrrev_b32 v8, 16, v8
	v_cmp_lt_f16_e32 vcc_lo, 0, v1
	v_cndmask_b32_e32 v1, v7, v1, vcc_lo
	v_cmp_lt_f16_e32 vcc_lo, 0, v11
	v_cndmask_b32_e32 v7, v13, v11, vcc_lo
	v_cmp_lt_f16_e32 vcc_lo, 0, v12
	s_delay_alu instid0(VALU_DEP_4) | instskip(NEXT) | instid1(VALU_DEP_3)
	v_perm_b32 v3, v1, v3, 0x5040100
	v_perm_b32 v5, v7, v5, 0x5040100
	v_cndmask_b32_e32 v8, v8, v12, vcc_lo
	v_cmp_lt_f16_e32 vcc_lo, 0, v10
	v_cndmask_b32_e32 v6, v6, v10, vcc_lo
	s_delay_alu instid0(VALU_DEP_3) | instskip(NEXT) | instid1(VALU_DEP_2)
	v_perm_b32 v4, v8, v4, 0x5040100
	v_perm_b32 v2, v6, v2, 0x5040100
	global_store_b128 v0, v[2:5], s[10:11] scale_offset
.LBB49_2:
	s_and_not1_b32 vcc_lo, exec_lo, s0
	s_cbranch_vccnz .LBB49_27
; %bb.3:
	v_cmp_gt_i32_e32 vcc_lo, s1, v0
	s_wait_xcnt 0x0
	v_dual_mov_b32 v5, 0 :: v_dual_mov_b32 v1, 0
	v_dual_mov_b32 v6, 0 :: v_dual_bitop2_b32 v2, s2, v0 bitop3:0x54
	v_or_b32_e32 v4, 0x100, v0
	v_mov_b32_e32 v18, v0
	s_and_saveexec_b32 s0, vcc_lo
	s_cbranch_execz .LBB49_5
; %bb.4:
	s_clause 0x1
	global_load_u16 v6, v2, s[6:7] scale_offset
	global_load_u16 v5, v2, s[8:9] scale_offset
	v_or_b32_e32 v18, 0x100, v0
.LBB49_5:
	s_wait_xcnt 0x0
	s_or_b32 exec_lo, exec_lo, s0
	v_mov_b32_e32 v8, 0
	s_mov_b32 s3, exec_lo
	v_cmpx_gt_i32_e64 s1, v18
	s_cbranch_execz .LBB49_7
; %bb.6:
	v_add_nc_u32_e32 v3, s2, v18
	v_add_nc_u32_e32 v18, 0x100, v18
	s_clause 0x1
	global_load_u16 v1, v3, s[6:7] scale_offset
	global_load_u16 v8, v3, s[8:9] scale_offset
.LBB49_7:
	s_wait_xcnt 0x0
	s_or_b32 exec_lo, exec_lo, s3
	v_dual_mov_b32 v10, 0 :: v_dual_mov_b32 v3, 0
	v_mov_b32_e32 v9, 0
	s_mov_b32 s3, exec_lo
	v_cmpx_gt_i32_e64 s1, v18
	s_cbranch_execz .LBB49_9
; %bb.8:
	v_add_nc_u32_e32 v7, s2, v18
	v_add_nc_u32_e32 v18, 0x100, v18
	s_clause 0x1
	global_load_u16 v9, v7, s[6:7] scale_offset
	global_load_u16 v10, v7, s[8:9] scale_offset
.LBB49_9:
	s_wait_xcnt 0x0
	s_or_b32 exec_lo, exec_lo, s3
	v_mov_b32_e32 v12, 0
	s_mov_b32 s3, exec_lo
	v_cmpx_gt_i32_e64 s1, v18
	s_cbranch_execz .LBB49_11
; %bb.10:
	v_add_nc_u32_e32 v7, s2, v18
	v_add_nc_u32_e32 v18, 0x100, v18
	s_clause 0x1
	global_load_u16 v3, v7, s[6:7] scale_offset
	global_load_u16 v12, v7, s[8:9] scale_offset
.LBB49_11:
	s_wait_xcnt 0x0
	s_or_b32 exec_lo, exec_lo, s3
	v_dual_mov_b32 v14, 0 :: v_dual_mov_b32 v7, 0
	v_mov_b32_e32 v13, 0
	s_mov_b32 s3, exec_lo
	v_cmpx_gt_i32_e64 s1, v18
	s_cbranch_execz .LBB49_13
; %bb.12:
	v_add_nc_u32_e32 v11, s2, v18
	v_add_nc_u32_e32 v18, 0x100, v18
	s_clause 0x1
	global_load_u16 v13, v11, s[6:7] scale_offset
	global_load_u16 v14, v11, s[8:9] scale_offset
.LBB49_13:
	;; [unrolled: 27-line block ×3, first 2 shown]
	s_wait_xcnt 0x0
	s_or_b32 exec_lo, exec_lo, s3
	v_mov_b32_e32 v19, 0
	s_mov_b32 s3, exec_lo
	v_cmpx_gt_i32_e64 s1, v18
	s_cbranch_execnz .LBB49_28
; %bb.18:
	s_or_b32 exec_lo, exec_lo, s3
	s_and_saveexec_b32 s0, vcc_lo
	s_cbranch_execnz .LBB49_29
.LBB49_19:
	s_or_b32 exec_lo, exec_lo, s0
	s_delay_alu instid0(SALU_CYCLE_1)
	s_mov_b32 s0, exec_lo
	v_cmpx_gt_i32_e64 s1, v0
	s_cbranch_execnz .LBB49_30
.LBB49_20:
	s_or_b32 exec_lo, exec_lo, s0
	s_delay_alu instid0(SALU_CYCLE_1)
	s_mov_b32 s0, exec_lo
	v_cmpx_gt_i32_e64 s1, v0
	s_cbranch_execnz .LBB49_31
.LBB49_21:
	s_or_b32 exec_lo, exec_lo, s0
	s_delay_alu instid0(SALU_CYCLE_1)
	s_mov_b32 s0, exec_lo
	v_cmpx_gt_i32_e64 s1, v0
	s_cbranch_execnz .LBB49_32
.LBB49_22:
	s_or_b32 exec_lo, exec_lo, s0
	s_delay_alu instid0(SALU_CYCLE_1)
	s_mov_b32 s0, exec_lo
	v_cmpx_gt_i32_e64 s1, v0
	s_cbranch_execnz .LBB49_33
.LBB49_23:
	s_or_b32 exec_lo, exec_lo, s0
	s_delay_alu instid0(SALU_CYCLE_1)
	s_mov_b32 s0, exec_lo
	v_cmpx_gt_i32_e64 s1, v0
	s_cbranch_execnz .LBB49_34
.LBB49_24:
	s_or_b32 exec_lo, exec_lo, s0
	s_delay_alu instid0(SALU_CYCLE_1)
	s_mov_b32 s0, exec_lo
	v_cmpx_gt_i32_e64 s1, v0
	s_cbranch_execnz .LBB49_35
.LBB49_25:
	s_or_b32 exec_lo, exec_lo, s0
	s_delay_alu instid0(SALU_CYCLE_1)
	s_mov_b32 s0, exec_lo
	v_cmpx_gt_i32_e64 s1, v0
	s_cbranch_execz .LBB49_27
.LBB49_26:
	s_wait_loadcnt 0x0
	v_mul_f16_e32 v1, v19, v11
	v_cmp_lt_f16_e32 vcc_lo, 0, v11
	s_delay_alu instid0(VALU_DEP_2)
	v_dual_cndmask_b32 v1, v1, v11 :: v_dual_add_nc_u32 v0, s2, v0
	global_store_b16 v0, v1, s[4:5] scale_offset
.LBB49_27:
	s_endpgm
.LBB49_28:
	v_add_nc_u32_e32 v18, s2, v18
	s_clause 0x1
	global_load_u16 v11, v18, s[6:7] scale_offset
	global_load_u16 v19, v18, s[8:9] scale_offset
	s_wait_xcnt 0x0
	s_or_b32 exec_lo, exec_lo, s3
	s_and_saveexec_b32 s0, vcc_lo
	s_cbranch_execz .LBB49_19
.LBB49_29:
	s_wait_loadcnt 0x0
	v_mul_f16_e32 v0, v5, v6
	v_cmp_lt_f16_e32 vcc_lo, 0, v6
	s_delay_alu instid0(VALU_DEP_2) | instskip(SKIP_4) | instid1(SALU_CYCLE_1)
	v_cndmask_b32_e32 v5, v0, v6, vcc_lo
	v_mov_b32_e32 v0, v4
	global_store_b16 v2, v5, s[4:5] scale_offset
	s_wait_xcnt 0x0
	s_or_b32 exec_lo, exec_lo, s0
	s_mov_b32 s0, exec_lo
	v_cmpx_gt_i32_e64 s1, v0
	s_cbranch_execz .LBB49_20
.LBB49_30:
	s_wait_loadcnt 0x0
	v_mul_f16_e32 v2, v8, v1
	v_cmp_lt_f16_e32 vcc_lo, 0, v1
	s_delay_alu instid0(VALU_DEP_2) | instskip(SKIP_4) | instid1(SALU_CYCLE_1)
	v_dual_cndmask_b32 v1, v2, v1 :: v_dual_add_nc_u32 v2, s2, v0
	v_add_nc_u32_e32 v0, 0x100, v0
	global_store_b16 v2, v1, s[4:5] scale_offset
	s_wait_xcnt 0x0
	s_or_b32 exec_lo, exec_lo, s0
	s_mov_b32 s0, exec_lo
	v_cmpx_gt_i32_e64 s1, v0
	s_cbranch_execz .LBB49_21
.LBB49_31:
	s_wait_loadcnt 0x0
	v_mul_f16_e32 v1, v10, v9
	v_cmp_lt_f16_e32 vcc_lo, 0, v9
	v_add_nc_u32_e32 v2, s2, v0
	s_delay_alu instid0(VALU_DEP_3) | instskip(SKIP_3) | instid1(SALU_CYCLE_1)
	v_dual_cndmask_b32 v1, v1, v9 :: v_dual_add_nc_u32 v0, 0x100, v0
	global_store_b16 v2, v1, s[4:5] scale_offset
	s_wait_xcnt 0x0
	s_or_b32 exec_lo, exec_lo, s0
	s_mov_b32 s0, exec_lo
	v_cmpx_gt_i32_e64 s1, v0
	s_cbranch_execz .LBB49_22
.LBB49_32:
	s_wait_loadcnt 0x0
	v_mul_f16_e32 v1, v12, v3
	v_cmp_lt_f16_e32 vcc_lo, 0, v3
	v_add_nc_u32_e32 v2, s2, v0
	s_delay_alu instid0(VALU_DEP_3) | instskip(SKIP_3) | instid1(SALU_CYCLE_1)
	v_dual_cndmask_b32 v1, v1, v3 :: v_dual_add_nc_u32 v0, 0x100, v0
	global_store_b16 v2, v1, s[4:5] scale_offset
	s_wait_xcnt 0x0
	s_or_b32 exec_lo, exec_lo, s0
	s_mov_b32 s0, exec_lo
	v_cmpx_gt_i32_e64 s1, v0
	s_cbranch_execz .LBB49_23
.LBB49_33:
	s_wait_loadcnt 0x0
	v_mul_f16_e32 v1, v14, v13
	v_cmp_lt_f16_e32 vcc_lo, 0, v13
	v_add_nc_u32_e32 v2, s2, v0
	s_delay_alu instid0(VALU_DEP_3) | instskip(SKIP_3) | instid1(SALU_CYCLE_1)
	v_dual_cndmask_b32 v1, v1, v13 :: v_dual_add_nc_u32 v0, 0x100, v0
	global_store_b16 v2, v1, s[4:5] scale_offset
	s_wait_xcnt 0x0
	s_or_b32 exec_lo, exec_lo, s0
	s_mov_b32 s0, exec_lo
	v_cmpx_gt_i32_e64 s1, v0
	s_cbranch_execz .LBB49_24
.LBB49_34:
	s_wait_loadcnt 0x0
	v_mul_f16_e32 v1, v15, v7
	v_cmp_lt_f16_e32 vcc_lo, 0, v7
	v_add_nc_u32_e32 v2, s2, v0
	s_delay_alu instid0(VALU_DEP_3) | instskip(SKIP_3) | instid1(SALU_CYCLE_1)
	v_dual_cndmask_b32 v1, v1, v7 :: v_dual_add_nc_u32 v0, 0x100, v0
	global_store_b16 v2, v1, s[4:5] scale_offset
	s_wait_xcnt 0x0
	s_or_b32 exec_lo, exec_lo, s0
	s_mov_b32 s0, exec_lo
	v_cmpx_gt_i32_e64 s1, v0
	s_cbranch_execz .LBB49_25
.LBB49_35:
	s_wait_loadcnt 0x0
	v_mul_f16_e32 v1, v17, v16
	v_cmp_lt_f16_e32 vcc_lo, 0, v16
	v_add_nc_u32_e32 v2, s2, v0
	v_add_nc_u32_e32 v0, 0x100, v0
	s_delay_alu instid0(VALU_DEP_4) | instskip(SKIP_3) | instid1(SALU_CYCLE_1)
	v_cndmask_b32_e32 v1, v1, v16, vcc_lo
	global_store_b16 v2, v1, s[4:5] scale_offset
	s_wait_xcnt 0x0
	s_or_b32 exec_lo, exec_lo, s0
	s_mov_b32 s0, exec_lo
	v_cmpx_gt_i32_e64 s1, v0
	s_cbranch_execnz .LBB49_26
	s_branch .LBB49_27
	.section	.rodata,"a",@progbits
	.p2align	6, 0x0
	.amdhsa_kernel _ZN2at6native29vectorized_elementwise_kernelILi16EZZZNS0_12prelu_kernelERNS_14TensorIteratorEENKUlvE_clEvENKUlvE2_clEvEUlN3c104HalfES7_E_St5arrayIPcLm3EEEEviT0_T1_
		.amdhsa_group_segment_fixed_size 0
		.amdhsa_private_segment_fixed_size 0
		.amdhsa_kernarg_size 32
		.amdhsa_user_sgpr_count 2
		.amdhsa_user_sgpr_dispatch_ptr 0
		.amdhsa_user_sgpr_queue_ptr 0
		.amdhsa_user_sgpr_kernarg_segment_ptr 1
		.amdhsa_user_sgpr_dispatch_id 0
		.amdhsa_user_sgpr_kernarg_preload_length 0
		.amdhsa_user_sgpr_kernarg_preload_offset 0
		.amdhsa_user_sgpr_private_segment_size 0
		.amdhsa_wavefront_size32 1
		.amdhsa_uses_dynamic_stack 0
		.amdhsa_enable_private_segment 0
		.amdhsa_system_sgpr_workgroup_id_x 1
		.amdhsa_system_sgpr_workgroup_id_y 0
		.amdhsa_system_sgpr_workgroup_id_z 0
		.amdhsa_system_sgpr_workgroup_info 0
		.amdhsa_system_vgpr_workitem_id 0
		.amdhsa_next_free_vgpr 20
		.amdhsa_next_free_sgpr 16
		.amdhsa_named_barrier_count 0
		.amdhsa_reserve_vcc 1
		.amdhsa_float_round_mode_32 0
		.amdhsa_float_round_mode_16_64 0
		.amdhsa_float_denorm_mode_32 3
		.amdhsa_float_denorm_mode_16_64 3
		.amdhsa_fp16_overflow 0
		.amdhsa_memory_ordered 1
		.amdhsa_forward_progress 1
		.amdhsa_inst_pref_size 14
		.amdhsa_round_robin_scheduling 0
		.amdhsa_exception_fp_ieee_invalid_op 0
		.amdhsa_exception_fp_denorm_src 0
		.amdhsa_exception_fp_ieee_div_zero 0
		.amdhsa_exception_fp_ieee_overflow 0
		.amdhsa_exception_fp_ieee_underflow 0
		.amdhsa_exception_fp_ieee_inexact 0
		.amdhsa_exception_int_div_zero 0
	.end_amdhsa_kernel
	.section	.text._ZN2at6native29vectorized_elementwise_kernelILi16EZZZNS0_12prelu_kernelERNS_14TensorIteratorEENKUlvE_clEvENKUlvE2_clEvEUlN3c104HalfES7_E_St5arrayIPcLm3EEEEviT0_T1_,"axG",@progbits,_ZN2at6native29vectorized_elementwise_kernelILi16EZZZNS0_12prelu_kernelERNS_14TensorIteratorEENKUlvE_clEvENKUlvE2_clEvEUlN3c104HalfES7_E_St5arrayIPcLm3EEEEviT0_T1_,comdat
.Lfunc_end49:
	.size	_ZN2at6native29vectorized_elementwise_kernelILi16EZZZNS0_12prelu_kernelERNS_14TensorIteratorEENKUlvE_clEvENKUlvE2_clEvEUlN3c104HalfES7_E_St5arrayIPcLm3EEEEviT0_T1_, .Lfunc_end49-_ZN2at6native29vectorized_elementwise_kernelILi16EZZZNS0_12prelu_kernelERNS_14TensorIteratorEENKUlvE_clEvENKUlvE2_clEvEUlN3c104HalfES7_E_St5arrayIPcLm3EEEEviT0_T1_
                                        ; -- End function
	.set _ZN2at6native29vectorized_elementwise_kernelILi16EZZZNS0_12prelu_kernelERNS_14TensorIteratorEENKUlvE_clEvENKUlvE2_clEvEUlN3c104HalfES7_E_St5arrayIPcLm3EEEEviT0_T1_.num_vgpr, 20
	.set _ZN2at6native29vectorized_elementwise_kernelILi16EZZZNS0_12prelu_kernelERNS_14TensorIteratorEENKUlvE_clEvENKUlvE2_clEvEUlN3c104HalfES7_E_St5arrayIPcLm3EEEEviT0_T1_.num_agpr, 0
	.set _ZN2at6native29vectorized_elementwise_kernelILi16EZZZNS0_12prelu_kernelERNS_14TensorIteratorEENKUlvE_clEvENKUlvE2_clEvEUlN3c104HalfES7_E_St5arrayIPcLm3EEEEviT0_T1_.numbered_sgpr, 16
	.set _ZN2at6native29vectorized_elementwise_kernelILi16EZZZNS0_12prelu_kernelERNS_14TensorIteratorEENKUlvE_clEvENKUlvE2_clEvEUlN3c104HalfES7_E_St5arrayIPcLm3EEEEviT0_T1_.num_named_barrier, 0
	.set _ZN2at6native29vectorized_elementwise_kernelILi16EZZZNS0_12prelu_kernelERNS_14TensorIteratorEENKUlvE_clEvENKUlvE2_clEvEUlN3c104HalfES7_E_St5arrayIPcLm3EEEEviT0_T1_.private_seg_size, 0
	.set _ZN2at6native29vectorized_elementwise_kernelILi16EZZZNS0_12prelu_kernelERNS_14TensorIteratorEENKUlvE_clEvENKUlvE2_clEvEUlN3c104HalfES7_E_St5arrayIPcLm3EEEEviT0_T1_.uses_vcc, 1
	.set _ZN2at6native29vectorized_elementwise_kernelILi16EZZZNS0_12prelu_kernelERNS_14TensorIteratorEENKUlvE_clEvENKUlvE2_clEvEUlN3c104HalfES7_E_St5arrayIPcLm3EEEEviT0_T1_.uses_flat_scratch, 0
	.set _ZN2at6native29vectorized_elementwise_kernelILi16EZZZNS0_12prelu_kernelERNS_14TensorIteratorEENKUlvE_clEvENKUlvE2_clEvEUlN3c104HalfES7_E_St5arrayIPcLm3EEEEviT0_T1_.has_dyn_sized_stack, 0
	.set _ZN2at6native29vectorized_elementwise_kernelILi16EZZZNS0_12prelu_kernelERNS_14TensorIteratorEENKUlvE_clEvENKUlvE2_clEvEUlN3c104HalfES7_E_St5arrayIPcLm3EEEEviT0_T1_.has_recursion, 0
	.set _ZN2at6native29vectorized_elementwise_kernelILi16EZZZNS0_12prelu_kernelERNS_14TensorIteratorEENKUlvE_clEvENKUlvE2_clEvEUlN3c104HalfES7_E_St5arrayIPcLm3EEEEviT0_T1_.has_indirect_call, 0
	.section	.AMDGPU.csdata,"",@progbits
; Kernel info:
; codeLenInByte = 1684
; TotalNumSgprs: 18
; NumVgprs: 20
; ScratchSize: 0
; MemoryBound: 0
; FloatMode: 240
; IeeeMode: 1
; LDSByteSize: 0 bytes/workgroup (compile time only)
; SGPRBlocks: 0
; VGPRBlocks: 1
; NumSGPRsForWavesPerEU: 18
; NumVGPRsForWavesPerEU: 20
; NamedBarCnt: 0
; Occupancy: 16
; WaveLimiterHint : 0
; COMPUTE_PGM_RSRC2:SCRATCH_EN: 0
; COMPUTE_PGM_RSRC2:USER_SGPR: 2
; COMPUTE_PGM_RSRC2:TRAP_HANDLER: 0
; COMPUTE_PGM_RSRC2:TGID_X_EN: 1
; COMPUTE_PGM_RSRC2:TGID_Y_EN: 0
; COMPUTE_PGM_RSRC2:TGID_Z_EN: 0
; COMPUTE_PGM_RSRC2:TIDIG_COMP_CNT: 0
	.section	.text._ZN2at6native29vectorized_elementwise_kernelILi8EZZZNS0_12prelu_kernelERNS_14TensorIteratorEENKUlvE_clEvENKUlvE2_clEvEUlN3c104HalfES7_E_St5arrayIPcLm3EEEEviT0_T1_,"axG",@progbits,_ZN2at6native29vectorized_elementwise_kernelILi8EZZZNS0_12prelu_kernelERNS_14TensorIteratorEENKUlvE_clEvENKUlvE2_clEvEUlN3c104HalfES7_E_St5arrayIPcLm3EEEEviT0_T1_,comdat
	.globl	_ZN2at6native29vectorized_elementwise_kernelILi8EZZZNS0_12prelu_kernelERNS_14TensorIteratorEENKUlvE_clEvENKUlvE2_clEvEUlN3c104HalfES7_E_St5arrayIPcLm3EEEEviT0_T1_ ; -- Begin function _ZN2at6native29vectorized_elementwise_kernelILi8EZZZNS0_12prelu_kernelERNS_14TensorIteratorEENKUlvE_clEvENKUlvE2_clEvEUlN3c104HalfES7_E_St5arrayIPcLm3EEEEviT0_T1_
	.p2align	8
	.type	_ZN2at6native29vectorized_elementwise_kernelILi8EZZZNS0_12prelu_kernelERNS_14TensorIteratorEENKUlvE_clEvENKUlvE2_clEvEUlN3c104HalfES7_E_St5arrayIPcLm3EEEEviT0_T1_,@function
_ZN2at6native29vectorized_elementwise_kernelILi8EZZZNS0_12prelu_kernelERNS_14TensorIteratorEENKUlvE_clEvENKUlvE2_clEvEUlN3c104HalfES7_E_St5arrayIPcLm3EEEEviT0_T1_: ; @_ZN2at6native29vectorized_elementwise_kernelILi8EZZZNS0_12prelu_kernelERNS_14TensorIteratorEENKUlvE_clEvENKUlvE2_clEvEUlN3c104HalfES7_E_St5arrayIPcLm3EEEEviT0_T1_
; %bb.0:
	s_clause 0x2
	s_load_b32 s3, s[0:1], 0x0
	s_load_b128 s[4:7], s[0:1], 0x8
	s_load_b64 s[8:9], s[0:1], 0x18
	s_wait_xcnt 0x0
	s_bfe_u32 s0, ttmp6, 0x4000c
	s_and_b32 s1, ttmp6, 15
	s_add_co_i32 s0, s0, 1
	s_getreg_b32 s2, hwreg(HW_REG_IB_STS2, 6, 4)
	s_mul_i32 s0, ttmp9, s0
	s_delay_alu instid0(SALU_CYCLE_1) | instskip(SKIP_2) | instid1(SALU_CYCLE_1)
	s_add_co_i32 s1, s1, s0
	s_cmp_eq_u32 s2, 0
	s_cselect_b32 s0, ttmp9, s1
	s_lshl_b32 s2, s0, 11
	s_mov_b32 s0, -1
	s_wait_kmcnt 0x0
	s_sub_co_i32 s1, s3, s2
	s_delay_alu instid0(SALU_CYCLE_1)
	s_cmp_gt_i32 s1, 0x7ff
	s_cbranch_scc0 .LBB50_2
; %bb.1:
	s_ashr_i32 s3, s2, 31
	s_mov_b32 s0, 0
	s_lshl_b64 s[10:11], s[2:3], 1
	s_delay_alu instid0(SALU_CYCLE_1)
	s_add_nc_u64 s[12:13], s[6:7], s[10:11]
	s_add_nc_u64 s[14:15], s[8:9], s[10:11]
	s_clause 0x1
	global_load_b128 v[2:5], v0, s[12:13] scale_offset
	global_load_b128 v[6:9], v0, s[14:15] scale_offset
	s_add_nc_u64 s[10:11], s[4:5], s[10:11]
	s_wait_loadcnt 0x1
	v_cmp_lt_f16_e32 vcc_lo, 0, v2
	s_wait_loadcnt 0x0
	v_pk_mul_f16 v6, v6, v2
	v_dual_lshrrev_b32 v1, 16, v3 :: v_dual_lshrrev_b32 v10, 16, v2
	v_pk_mul_f16 v7, v7, v3
	v_pk_mul_f16 v8, v8, v4
	s_delay_alu instid0(VALU_DEP_4)
	v_cndmask_b32_e32 v2, v6, v2, vcc_lo
	v_cmp_lt_f16_e32 vcc_lo, 0, v3
	v_dual_lshrrev_b32 v11, 16, v5 :: v_dual_lshrrev_b32 v12, 16, v4
	v_pk_mul_f16 v9, v9, v5
	v_dual_cndmask_b32 v3, v7, v3 :: v_dual_lshrrev_b32 v6, 16, v6
	v_cmp_lt_f16_e32 vcc_lo, 0, v4
	s_delay_alu instid0(VALU_DEP_3)
	v_dual_lshrrev_b32 v7, 16, v7 :: v_dual_lshrrev_b32 v13, 16, v9
	v_cndmask_b32_e32 v4, v8, v4, vcc_lo
	v_cmp_lt_f16_e32 vcc_lo, 0, v5
	v_dual_cndmask_b32 v5, v9, v5 :: v_dual_lshrrev_b32 v8, 16, v8
	v_cmp_lt_f16_e32 vcc_lo, 0, v1
	v_cndmask_b32_e32 v1, v7, v1, vcc_lo
	v_cmp_lt_f16_e32 vcc_lo, 0, v11
	v_cndmask_b32_e32 v7, v13, v11, vcc_lo
	v_cmp_lt_f16_e32 vcc_lo, 0, v12
	s_delay_alu instid0(VALU_DEP_4) | instskip(NEXT) | instid1(VALU_DEP_3)
	v_perm_b32 v3, v1, v3, 0x5040100
	v_perm_b32 v5, v7, v5, 0x5040100
	v_cndmask_b32_e32 v8, v8, v12, vcc_lo
	v_cmp_lt_f16_e32 vcc_lo, 0, v10
	v_cndmask_b32_e32 v6, v6, v10, vcc_lo
	s_delay_alu instid0(VALU_DEP_3) | instskip(NEXT) | instid1(VALU_DEP_2)
	v_perm_b32 v4, v8, v4, 0x5040100
	v_perm_b32 v2, v6, v2, 0x5040100
	global_store_b128 v0, v[2:5], s[10:11] scale_offset
.LBB50_2:
	s_and_not1_b32 vcc_lo, exec_lo, s0
	s_cbranch_vccnz .LBB50_27
; %bb.3:
	v_cmp_gt_i32_e32 vcc_lo, s1, v0
	s_wait_xcnt 0x0
	v_dual_mov_b32 v5, 0 :: v_dual_mov_b32 v1, 0
	v_dual_mov_b32 v6, 0 :: v_dual_bitop2_b32 v2, s2, v0 bitop3:0x54
	v_or_b32_e32 v4, 0x100, v0
	v_mov_b32_e32 v18, v0
	s_and_saveexec_b32 s0, vcc_lo
	s_cbranch_execz .LBB50_5
; %bb.4:
	s_clause 0x1
	global_load_u16 v6, v2, s[6:7] scale_offset
	global_load_u16 v5, v2, s[8:9] scale_offset
	v_or_b32_e32 v18, 0x100, v0
.LBB50_5:
	s_wait_xcnt 0x0
	s_or_b32 exec_lo, exec_lo, s0
	v_mov_b32_e32 v8, 0
	s_mov_b32 s3, exec_lo
	v_cmpx_gt_i32_e64 s1, v18
	s_cbranch_execz .LBB50_7
; %bb.6:
	v_add_nc_u32_e32 v3, s2, v18
	v_add_nc_u32_e32 v18, 0x100, v18
	s_clause 0x1
	global_load_u16 v1, v3, s[6:7] scale_offset
	global_load_u16 v8, v3, s[8:9] scale_offset
.LBB50_7:
	s_wait_xcnt 0x0
	s_or_b32 exec_lo, exec_lo, s3
	v_dual_mov_b32 v10, 0 :: v_dual_mov_b32 v3, 0
	v_mov_b32_e32 v9, 0
	s_mov_b32 s3, exec_lo
	v_cmpx_gt_i32_e64 s1, v18
	s_cbranch_execz .LBB50_9
; %bb.8:
	v_add_nc_u32_e32 v7, s2, v18
	v_add_nc_u32_e32 v18, 0x100, v18
	s_clause 0x1
	global_load_u16 v9, v7, s[6:7] scale_offset
	global_load_u16 v10, v7, s[8:9] scale_offset
.LBB50_9:
	s_wait_xcnt 0x0
	s_or_b32 exec_lo, exec_lo, s3
	v_mov_b32_e32 v12, 0
	s_mov_b32 s3, exec_lo
	v_cmpx_gt_i32_e64 s1, v18
	s_cbranch_execz .LBB50_11
; %bb.10:
	v_add_nc_u32_e32 v7, s2, v18
	v_add_nc_u32_e32 v18, 0x100, v18
	s_clause 0x1
	global_load_u16 v3, v7, s[6:7] scale_offset
	global_load_u16 v12, v7, s[8:9] scale_offset
.LBB50_11:
	s_wait_xcnt 0x0
	s_or_b32 exec_lo, exec_lo, s3
	v_dual_mov_b32 v14, 0 :: v_dual_mov_b32 v7, 0
	v_mov_b32_e32 v13, 0
	s_mov_b32 s3, exec_lo
	v_cmpx_gt_i32_e64 s1, v18
	s_cbranch_execz .LBB50_13
; %bb.12:
	v_add_nc_u32_e32 v11, s2, v18
	v_add_nc_u32_e32 v18, 0x100, v18
	s_clause 0x1
	global_load_u16 v13, v11, s[6:7] scale_offset
	global_load_u16 v14, v11, s[8:9] scale_offset
.LBB50_13:
	;; [unrolled: 27-line block ×3, first 2 shown]
	s_wait_xcnt 0x0
	s_or_b32 exec_lo, exec_lo, s3
	v_mov_b32_e32 v19, 0
	s_mov_b32 s3, exec_lo
	v_cmpx_gt_i32_e64 s1, v18
	s_cbranch_execnz .LBB50_28
; %bb.18:
	s_or_b32 exec_lo, exec_lo, s3
	s_and_saveexec_b32 s0, vcc_lo
	s_cbranch_execnz .LBB50_29
.LBB50_19:
	s_or_b32 exec_lo, exec_lo, s0
	s_delay_alu instid0(SALU_CYCLE_1)
	s_mov_b32 s0, exec_lo
	v_cmpx_gt_i32_e64 s1, v0
	s_cbranch_execnz .LBB50_30
.LBB50_20:
	s_or_b32 exec_lo, exec_lo, s0
	s_delay_alu instid0(SALU_CYCLE_1)
	s_mov_b32 s0, exec_lo
	v_cmpx_gt_i32_e64 s1, v0
	s_cbranch_execnz .LBB50_31
.LBB50_21:
	s_or_b32 exec_lo, exec_lo, s0
	s_delay_alu instid0(SALU_CYCLE_1)
	s_mov_b32 s0, exec_lo
	v_cmpx_gt_i32_e64 s1, v0
	s_cbranch_execnz .LBB50_32
.LBB50_22:
	s_or_b32 exec_lo, exec_lo, s0
	s_delay_alu instid0(SALU_CYCLE_1)
	s_mov_b32 s0, exec_lo
	v_cmpx_gt_i32_e64 s1, v0
	s_cbranch_execnz .LBB50_33
.LBB50_23:
	s_or_b32 exec_lo, exec_lo, s0
	s_delay_alu instid0(SALU_CYCLE_1)
	s_mov_b32 s0, exec_lo
	v_cmpx_gt_i32_e64 s1, v0
	s_cbranch_execnz .LBB50_34
.LBB50_24:
	s_or_b32 exec_lo, exec_lo, s0
	s_delay_alu instid0(SALU_CYCLE_1)
	s_mov_b32 s0, exec_lo
	v_cmpx_gt_i32_e64 s1, v0
	s_cbranch_execnz .LBB50_35
.LBB50_25:
	s_or_b32 exec_lo, exec_lo, s0
	s_delay_alu instid0(SALU_CYCLE_1)
	s_mov_b32 s0, exec_lo
	v_cmpx_gt_i32_e64 s1, v0
	s_cbranch_execz .LBB50_27
.LBB50_26:
	s_wait_loadcnt 0x0
	v_mul_f16_e32 v1, v19, v11
	v_cmp_lt_f16_e32 vcc_lo, 0, v11
	s_delay_alu instid0(VALU_DEP_2)
	v_dual_cndmask_b32 v1, v1, v11 :: v_dual_add_nc_u32 v0, s2, v0
	global_store_b16 v0, v1, s[4:5] scale_offset
.LBB50_27:
	s_endpgm
.LBB50_28:
	v_add_nc_u32_e32 v18, s2, v18
	s_clause 0x1
	global_load_u16 v11, v18, s[6:7] scale_offset
	global_load_u16 v19, v18, s[8:9] scale_offset
	s_wait_xcnt 0x0
	s_or_b32 exec_lo, exec_lo, s3
	s_and_saveexec_b32 s0, vcc_lo
	s_cbranch_execz .LBB50_19
.LBB50_29:
	s_wait_loadcnt 0x0
	v_mul_f16_e32 v0, v5, v6
	v_cmp_lt_f16_e32 vcc_lo, 0, v6
	s_delay_alu instid0(VALU_DEP_2) | instskip(SKIP_4) | instid1(SALU_CYCLE_1)
	v_cndmask_b32_e32 v5, v0, v6, vcc_lo
	v_mov_b32_e32 v0, v4
	global_store_b16 v2, v5, s[4:5] scale_offset
	s_wait_xcnt 0x0
	s_or_b32 exec_lo, exec_lo, s0
	s_mov_b32 s0, exec_lo
	v_cmpx_gt_i32_e64 s1, v0
	s_cbranch_execz .LBB50_20
.LBB50_30:
	s_wait_loadcnt 0x0
	v_mul_f16_e32 v2, v8, v1
	v_cmp_lt_f16_e32 vcc_lo, 0, v1
	s_delay_alu instid0(VALU_DEP_2) | instskip(SKIP_4) | instid1(SALU_CYCLE_1)
	v_dual_cndmask_b32 v1, v2, v1 :: v_dual_add_nc_u32 v2, s2, v0
	v_add_nc_u32_e32 v0, 0x100, v0
	global_store_b16 v2, v1, s[4:5] scale_offset
	s_wait_xcnt 0x0
	s_or_b32 exec_lo, exec_lo, s0
	s_mov_b32 s0, exec_lo
	v_cmpx_gt_i32_e64 s1, v0
	s_cbranch_execz .LBB50_21
.LBB50_31:
	s_wait_loadcnt 0x0
	v_mul_f16_e32 v1, v10, v9
	v_cmp_lt_f16_e32 vcc_lo, 0, v9
	v_add_nc_u32_e32 v2, s2, v0
	s_delay_alu instid0(VALU_DEP_3) | instskip(SKIP_3) | instid1(SALU_CYCLE_1)
	v_dual_cndmask_b32 v1, v1, v9 :: v_dual_add_nc_u32 v0, 0x100, v0
	global_store_b16 v2, v1, s[4:5] scale_offset
	s_wait_xcnt 0x0
	s_or_b32 exec_lo, exec_lo, s0
	s_mov_b32 s0, exec_lo
	v_cmpx_gt_i32_e64 s1, v0
	s_cbranch_execz .LBB50_22
.LBB50_32:
	s_wait_loadcnt 0x0
	v_mul_f16_e32 v1, v12, v3
	v_cmp_lt_f16_e32 vcc_lo, 0, v3
	v_add_nc_u32_e32 v2, s2, v0
	s_delay_alu instid0(VALU_DEP_3) | instskip(SKIP_3) | instid1(SALU_CYCLE_1)
	v_dual_cndmask_b32 v1, v1, v3 :: v_dual_add_nc_u32 v0, 0x100, v0
	global_store_b16 v2, v1, s[4:5] scale_offset
	s_wait_xcnt 0x0
	s_or_b32 exec_lo, exec_lo, s0
	s_mov_b32 s0, exec_lo
	v_cmpx_gt_i32_e64 s1, v0
	s_cbranch_execz .LBB50_23
.LBB50_33:
	s_wait_loadcnt 0x0
	v_mul_f16_e32 v1, v14, v13
	v_cmp_lt_f16_e32 vcc_lo, 0, v13
	v_add_nc_u32_e32 v2, s2, v0
	s_delay_alu instid0(VALU_DEP_3) | instskip(SKIP_3) | instid1(SALU_CYCLE_1)
	v_dual_cndmask_b32 v1, v1, v13 :: v_dual_add_nc_u32 v0, 0x100, v0
	global_store_b16 v2, v1, s[4:5] scale_offset
	s_wait_xcnt 0x0
	s_or_b32 exec_lo, exec_lo, s0
	s_mov_b32 s0, exec_lo
	v_cmpx_gt_i32_e64 s1, v0
	s_cbranch_execz .LBB50_24
.LBB50_34:
	s_wait_loadcnt 0x0
	v_mul_f16_e32 v1, v15, v7
	v_cmp_lt_f16_e32 vcc_lo, 0, v7
	v_add_nc_u32_e32 v2, s2, v0
	s_delay_alu instid0(VALU_DEP_3) | instskip(SKIP_3) | instid1(SALU_CYCLE_1)
	v_dual_cndmask_b32 v1, v1, v7 :: v_dual_add_nc_u32 v0, 0x100, v0
	global_store_b16 v2, v1, s[4:5] scale_offset
	s_wait_xcnt 0x0
	s_or_b32 exec_lo, exec_lo, s0
	s_mov_b32 s0, exec_lo
	v_cmpx_gt_i32_e64 s1, v0
	s_cbranch_execz .LBB50_25
.LBB50_35:
	s_wait_loadcnt 0x0
	v_mul_f16_e32 v1, v17, v16
	v_cmp_lt_f16_e32 vcc_lo, 0, v16
	v_add_nc_u32_e32 v2, s2, v0
	v_add_nc_u32_e32 v0, 0x100, v0
	s_delay_alu instid0(VALU_DEP_4) | instskip(SKIP_3) | instid1(SALU_CYCLE_1)
	v_cndmask_b32_e32 v1, v1, v16, vcc_lo
	global_store_b16 v2, v1, s[4:5] scale_offset
	s_wait_xcnt 0x0
	s_or_b32 exec_lo, exec_lo, s0
	s_mov_b32 s0, exec_lo
	v_cmpx_gt_i32_e64 s1, v0
	s_cbranch_execnz .LBB50_26
	s_branch .LBB50_27
	.section	.rodata,"a",@progbits
	.p2align	6, 0x0
	.amdhsa_kernel _ZN2at6native29vectorized_elementwise_kernelILi8EZZZNS0_12prelu_kernelERNS_14TensorIteratorEENKUlvE_clEvENKUlvE2_clEvEUlN3c104HalfES7_E_St5arrayIPcLm3EEEEviT0_T1_
		.amdhsa_group_segment_fixed_size 0
		.amdhsa_private_segment_fixed_size 0
		.amdhsa_kernarg_size 32
		.amdhsa_user_sgpr_count 2
		.amdhsa_user_sgpr_dispatch_ptr 0
		.amdhsa_user_sgpr_queue_ptr 0
		.amdhsa_user_sgpr_kernarg_segment_ptr 1
		.amdhsa_user_sgpr_dispatch_id 0
		.amdhsa_user_sgpr_kernarg_preload_length 0
		.amdhsa_user_sgpr_kernarg_preload_offset 0
		.amdhsa_user_sgpr_private_segment_size 0
		.amdhsa_wavefront_size32 1
		.amdhsa_uses_dynamic_stack 0
		.amdhsa_enable_private_segment 0
		.amdhsa_system_sgpr_workgroup_id_x 1
		.amdhsa_system_sgpr_workgroup_id_y 0
		.amdhsa_system_sgpr_workgroup_id_z 0
		.amdhsa_system_sgpr_workgroup_info 0
		.amdhsa_system_vgpr_workitem_id 0
		.amdhsa_next_free_vgpr 20
		.amdhsa_next_free_sgpr 16
		.amdhsa_named_barrier_count 0
		.amdhsa_reserve_vcc 1
		.amdhsa_float_round_mode_32 0
		.amdhsa_float_round_mode_16_64 0
		.amdhsa_float_denorm_mode_32 3
		.amdhsa_float_denorm_mode_16_64 3
		.amdhsa_fp16_overflow 0
		.amdhsa_memory_ordered 1
		.amdhsa_forward_progress 1
		.amdhsa_inst_pref_size 14
		.amdhsa_round_robin_scheduling 0
		.amdhsa_exception_fp_ieee_invalid_op 0
		.amdhsa_exception_fp_denorm_src 0
		.amdhsa_exception_fp_ieee_div_zero 0
		.amdhsa_exception_fp_ieee_overflow 0
		.amdhsa_exception_fp_ieee_underflow 0
		.amdhsa_exception_fp_ieee_inexact 0
		.amdhsa_exception_int_div_zero 0
	.end_amdhsa_kernel
	.section	.text._ZN2at6native29vectorized_elementwise_kernelILi8EZZZNS0_12prelu_kernelERNS_14TensorIteratorEENKUlvE_clEvENKUlvE2_clEvEUlN3c104HalfES7_E_St5arrayIPcLm3EEEEviT0_T1_,"axG",@progbits,_ZN2at6native29vectorized_elementwise_kernelILi8EZZZNS0_12prelu_kernelERNS_14TensorIteratorEENKUlvE_clEvENKUlvE2_clEvEUlN3c104HalfES7_E_St5arrayIPcLm3EEEEviT0_T1_,comdat
.Lfunc_end50:
	.size	_ZN2at6native29vectorized_elementwise_kernelILi8EZZZNS0_12prelu_kernelERNS_14TensorIteratorEENKUlvE_clEvENKUlvE2_clEvEUlN3c104HalfES7_E_St5arrayIPcLm3EEEEviT0_T1_, .Lfunc_end50-_ZN2at6native29vectorized_elementwise_kernelILi8EZZZNS0_12prelu_kernelERNS_14TensorIteratorEENKUlvE_clEvENKUlvE2_clEvEUlN3c104HalfES7_E_St5arrayIPcLm3EEEEviT0_T1_
                                        ; -- End function
	.set _ZN2at6native29vectorized_elementwise_kernelILi8EZZZNS0_12prelu_kernelERNS_14TensorIteratorEENKUlvE_clEvENKUlvE2_clEvEUlN3c104HalfES7_E_St5arrayIPcLm3EEEEviT0_T1_.num_vgpr, 20
	.set _ZN2at6native29vectorized_elementwise_kernelILi8EZZZNS0_12prelu_kernelERNS_14TensorIteratorEENKUlvE_clEvENKUlvE2_clEvEUlN3c104HalfES7_E_St5arrayIPcLm3EEEEviT0_T1_.num_agpr, 0
	.set _ZN2at6native29vectorized_elementwise_kernelILi8EZZZNS0_12prelu_kernelERNS_14TensorIteratorEENKUlvE_clEvENKUlvE2_clEvEUlN3c104HalfES7_E_St5arrayIPcLm3EEEEviT0_T1_.numbered_sgpr, 16
	.set _ZN2at6native29vectorized_elementwise_kernelILi8EZZZNS0_12prelu_kernelERNS_14TensorIteratorEENKUlvE_clEvENKUlvE2_clEvEUlN3c104HalfES7_E_St5arrayIPcLm3EEEEviT0_T1_.num_named_barrier, 0
	.set _ZN2at6native29vectorized_elementwise_kernelILi8EZZZNS0_12prelu_kernelERNS_14TensorIteratorEENKUlvE_clEvENKUlvE2_clEvEUlN3c104HalfES7_E_St5arrayIPcLm3EEEEviT0_T1_.private_seg_size, 0
	.set _ZN2at6native29vectorized_elementwise_kernelILi8EZZZNS0_12prelu_kernelERNS_14TensorIteratorEENKUlvE_clEvENKUlvE2_clEvEUlN3c104HalfES7_E_St5arrayIPcLm3EEEEviT0_T1_.uses_vcc, 1
	.set _ZN2at6native29vectorized_elementwise_kernelILi8EZZZNS0_12prelu_kernelERNS_14TensorIteratorEENKUlvE_clEvENKUlvE2_clEvEUlN3c104HalfES7_E_St5arrayIPcLm3EEEEviT0_T1_.uses_flat_scratch, 0
	.set _ZN2at6native29vectorized_elementwise_kernelILi8EZZZNS0_12prelu_kernelERNS_14TensorIteratorEENKUlvE_clEvENKUlvE2_clEvEUlN3c104HalfES7_E_St5arrayIPcLm3EEEEviT0_T1_.has_dyn_sized_stack, 0
	.set _ZN2at6native29vectorized_elementwise_kernelILi8EZZZNS0_12prelu_kernelERNS_14TensorIteratorEENKUlvE_clEvENKUlvE2_clEvEUlN3c104HalfES7_E_St5arrayIPcLm3EEEEviT0_T1_.has_recursion, 0
	.set _ZN2at6native29vectorized_elementwise_kernelILi8EZZZNS0_12prelu_kernelERNS_14TensorIteratorEENKUlvE_clEvENKUlvE2_clEvEUlN3c104HalfES7_E_St5arrayIPcLm3EEEEviT0_T1_.has_indirect_call, 0
	.section	.AMDGPU.csdata,"",@progbits
; Kernel info:
; codeLenInByte = 1684
; TotalNumSgprs: 18
; NumVgprs: 20
; ScratchSize: 0
; MemoryBound: 0
; FloatMode: 240
; IeeeMode: 1
; LDSByteSize: 0 bytes/workgroup (compile time only)
; SGPRBlocks: 0
; VGPRBlocks: 1
; NumSGPRsForWavesPerEU: 18
; NumVGPRsForWavesPerEU: 20
; NamedBarCnt: 0
; Occupancy: 16
; WaveLimiterHint : 0
; COMPUTE_PGM_RSRC2:SCRATCH_EN: 0
; COMPUTE_PGM_RSRC2:USER_SGPR: 2
; COMPUTE_PGM_RSRC2:TRAP_HANDLER: 0
; COMPUTE_PGM_RSRC2:TGID_X_EN: 1
; COMPUTE_PGM_RSRC2:TGID_Y_EN: 0
; COMPUTE_PGM_RSRC2:TGID_Z_EN: 0
; COMPUTE_PGM_RSRC2:TIDIG_COMP_CNT: 0
	.section	.text._ZN2at6native29vectorized_elementwise_kernelILi4EZZZNS0_12prelu_kernelERNS_14TensorIteratorEENKUlvE_clEvENKUlvE2_clEvEUlN3c104HalfES7_E_St5arrayIPcLm3EEEEviT0_T1_,"axG",@progbits,_ZN2at6native29vectorized_elementwise_kernelILi4EZZZNS0_12prelu_kernelERNS_14TensorIteratorEENKUlvE_clEvENKUlvE2_clEvEUlN3c104HalfES7_E_St5arrayIPcLm3EEEEviT0_T1_,comdat
	.globl	_ZN2at6native29vectorized_elementwise_kernelILi4EZZZNS0_12prelu_kernelERNS_14TensorIteratorEENKUlvE_clEvENKUlvE2_clEvEUlN3c104HalfES7_E_St5arrayIPcLm3EEEEviT0_T1_ ; -- Begin function _ZN2at6native29vectorized_elementwise_kernelILi4EZZZNS0_12prelu_kernelERNS_14TensorIteratorEENKUlvE_clEvENKUlvE2_clEvEUlN3c104HalfES7_E_St5arrayIPcLm3EEEEviT0_T1_
	.p2align	8
	.type	_ZN2at6native29vectorized_elementwise_kernelILi4EZZZNS0_12prelu_kernelERNS_14TensorIteratorEENKUlvE_clEvENKUlvE2_clEvEUlN3c104HalfES7_E_St5arrayIPcLm3EEEEviT0_T1_,@function
_ZN2at6native29vectorized_elementwise_kernelILi4EZZZNS0_12prelu_kernelERNS_14TensorIteratorEENKUlvE_clEvENKUlvE2_clEvEUlN3c104HalfES7_E_St5arrayIPcLm3EEEEviT0_T1_: ; @_ZN2at6native29vectorized_elementwise_kernelILi4EZZZNS0_12prelu_kernelERNS_14TensorIteratorEENKUlvE_clEvENKUlvE2_clEvEUlN3c104HalfES7_E_St5arrayIPcLm3EEEEviT0_T1_
; %bb.0:
	s_clause 0x2
	s_load_b32 s3, s[0:1], 0x0
	s_load_b128 s[4:7], s[0:1], 0x8
	s_load_b64 s[8:9], s[0:1], 0x18
	s_wait_xcnt 0x0
	s_bfe_u32 s0, ttmp6, 0x4000c
	s_and_b32 s1, ttmp6, 15
	s_add_co_i32 s0, s0, 1
	s_getreg_b32 s2, hwreg(HW_REG_IB_STS2, 6, 4)
	s_mul_i32 s0, ttmp9, s0
	s_delay_alu instid0(SALU_CYCLE_1) | instskip(SKIP_2) | instid1(SALU_CYCLE_1)
	s_add_co_i32 s1, s1, s0
	s_cmp_eq_u32 s2, 0
	s_cselect_b32 s0, ttmp9, s1
	s_lshl_b32 s2, s0, 11
	s_mov_b32 s0, -1
	s_wait_kmcnt 0x0
	s_sub_co_i32 s1, s3, s2
	s_delay_alu instid0(SALU_CYCLE_1)
	s_cmp_gt_i32 s1, 0x7ff
	s_cbranch_scc0 .LBB51_2
; %bb.1:
	s_ashr_i32 s3, s2, 31
	s_mov_b32 s0, 0
	s_lshl_b64 s[10:11], s[2:3], 1
	s_delay_alu instid0(SALU_CYCLE_1)
	s_add_nc_u64 s[12:13], s[6:7], s[10:11]
	s_add_nc_u64 s[14:15], s[8:9], s[10:11]
	s_clause 0x3
	global_load_b64 v[2:3], v0, s[12:13] scale_offset
	global_load_b64 v[4:5], v0, s[12:13] offset:2048 scale_offset
	global_load_b64 v[6:7], v0, s[14:15] scale_offset
	global_load_b64 v[8:9], v0, s[14:15] offset:2048 scale_offset
	s_add_nc_u64 s[10:11], s[4:5], s[10:11]
	s_wait_loadcnt 0x2
	v_dual_lshrrev_b32 v11, 16, v4 :: v_dual_lshrrev_b32 v12, 16, v5
	s_wait_loadcnt 0x1
	v_dual_lshrrev_b32 v13, 16, v6 :: v_dual_lshrrev_b32 v14, 16, v7
	v_mul_f16_e32 v6, v2, v6
	v_cmp_lt_f16_e32 vcc_lo, 0, v2
	v_dual_lshrrev_b32 v1, 16, v2 :: v_dual_lshrrev_b32 v10, 16, v3
	v_mul_f16_e32 v7, v3, v7
	s_wait_loadcnt 0x0
	v_dual_lshrrev_b32 v15, 16, v8 :: v_dual_lshrrev_b32 v16, 16, v9
	v_cndmask_b32_e32 v2, v6, v2, vcc_lo
	v_cmp_lt_f16_e32 vcc_lo, 0, v3
	v_mul_f16_e32 v8, v4, v8
	v_mul_f16_e32 v9, v5, v9
	;; [unrolled: 1-line block ×3, first 2 shown]
	v_cndmask_b32_e32 v3, v7, v3, vcc_lo
	v_cmp_lt_f16_e32 vcc_lo, 0, v4
	v_mul_f16_e32 v7, v10, v14
	v_and_b32_e32 v2, 0xffff, v2
	s_delay_alu instid0(VALU_DEP_4)
	v_and_b32_e32 v3, 0xffff, v3
	v_cndmask_b32_e32 v4, v8, v4, vcc_lo
	v_cmp_lt_f16_e32 vcc_lo, 0, v5
	v_mul_f16_e32 v8, v11, v15
	v_cndmask_b32_e32 v5, v9, v5, vcc_lo
	v_cmp_lt_f16_e32 vcc_lo, 0, v1
	v_mul_f16_e32 v9, v12, v16
	v_and_b32_e32 v4, 0xffff, v4
	s_delay_alu instid0(VALU_DEP_4)
	v_and_b32_e32 v5, 0xffff, v5
	v_cndmask_b32_e32 v1, v6, v1, vcc_lo
	v_cmp_lt_f16_e32 vcc_lo, 0, v10
	v_cndmask_b32_e32 v6, v7, v10, vcc_lo
	v_cmp_lt_f16_e32 vcc_lo, 0, v11
	;; [unrolled: 2-line block ×3, first 2 shown]
	v_dual_cndmask_b32 v8, v9, v12 :: v_dual_lshlrev_b32 v1, 16, v1
	s_delay_alu instid0(VALU_DEP_3) | instskip(NEXT) | instid1(VALU_DEP_2)
	v_dual_lshlrev_b32 v7, 16, v7 :: v_dual_lshlrev_b32 v6, 16, v6
	v_dual_lshlrev_b32 v8, 16, v8 :: v_dual_bitop2_b32 v1, v1, v2 bitop3:0x54
	s_delay_alu instid0(VALU_DEP_2) | instskip(NEXT) | instid1(VALU_DEP_3)
	v_or_b32_e32 v4, v7, v4
	v_or3_b32 v3, 0, v3, v6
	s_delay_alu instid0(VALU_DEP_3) | instskip(NEXT) | instid1(VALU_DEP_4)
	v_or3_b32 v5, 0, v5, v8
	v_or3_b32 v2, v1, 0, 0
	s_delay_alu instid0(VALU_DEP_4)
	v_or3_b32 v4, v4, 0, 0
	s_clause 0x1
	global_store_b64 v0, v[2:3], s[10:11] scale_offset
	global_store_b64 v0, v[4:5], s[10:11] offset:2048 scale_offset
.LBB51_2:
	s_and_not1_b32 vcc_lo, exec_lo, s0
	s_cbranch_vccnz .LBB51_27
; %bb.3:
	v_cmp_gt_i32_e32 vcc_lo, s1, v0
	s_wait_xcnt 0x0
	v_dual_mov_b32 v5, 0 :: v_dual_mov_b32 v1, 0
	v_dual_mov_b32 v6, 0 :: v_dual_bitop2_b32 v2, s2, v0 bitop3:0x54
	v_or_b32_e32 v4, 0x100, v0
	v_mov_b32_e32 v18, v0
	s_and_saveexec_b32 s0, vcc_lo
	s_cbranch_execz .LBB51_5
; %bb.4:
	s_clause 0x1
	global_load_u16 v6, v2, s[6:7] scale_offset
	global_load_u16 v5, v2, s[8:9] scale_offset
	v_or_b32_e32 v18, 0x100, v0
.LBB51_5:
	s_wait_xcnt 0x0
	s_or_b32 exec_lo, exec_lo, s0
	v_mov_b32_e32 v8, 0
	s_mov_b32 s3, exec_lo
	v_cmpx_gt_i32_e64 s1, v18
	s_cbranch_execz .LBB51_7
; %bb.6:
	v_add_nc_u32_e32 v3, s2, v18
	v_add_nc_u32_e32 v18, 0x100, v18
	s_clause 0x1
	global_load_u16 v1, v3, s[6:7] scale_offset
	global_load_u16 v8, v3, s[8:9] scale_offset
.LBB51_7:
	s_wait_xcnt 0x0
	s_or_b32 exec_lo, exec_lo, s3
	v_dual_mov_b32 v10, 0 :: v_dual_mov_b32 v3, 0
	v_mov_b32_e32 v9, 0
	s_mov_b32 s3, exec_lo
	v_cmpx_gt_i32_e64 s1, v18
	s_cbranch_execz .LBB51_9
; %bb.8:
	v_add_nc_u32_e32 v7, s2, v18
	v_add_nc_u32_e32 v18, 0x100, v18
	s_clause 0x1
	global_load_u16 v9, v7, s[6:7] scale_offset
	global_load_u16 v10, v7, s[8:9] scale_offset
.LBB51_9:
	s_wait_xcnt 0x0
	s_or_b32 exec_lo, exec_lo, s3
	v_mov_b32_e32 v12, 0
	s_mov_b32 s3, exec_lo
	v_cmpx_gt_i32_e64 s1, v18
	s_cbranch_execz .LBB51_11
; %bb.10:
	v_add_nc_u32_e32 v7, s2, v18
	v_add_nc_u32_e32 v18, 0x100, v18
	s_clause 0x1
	global_load_u16 v3, v7, s[6:7] scale_offset
	global_load_u16 v12, v7, s[8:9] scale_offset
.LBB51_11:
	s_wait_xcnt 0x0
	s_or_b32 exec_lo, exec_lo, s3
	v_dual_mov_b32 v14, 0 :: v_dual_mov_b32 v7, 0
	v_mov_b32_e32 v13, 0
	s_mov_b32 s3, exec_lo
	v_cmpx_gt_i32_e64 s1, v18
	s_cbranch_execz .LBB51_13
; %bb.12:
	v_add_nc_u32_e32 v11, s2, v18
	v_add_nc_u32_e32 v18, 0x100, v18
	s_clause 0x1
	global_load_u16 v13, v11, s[6:7] scale_offset
	global_load_u16 v14, v11, s[8:9] scale_offset
.LBB51_13:
	;; [unrolled: 27-line block ×3, first 2 shown]
	s_wait_xcnt 0x0
	s_or_b32 exec_lo, exec_lo, s3
	v_mov_b32_e32 v19, 0
	s_mov_b32 s3, exec_lo
	v_cmpx_gt_i32_e64 s1, v18
	s_cbranch_execnz .LBB51_28
; %bb.18:
	s_or_b32 exec_lo, exec_lo, s3
	s_and_saveexec_b32 s0, vcc_lo
	s_cbranch_execnz .LBB51_29
.LBB51_19:
	s_or_b32 exec_lo, exec_lo, s0
	s_delay_alu instid0(SALU_CYCLE_1)
	s_mov_b32 s0, exec_lo
	v_cmpx_gt_i32_e64 s1, v0
	s_cbranch_execnz .LBB51_30
.LBB51_20:
	s_or_b32 exec_lo, exec_lo, s0
	s_delay_alu instid0(SALU_CYCLE_1)
	s_mov_b32 s0, exec_lo
	v_cmpx_gt_i32_e64 s1, v0
	s_cbranch_execnz .LBB51_31
.LBB51_21:
	s_or_b32 exec_lo, exec_lo, s0
	s_delay_alu instid0(SALU_CYCLE_1)
	s_mov_b32 s0, exec_lo
	v_cmpx_gt_i32_e64 s1, v0
	s_cbranch_execnz .LBB51_32
.LBB51_22:
	s_or_b32 exec_lo, exec_lo, s0
	s_delay_alu instid0(SALU_CYCLE_1)
	s_mov_b32 s0, exec_lo
	v_cmpx_gt_i32_e64 s1, v0
	s_cbranch_execnz .LBB51_33
.LBB51_23:
	s_or_b32 exec_lo, exec_lo, s0
	s_delay_alu instid0(SALU_CYCLE_1)
	s_mov_b32 s0, exec_lo
	v_cmpx_gt_i32_e64 s1, v0
	s_cbranch_execnz .LBB51_34
.LBB51_24:
	s_or_b32 exec_lo, exec_lo, s0
	s_delay_alu instid0(SALU_CYCLE_1)
	s_mov_b32 s0, exec_lo
	v_cmpx_gt_i32_e64 s1, v0
	s_cbranch_execnz .LBB51_35
.LBB51_25:
	s_or_b32 exec_lo, exec_lo, s0
	s_delay_alu instid0(SALU_CYCLE_1)
	s_mov_b32 s0, exec_lo
	v_cmpx_gt_i32_e64 s1, v0
	s_cbranch_execz .LBB51_27
.LBB51_26:
	s_wait_loadcnt 0x0
	v_mul_f16_e32 v1, v19, v11
	v_cmp_lt_f16_e32 vcc_lo, 0, v11
	s_delay_alu instid0(VALU_DEP_2)
	v_dual_cndmask_b32 v1, v1, v11 :: v_dual_add_nc_u32 v0, s2, v0
	global_store_b16 v0, v1, s[4:5] scale_offset
.LBB51_27:
	s_endpgm
.LBB51_28:
	v_add_nc_u32_e32 v18, s2, v18
	s_clause 0x1
	global_load_u16 v11, v18, s[6:7] scale_offset
	global_load_u16 v19, v18, s[8:9] scale_offset
	s_wait_xcnt 0x0
	s_or_b32 exec_lo, exec_lo, s3
	s_and_saveexec_b32 s0, vcc_lo
	s_cbranch_execz .LBB51_19
.LBB51_29:
	s_wait_loadcnt 0x0
	v_mul_f16_e32 v0, v5, v6
	v_cmp_lt_f16_e32 vcc_lo, 0, v6
	s_delay_alu instid0(VALU_DEP_2) | instskip(SKIP_4) | instid1(SALU_CYCLE_1)
	v_cndmask_b32_e32 v5, v0, v6, vcc_lo
	v_mov_b32_e32 v0, v4
	global_store_b16 v2, v5, s[4:5] scale_offset
	s_wait_xcnt 0x0
	s_or_b32 exec_lo, exec_lo, s0
	s_mov_b32 s0, exec_lo
	v_cmpx_gt_i32_e64 s1, v0
	s_cbranch_execz .LBB51_20
.LBB51_30:
	s_wait_loadcnt 0x0
	v_mul_f16_e32 v2, v8, v1
	v_cmp_lt_f16_e32 vcc_lo, 0, v1
	s_delay_alu instid0(VALU_DEP_2) | instskip(SKIP_4) | instid1(SALU_CYCLE_1)
	v_dual_cndmask_b32 v1, v2, v1 :: v_dual_add_nc_u32 v2, s2, v0
	v_add_nc_u32_e32 v0, 0x100, v0
	global_store_b16 v2, v1, s[4:5] scale_offset
	s_wait_xcnt 0x0
	s_or_b32 exec_lo, exec_lo, s0
	s_mov_b32 s0, exec_lo
	v_cmpx_gt_i32_e64 s1, v0
	s_cbranch_execz .LBB51_21
.LBB51_31:
	s_wait_loadcnt 0x0
	v_mul_f16_e32 v1, v10, v9
	v_cmp_lt_f16_e32 vcc_lo, 0, v9
	v_add_nc_u32_e32 v2, s2, v0
	s_delay_alu instid0(VALU_DEP_3) | instskip(SKIP_3) | instid1(SALU_CYCLE_1)
	v_dual_cndmask_b32 v1, v1, v9 :: v_dual_add_nc_u32 v0, 0x100, v0
	global_store_b16 v2, v1, s[4:5] scale_offset
	s_wait_xcnt 0x0
	s_or_b32 exec_lo, exec_lo, s0
	s_mov_b32 s0, exec_lo
	v_cmpx_gt_i32_e64 s1, v0
	s_cbranch_execz .LBB51_22
.LBB51_32:
	s_wait_loadcnt 0x0
	v_mul_f16_e32 v1, v12, v3
	v_cmp_lt_f16_e32 vcc_lo, 0, v3
	v_add_nc_u32_e32 v2, s2, v0
	s_delay_alu instid0(VALU_DEP_3) | instskip(SKIP_3) | instid1(SALU_CYCLE_1)
	v_dual_cndmask_b32 v1, v1, v3 :: v_dual_add_nc_u32 v0, 0x100, v0
	global_store_b16 v2, v1, s[4:5] scale_offset
	s_wait_xcnt 0x0
	s_or_b32 exec_lo, exec_lo, s0
	s_mov_b32 s0, exec_lo
	v_cmpx_gt_i32_e64 s1, v0
	s_cbranch_execz .LBB51_23
.LBB51_33:
	s_wait_loadcnt 0x0
	v_mul_f16_e32 v1, v14, v13
	v_cmp_lt_f16_e32 vcc_lo, 0, v13
	v_add_nc_u32_e32 v2, s2, v0
	s_delay_alu instid0(VALU_DEP_3) | instskip(SKIP_3) | instid1(SALU_CYCLE_1)
	v_dual_cndmask_b32 v1, v1, v13 :: v_dual_add_nc_u32 v0, 0x100, v0
	global_store_b16 v2, v1, s[4:5] scale_offset
	s_wait_xcnt 0x0
	s_or_b32 exec_lo, exec_lo, s0
	s_mov_b32 s0, exec_lo
	v_cmpx_gt_i32_e64 s1, v0
	s_cbranch_execz .LBB51_24
.LBB51_34:
	s_wait_loadcnt 0x0
	v_mul_f16_e32 v1, v15, v7
	v_cmp_lt_f16_e32 vcc_lo, 0, v7
	v_add_nc_u32_e32 v2, s2, v0
	s_delay_alu instid0(VALU_DEP_3) | instskip(SKIP_3) | instid1(SALU_CYCLE_1)
	v_dual_cndmask_b32 v1, v1, v7 :: v_dual_add_nc_u32 v0, 0x100, v0
	global_store_b16 v2, v1, s[4:5] scale_offset
	s_wait_xcnt 0x0
	s_or_b32 exec_lo, exec_lo, s0
	s_mov_b32 s0, exec_lo
	v_cmpx_gt_i32_e64 s1, v0
	s_cbranch_execz .LBB51_25
.LBB51_35:
	s_wait_loadcnt 0x0
	v_mul_f16_e32 v1, v17, v16
	v_cmp_lt_f16_e32 vcc_lo, 0, v16
	v_add_nc_u32_e32 v2, s2, v0
	v_add_nc_u32_e32 v0, 0x100, v0
	s_delay_alu instid0(VALU_DEP_4) | instskip(SKIP_3) | instid1(SALU_CYCLE_1)
	v_cndmask_b32_e32 v1, v1, v16, vcc_lo
	global_store_b16 v2, v1, s[4:5] scale_offset
	s_wait_xcnt 0x0
	s_or_b32 exec_lo, exec_lo, s0
	s_mov_b32 s0, exec_lo
	v_cmpx_gt_i32_e64 s1, v0
	s_cbranch_execnz .LBB51_26
	s_branch .LBB51_27
	.section	.rodata,"a",@progbits
	.p2align	6, 0x0
	.amdhsa_kernel _ZN2at6native29vectorized_elementwise_kernelILi4EZZZNS0_12prelu_kernelERNS_14TensorIteratorEENKUlvE_clEvENKUlvE2_clEvEUlN3c104HalfES7_E_St5arrayIPcLm3EEEEviT0_T1_
		.amdhsa_group_segment_fixed_size 0
		.amdhsa_private_segment_fixed_size 0
		.amdhsa_kernarg_size 32
		.amdhsa_user_sgpr_count 2
		.amdhsa_user_sgpr_dispatch_ptr 0
		.amdhsa_user_sgpr_queue_ptr 0
		.amdhsa_user_sgpr_kernarg_segment_ptr 1
		.amdhsa_user_sgpr_dispatch_id 0
		.amdhsa_user_sgpr_kernarg_preload_length 0
		.amdhsa_user_sgpr_kernarg_preload_offset 0
		.amdhsa_user_sgpr_private_segment_size 0
		.amdhsa_wavefront_size32 1
		.amdhsa_uses_dynamic_stack 0
		.amdhsa_enable_private_segment 0
		.amdhsa_system_sgpr_workgroup_id_x 1
		.amdhsa_system_sgpr_workgroup_id_y 0
		.amdhsa_system_sgpr_workgroup_id_z 0
		.amdhsa_system_sgpr_workgroup_info 0
		.amdhsa_system_vgpr_workitem_id 0
		.amdhsa_next_free_vgpr 20
		.amdhsa_next_free_sgpr 16
		.amdhsa_named_barrier_count 0
		.amdhsa_reserve_vcc 1
		.amdhsa_float_round_mode_32 0
		.amdhsa_float_round_mode_16_64 0
		.amdhsa_float_denorm_mode_32 3
		.amdhsa_float_denorm_mode_16_64 3
		.amdhsa_fp16_overflow 0
		.amdhsa_memory_ordered 1
		.amdhsa_forward_progress 1
		.amdhsa_inst_pref_size 14
		.amdhsa_round_robin_scheduling 0
		.amdhsa_exception_fp_ieee_invalid_op 0
		.amdhsa_exception_fp_denorm_src 0
		.amdhsa_exception_fp_ieee_div_zero 0
		.amdhsa_exception_fp_ieee_overflow 0
		.amdhsa_exception_fp_ieee_underflow 0
		.amdhsa_exception_fp_ieee_inexact 0
		.amdhsa_exception_int_div_zero 0
	.end_amdhsa_kernel
	.section	.text._ZN2at6native29vectorized_elementwise_kernelILi4EZZZNS0_12prelu_kernelERNS_14TensorIteratorEENKUlvE_clEvENKUlvE2_clEvEUlN3c104HalfES7_E_St5arrayIPcLm3EEEEviT0_T1_,"axG",@progbits,_ZN2at6native29vectorized_elementwise_kernelILi4EZZZNS0_12prelu_kernelERNS_14TensorIteratorEENKUlvE_clEvENKUlvE2_clEvEUlN3c104HalfES7_E_St5arrayIPcLm3EEEEviT0_T1_,comdat
.Lfunc_end51:
	.size	_ZN2at6native29vectorized_elementwise_kernelILi4EZZZNS0_12prelu_kernelERNS_14TensorIteratorEENKUlvE_clEvENKUlvE2_clEvEUlN3c104HalfES7_E_St5arrayIPcLm3EEEEviT0_T1_, .Lfunc_end51-_ZN2at6native29vectorized_elementwise_kernelILi4EZZZNS0_12prelu_kernelERNS_14TensorIteratorEENKUlvE_clEvENKUlvE2_clEvEUlN3c104HalfES7_E_St5arrayIPcLm3EEEEviT0_T1_
                                        ; -- End function
	.set _ZN2at6native29vectorized_elementwise_kernelILi4EZZZNS0_12prelu_kernelERNS_14TensorIteratorEENKUlvE_clEvENKUlvE2_clEvEUlN3c104HalfES7_E_St5arrayIPcLm3EEEEviT0_T1_.num_vgpr, 20
	.set _ZN2at6native29vectorized_elementwise_kernelILi4EZZZNS0_12prelu_kernelERNS_14TensorIteratorEENKUlvE_clEvENKUlvE2_clEvEUlN3c104HalfES7_E_St5arrayIPcLm3EEEEviT0_T1_.num_agpr, 0
	.set _ZN2at6native29vectorized_elementwise_kernelILi4EZZZNS0_12prelu_kernelERNS_14TensorIteratorEENKUlvE_clEvENKUlvE2_clEvEUlN3c104HalfES7_E_St5arrayIPcLm3EEEEviT0_T1_.numbered_sgpr, 16
	.set _ZN2at6native29vectorized_elementwise_kernelILi4EZZZNS0_12prelu_kernelERNS_14TensorIteratorEENKUlvE_clEvENKUlvE2_clEvEUlN3c104HalfES7_E_St5arrayIPcLm3EEEEviT0_T1_.num_named_barrier, 0
	.set _ZN2at6native29vectorized_elementwise_kernelILi4EZZZNS0_12prelu_kernelERNS_14TensorIteratorEENKUlvE_clEvENKUlvE2_clEvEUlN3c104HalfES7_E_St5arrayIPcLm3EEEEviT0_T1_.private_seg_size, 0
	.set _ZN2at6native29vectorized_elementwise_kernelILi4EZZZNS0_12prelu_kernelERNS_14TensorIteratorEENKUlvE_clEvENKUlvE2_clEvEUlN3c104HalfES7_E_St5arrayIPcLm3EEEEviT0_T1_.uses_vcc, 1
	.set _ZN2at6native29vectorized_elementwise_kernelILi4EZZZNS0_12prelu_kernelERNS_14TensorIteratorEENKUlvE_clEvENKUlvE2_clEvEUlN3c104HalfES7_E_St5arrayIPcLm3EEEEviT0_T1_.uses_flat_scratch, 0
	.set _ZN2at6native29vectorized_elementwise_kernelILi4EZZZNS0_12prelu_kernelERNS_14TensorIteratorEENKUlvE_clEvENKUlvE2_clEvEUlN3c104HalfES7_E_St5arrayIPcLm3EEEEviT0_T1_.has_dyn_sized_stack, 0
	.set _ZN2at6native29vectorized_elementwise_kernelILi4EZZZNS0_12prelu_kernelERNS_14TensorIteratorEENKUlvE_clEvENKUlvE2_clEvEUlN3c104HalfES7_E_St5arrayIPcLm3EEEEviT0_T1_.has_recursion, 0
	.set _ZN2at6native29vectorized_elementwise_kernelILi4EZZZNS0_12prelu_kernelERNS_14TensorIteratorEENKUlvE_clEvENKUlvE2_clEvEUlN3c104HalfES7_E_St5arrayIPcLm3EEEEviT0_T1_.has_indirect_call, 0
	.section	.AMDGPU.csdata,"",@progbits
; Kernel info:
; codeLenInByte = 1788
; TotalNumSgprs: 18
; NumVgprs: 20
; ScratchSize: 0
; MemoryBound: 0
; FloatMode: 240
; IeeeMode: 1
; LDSByteSize: 0 bytes/workgroup (compile time only)
; SGPRBlocks: 0
; VGPRBlocks: 1
; NumSGPRsForWavesPerEU: 18
; NumVGPRsForWavesPerEU: 20
; NamedBarCnt: 0
; Occupancy: 16
; WaveLimiterHint : 1
; COMPUTE_PGM_RSRC2:SCRATCH_EN: 0
; COMPUTE_PGM_RSRC2:USER_SGPR: 2
; COMPUTE_PGM_RSRC2:TRAP_HANDLER: 0
; COMPUTE_PGM_RSRC2:TGID_X_EN: 1
; COMPUTE_PGM_RSRC2:TGID_Y_EN: 0
; COMPUTE_PGM_RSRC2:TGID_Z_EN: 0
; COMPUTE_PGM_RSRC2:TIDIG_COMP_CNT: 0
	.section	.text._ZN2at6native29vectorized_elementwise_kernelILi2EZZZNS0_12prelu_kernelERNS_14TensorIteratorEENKUlvE_clEvENKUlvE2_clEvEUlN3c104HalfES7_E_St5arrayIPcLm3EEEEviT0_T1_,"axG",@progbits,_ZN2at6native29vectorized_elementwise_kernelILi2EZZZNS0_12prelu_kernelERNS_14TensorIteratorEENKUlvE_clEvENKUlvE2_clEvEUlN3c104HalfES7_E_St5arrayIPcLm3EEEEviT0_T1_,comdat
	.globl	_ZN2at6native29vectorized_elementwise_kernelILi2EZZZNS0_12prelu_kernelERNS_14TensorIteratorEENKUlvE_clEvENKUlvE2_clEvEUlN3c104HalfES7_E_St5arrayIPcLm3EEEEviT0_T1_ ; -- Begin function _ZN2at6native29vectorized_elementwise_kernelILi2EZZZNS0_12prelu_kernelERNS_14TensorIteratorEENKUlvE_clEvENKUlvE2_clEvEUlN3c104HalfES7_E_St5arrayIPcLm3EEEEviT0_T1_
	.p2align	8
	.type	_ZN2at6native29vectorized_elementwise_kernelILi2EZZZNS0_12prelu_kernelERNS_14TensorIteratorEENKUlvE_clEvENKUlvE2_clEvEUlN3c104HalfES7_E_St5arrayIPcLm3EEEEviT0_T1_,@function
_ZN2at6native29vectorized_elementwise_kernelILi2EZZZNS0_12prelu_kernelERNS_14TensorIteratorEENKUlvE_clEvENKUlvE2_clEvEUlN3c104HalfES7_E_St5arrayIPcLm3EEEEviT0_T1_: ; @_ZN2at6native29vectorized_elementwise_kernelILi2EZZZNS0_12prelu_kernelERNS_14TensorIteratorEENKUlvE_clEvENKUlvE2_clEvEUlN3c104HalfES7_E_St5arrayIPcLm3EEEEviT0_T1_
; %bb.0:
	s_clause 0x2
	s_load_b32 s3, s[0:1], 0x0
	s_load_b128 s[4:7], s[0:1], 0x8
	s_load_b64 s[8:9], s[0:1], 0x18
	s_wait_xcnt 0x0
	s_bfe_u32 s0, ttmp6, 0x4000c
	s_and_b32 s1, ttmp6, 15
	s_add_co_i32 s0, s0, 1
	s_getreg_b32 s2, hwreg(HW_REG_IB_STS2, 6, 4)
	s_mul_i32 s0, ttmp9, s0
	s_delay_alu instid0(SALU_CYCLE_1) | instskip(SKIP_2) | instid1(SALU_CYCLE_1)
	s_add_co_i32 s1, s1, s0
	s_cmp_eq_u32 s2, 0
	s_cselect_b32 s0, ttmp9, s1
	s_lshl_b32 s2, s0, 11
	s_mov_b32 s0, -1
	s_wait_kmcnt 0x0
	s_sub_co_i32 s1, s3, s2
	s_delay_alu instid0(SALU_CYCLE_1)
	s_cmp_gt_i32 s1, 0x7ff
	s_cbranch_scc0 .LBB52_2
; %bb.1:
	s_ashr_i32 s3, s2, 31
	s_mov_b32 s0, 0
	s_lshl_b64 s[10:11], s[2:3], 1
	s_delay_alu instid0(SALU_CYCLE_1)
	s_add_nc_u64 s[12:13], s[6:7], s[10:11]
	s_add_nc_u64 s[14:15], s[8:9], s[10:11]
	s_clause 0x7
	global_load_b32 v1, v0, s[12:13] scale_offset
	global_load_b32 v2, v0, s[12:13] offset:1024 scale_offset
	global_load_b32 v3, v0, s[12:13] offset:2048 scale_offset
	;; [unrolled: 1-line block ×3, first 2 shown]
	global_load_b32 v5, v0, s[14:15] scale_offset
	global_load_b32 v6, v0, s[14:15] offset:1024 scale_offset
	global_load_b32 v7, v0, s[14:15] offset:2048 scale_offset
	;; [unrolled: 1-line block ×3, first 2 shown]
	s_add_nc_u64 s[10:11], s[4:5], s[10:11]
	s_wait_loadcnt 0x7
	v_cmp_lt_f16_e32 vcc_lo, 0, v1
	s_wait_loadcnt 0x6
	v_dual_lshrrev_b32 v9, 16, v1 :: v_dual_lshrrev_b32 v10, 16, v2
	s_wait_loadcnt 0x4
	v_dual_lshrrev_b32 v11, 16, v3 :: v_dual_lshrrev_b32 v12, 16, v4
	;; [unrolled: 2-line block ×3, first 2 shown]
	v_mul_f16_e32 v5, v1, v5
	v_mul_f16_e32 v6, v2, v6
	s_wait_loadcnt 0x0
	v_dual_lshrrev_b32 v15, 16, v7 :: v_dual_lshrrev_b32 v16, 16, v8
	v_mul_f16_e32 v7, v3, v7
	v_cndmask_b32_e32 v1, v5, v1, vcc_lo
	v_cmp_lt_f16_e32 vcc_lo, 0, v2
	v_mul_f16_e32 v8, v4, v8
	v_mul_f16_e32 v5, v9, v13
	v_cndmask_b32_e32 v2, v6, v2, vcc_lo
	v_cmp_lt_f16_e32 vcc_lo, 0, v3
	v_mul_f16_e32 v6, v10, v14
	v_and_b32_e32 v1, 0xffff, v1
	s_delay_alu instid0(VALU_DEP_4)
	v_and_b32_e32 v2, 0xffff, v2
	v_cndmask_b32_e32 v3, v7, v3, vcc_lo
	v_cmp_lt_f16_e32 vcc_lo, 0, v4
	v_mul_f16_e32 v7, v11, v15
	v_cndmask_b32_e32 v4, v8, v4, vcc_lo
	v_cmp_lt_f16_e32 vcc_lo, 0, v9
	v_mul_f16_e32 v8, v12, v16
	v_and_b32_e32 v3, 0xffff, v3
	s_delay_alu instid0(VALU_DEP_4) | instskip(SKIP_4) | instid1(VALU_DEP_2)
	v_and_b32_e32 v4, 0xffff, v4
	v_cndmask_b32_e32 v5, v5, v9, vcc_lo
	v_cmp_lt_f16_e32 vcc_lo, 0, v10
	v_cndmask_b32_e32 v6, v6, v10, vcc_lo
	v_cmp_lt_f16_e32 vcc_lo, 0, v11
	v_dual_lshlrev_b32 v5, 16, v5 :: v_dual_lshlrev_b32 v6, 16, v6
	v_cndmask_b32_e32 v7, v7, v11, vcc_lo
	v_cmp_lt_f16_e32 vcc_lo, 0, v12
	s_delay_alu instid0(VALU_DEP_3) | instskip(NEXT) | instid1(VALU_DEP_4)
	v_or_b32_e32 v1, v5, v1
	v_dual_cndmask_b32 v8, v8, v12, vcc_lo :: v_dual_bitop2_b32 v2, v6, v2 bitop3:0x54
	s_delay_alu instid0(VALU_DEP_1) | instskip(NEXT) | instid1(VALU_DEP_1)
	v_dual_lshlrev_b32 v7, 16, v7 :: v_dual_lshlrev_b32 v8, 16, v8
	v_or_b32_e32 v3, v7, v3
	s_delay_alu instid0(VALU_DEP_2)
	v_or_b32_e32 v4, v8, v4
	s_clause 0x3
	global_store_b32 v0, v1, s[10:11] scale_offset
	global_store_b32 v0, v2, s[10:11] offset:1024 scale_offset
	global_store_b32 v0, v3, s[10:11] offset:2048 scale_offset
	global_store_b32 v0, v4, s[10:11] offset:3072 scale_offset
.LBB52_2:
	s_and_not1_b32 vcc_lo, exec_lo, s0
	s_cbranch_vccnz .LBB52_27
; %bb.3:
	v_cmp_gt_i32_e32 vcc_lo, s1, v0
	s_wait_xcnt 0x3
	v_dual_mov_b32 v5, 0 :: v_dual_mov_b32 v1, 0
	s_wait_xcnt 0x2
	v_dual_mov_b32 v6, 0 :: v_dual_bitop2_b32 v2, s2, v0 bitop3:0x54
	s_wait_xcnt 0x0
	v_or_b32_e32 v4, 0x100, v0
	v_mov_b32_e32 v18, v0
	s_and_saveexec_b32 s0, vcc_lo
	s_cbranch_execz .LBB52_5
; %bb.4:
	s_clause 0x1
	global_load_u16 v6, v2, s[6:7] scale_offset
	global_load_u16 v5, v2, s[8:9] scale_offset
	v_or_b32_e32 v18, 0x100, v0
.LBB52_5:
	s_wait_xcnt 0x0
	s_or_b32 exec_lo, exec_lo, s0
	v_mov_b32_e32 v8, 0
	s_mov_b32 s3, exec_lo
	v_cmpx_gt_i32_e64 s1, v18
	s_cbranch_execz .LBB52_7
; %bb.6:
	v_add_nc_u32_e32 v3, s2, v18
	v_add_nc_u32_e32 v18, 0x100, v18
	s_clause 0x1
	global_load_u16 v1, v3, s[6:7] scale_offset
	global_load_u16 v8, v3, s[8:9] scale_offset
.LBB52_7:
	s_wait_xcnt 0x0
	s_or_b32 exec_lo, exec_lo, s3
	v_dual_mov_b32 v10, 0 :: v_dual_mov_b32 v3, 0
	v_mov_b32_e32 v9, 0
	s_mov_b32 s3, exec_lo
	v_cmpx_gt_i32_e64 s1, v18
	s_cbranch_execz .LBB52_9
; %bb.8:
	v_add_nc_u32_e32 v7, s2, v18
	v_add_nc_u32_e32 v18, 0x100, v18
	s_clause 0x1
	global_load_u16 v9, v7, s[6:7] scale_offset
	global_load_u16 v10, v7, s[8:9] scale_offset
.LBB52_9:
	s_wait_xcnt 0x0
	s_or_b32 exec_lo, exec_lo, s3
	v_mov_b32_e32 v12, 0
	s_mov_b32 s3, exec_lo
	v_cmpx_gt_i32_e64 s1, v18
	s_cbranch_execz .LBB52_11
; %bb.10:
	v_add_nc_u32_e32 v7, s2, v18
	v_add_nc_u32_e32 v18, 0x100, v18
	s_clause 0x1
	global_load_u16 v3, v7, s[6:7] scale_offset
	global_load_u16 v12, v7, s[8:9] scale_offset
.LBB52_11:
	s_wait_xcnt 0x0
	s_or_b32 exec_lo, exec_lo, s3
	v_dual_mov_b32 v14, 0 :: v_dual_mov_b32 v7, 0
	v_mov_b32_e32 v13, 0
	s_mov_b32 s3, exec_lo
	v_cmpx_gt_i32_e64 s1, v18
	s_cbranch_execz .LBB52_13
; %bb.12:
	v_add_nc_u32_e32 v11, s2, v18
	v_add_nc_u32_e32 v18, 0x100, v18
	s_clause 0x1
	global_load_u16 v13, v11, s[6:7] scale_offset
	global_load_u16 v14, v11, s[8:9] scale_offset
.LBB52_13:
	;; [unrolled: 27-line block ×3, first 2 shown]
	s_wait_xcnt 0x0
	s_or_b32 exec_lo, exec_lo, s3
	v_mov_b32_e32 v19, 0
	s_mov_b32 s3, exec_lo
	v_cmpx_gt_i32_e64 s1, v18
	s_cbranch_execnz .LBB52_28
; %bb.18:
	s_or_b32 exec_lo, exec_lo, s3
	s_and_saveexec_b32 s0, vcc_lo
	s_cbranch_execnz .LBB52_29
.LBB52_19:
	s_or_b32 exec_lo, exec_lo, s0
	s_delay_alu instid0(SALU_CYCLE_1)
	s_mov_b32 s0, exec_lo
	v_cmpx_gt_i32_e64 s1, v0
	s_cbranch_execnz .LBB52_30
.LBB52_20:
	s_or_b32 exec_lo, exec_lo, s0
	s_delay_alu instid0(SALU_CYCLE_1)
	s_mov_b32 s0, exec_lo
	v_cmpx_gt_i32_e64 s1, v0
	s_cbranch_execnz .LBB52_31
.LBB52_21:
	s_or_b32 exec_lo, exec_lo, s0
	s_delay_alu instid0(SALU_CYCLE_1)
	s_mov_b32 s0, exec_lo
	v_cmpx_gt_i32_e64 s1, v0
	s_cbranch_execnz .LBB52_32
.LBB52_22:
	s_or_b32 exec_lo, exec_lo, s0
	s_delay_alu instid0(SALU_CYCLE_1)
	s_mov_b32 s0, exec_lo
	v_cmpx_gt_i32_e64 s1, v0
	s_cbranch_execnz .LBB52_33
.LBB52_23:
	s_or_b32 exec_lo, exec_lo, s0
	s_delay_alu instid0(SALU_CYCLE_1)
	s_mov_b32 s0, exec_lo
	v_cmpx_gt_i32_e64 s1, v0
	s_cbranch_execnz .LBB52_34
.LBB52_24:
	s_or_b32 exec_lo, exec_lo, s0
	s_delay_alu instid0(SALU_CYCLE_1)
	s_mov_b32 s0, exec_lo
	v_cmpx_gt_i32_e64 s1, v0
	s_cbranch_execnz .LBB52_35
.LBB52_25:
	s_or_b32 exec_lo, exec_lo, s0
	s_delay_alu instid0(SALU_CYCLE_1)
	s_mov_b32 s0, exec_lo
	v_cmpx_gt_i32_e64 s1, v0
	s_cbranch_execz .LBB52_27
.LBB52_26:
	s_wait_loadcnt 0x0
	v_mul_f16_e32 v1, v19, v11
	v_cmp_lt_f16_e32 vcc_lo, 0, v11
	s_delay_alu instid0(VALU_DEP_2)
	v_dual_cndmask_b32 v1, v1, v11 :: v_dual_add_nc_u32 v0, s2, v0
	global_store_b16 v0, v1, s[4:5] scale_offset
.LBB52_27:
	s_endpgm
.LBB52_28:
	v_add_nc_u32_e32 v18, s2, v18
	s_clause 0x1
	global_load_u16 v11, v18, s[6:7] scale_offset
	global_load_u16 v19, v18, s[8:9] scale_offset
	s_wait_xcnt 0x0
	s_or_b32 exec_lo, exec_lo, s3
	s_and_saveexec_b32 s0, vcc_lo
	s_cbranch_execz .LBB52_19
.LBB52_29:
	s_wait_loadcnt 0x0
	v_mul_f16_e32 v0, v5, v6
	v_cmp_lt_f16_e32 vcc_lo, 0, v6
	s_delay_alu instid0(VALU_DEP_2) | instskip(SKIP_4) | instid1(SALU_CYCLE_1)
	v_cndmask_b32_e32 v5, v0, v6, vcc_lo
	v_mov_b32_e32 v0, v4
	global_store_b16 v2, v5, s[4:5] scale_offset
	s_wait_xcnt 0x0
	s_or_b32 exec_lo, exec_lo, s0
	s_mov_b32 s0, exec_lo
	v_cmpx_gt_i32_e64 s1, v0
	s_cbranch_execz .LBB52_20
.LBB52_30:
	s_wait_loadcnt 0x0
	v_mul_f16_e32 v2, v8, v1
	v_cmp_lt_f16_e32 vcc_lo, 0, v1
	s_delay_alu instid0(VALU_DEP_2) | instskip(SKIP_4) | instid1(SALU_CYCLE_1)
	v_dual_cndmask_b32 v1, v2, v1 :: v_dual_add_nc_u32 v2, s2, v0
	v_add_nc_u32_e32 v0, 0x100, v0
	global_store_b16 v2, v1, s[4:5] scale_offset
	s_wait_xcnt 0x0
	s_or_b32 exec_lo, exec_lo, s0
	s_mov_b32 s0, exec_lo
	v_cmpx_gt_i32_e64 s1, v0
	s_cbranch_execz .LBB52_21
.LBB52_31:
	s_wait_loadcnt 0x0
	v_mul_f16_e32 v1, v10, v9
	v_cmp_lt_f16_e32 vcc_lo, 0, v9
	v_add_nc_u32_e32 v2, s2, v0
	s_delay_alu instid0(VALU_DEP_3) | instskip(SKIP_3) | instid1(SALU_CYCLE_1)
	v_dual_cndmask_b32 v1, v1, v9 :: v_dual_add_nc_u32 v0, 0x100, v0
	global_store_b16 v2, v1, s[4:5] scale_offset
	s_wait_xcnt 0x0
	s_or_b32 exec_lo, exec_lo, s0
	s_mov_b32 s0, exec_lo
	v_cmpx_gt_i32_e64 s1, v0
	s_cbranch_execz .LBB52_22
.LBB52_32:
	s_wait_loadcnt 0x0
	v_mul_f16_e32 v1, v12, v3
	v_cmp_lt_f16_e32 vcc_lo, 0, v3
	v_add_nc_u32_e32 v2, s2, v0
	s_delay_alu instid0(VALU_DEP_3) | instskip(SKIP_3) | instid1(SALU_CYCLE_1)
	v_dual_cndmask_b32 v1, v1, v3 :: v_dual_add_nc_u32 v0, 0x100, v0
	global_store_b16 v2, v1, s[4:5] scale_offset
	s_wait_xcnt 0x0
	s_or_b32 exec_lo, exec_lo, s0
	s_mov_b32 s0, exec_lo
	v_cmpx_gt_i32_e64 s1, v0
	s_cbranch_execz .LBB52_23
.LBB52_33:
	s_wait_loadcnt 0x0
	v_mul_f16_e32 v1, v14, v13
	v_cmp_lt_f16_e32 vcc_lo, 0, v13
	v_add_nc_u32_e32 v2, s2, v0
	s_delay_alu instid0(VALU_DEP_3) | instskip(SKIP_3) | instid1(SALU_CYCLE_1)
	v_dual_cndmask_b32 v1, v1, v13 :: v_dual_add_nc_u32 v0, 0x100, v0
	global_store_b16 v2, v1, s[4:5] scale_offset
	s_wait_xcnt 0x0
	s_or_b32 exec_lo, exec_lo, s0
	s_mov_b32 s0, exec_lo
	v_cmpx_gt_i32_e64 s1, v0
	s_cbranch_execz .LBB52_24
.LBB52_34:
	s_wait_loadcnt 0x0
	v_mul_f16_e32 v1, v15, v7
	v_cmp_lt_f16_e32 vcc_lo, 0, v7
	v_add_nc_u32_e32 v2, s2, v0
	s_delay_alu instid0(VALU_DEP_3) | instskip(SKIP_3) | instid1(SALU_CYCLE_1)
	v_dual_cndmask_b32 v1, v1, v7 :: v_dual_add_nc_u32 v0, 0x100, v0
	global_store_b16 v2, v1, s[4:5] scale_offset
	s_wait_xcnt 0x0
	s_or_b32 exec_lo, exec_lo, s0
	s_mov_b32 s0, exec_lo
	v_cmpx_gt_i32_e64 s1, v0
	s_cbranch_execz .LBB52_25
.LBB52_35:
	s_wait_loadcnt 0x0
	v_mul_f16_e32 v1, v17, v16
	v_cmp_lt_f16_e32 vcc_lo, 0, v16
	v_add_nc_u32_e32 v2, s2, v0
	v_add_nc_u32_e32 v0, 0x100, v0
	s_delay_alu instid0(VALU_DEP_4) | instskip(SKIP_3) | instid1(SALU_CYCLE_1)
	v_cndmask_b32_e32 v1, v1, v16, vcc_lo
	global_store_b16 v2, v1, s[4:5] scale_offset
	s_wait_xcnt 0x0
	s_or_b32 exec_lo, exec_lo, s0
	s_mov_b32 s0, exec_lo
	v_cmpx_gt_i32_e64 s1, v0
	s_cbranch_execnz .LBB52_26
	s_branch .LBB52_27
	.section	.rodata,"a",@progbits
	.p2align	6, 0x0
	.amdhsa_kernel _ZN2at6native29vectorized_elementwise_kernelILi2EZZZNS0_12prelu_kernelERNS_14TensorIteratorEENKUlvE_clEvENKUlvE2_clEvEUlN3c104HalfES7_E_St5arrayIPcLm3EEEEviT0_T1_
		.amdhsa_group_segment_fixed_size 0
		.amdhsa_private_segment_fixed_size 0
		.amdhsa_kernarg_size 32
		.amdhsa_user_sgpr_count 2
		.amdhsa_user_sgpr_dispatch_ptr 0
		.amdhsa_user_sgpr_queue_ptr 0
		.amdhsa_user_sgpr_kernarg_segment_ptr 1
		.amdhsa_user_sgpr_dispatch_id 0
		.amdhsa_user_sgpr_kernarg_preload_length 0
		.amdhsa_user_sgpr_kernarg_preload_offset 0
		.amdhsa_user_sgpr_private_segment_size 0
		.amdhsa_wavefront_size32 1
		.amdhsa_uses_dynamic_stack 0
		.amdhsa_enable_private_segment 0
		.amdhsa_system_sgpr_workgroup_id_x 1
		.amdhsa_system_sgpr_workgroup_id_y 0
		.amdhsa_system_sgpr_workgroup_id_z 0
		.amdhsa_system_sgpr_workgroup_info 0
		.amdhsa_system_vgpr_workitem_id 0
		.amdhsa_next_free_vgpr 20
		.amdhsa_next_free_sgpr 16
		.amdhsa_named_barrier_count 0
		.amdhsa_reserve_vcc 1
		.amdhsa_float_round_mode_32 0
		.amdhsa_float_round_mode_16_64 0
		.amdhsa_float_denorm_mode_32 3
		.amdhsa_float_denorm_mode_16_64 3
		.amdhsa_fp16_overflow 0
		.amdhsa_memory_ordered 1
		.amdhsa_forward_progress 1
		.amdhsa_inst_pref_size 15
		.amdhsa_round_robin_scheduling 0
		.amdhsa_exception_fp_ieee_invalid_op 0
		.amdhsa_exception_fp_denorm_src 0
		.amdhsa_exception_fp_ieee_div_zero 0
		.amdhsa_exception_fp_ieee_overflow 0
		.amdhsa_exception_fp_ieee_underflow 0
		.amdhsa_exception_fp_ieee_inexact 0
		.amdhsa_exception_int_div_zero 0
	.end_amdhsa_kernel
	.section	.text._ZN2at6native29vectorized_elementwise_kernelILi2EZZZNS0_12prelu_kernelERNS_14TensorIteratorEENKUlvE_clEvENKUlvE2_clEvEUlN3c104HalfES7_E_St5arrayIPcLm3EEEEviT0_T1_,"axG",@progbits,_ZN2at6native29vectorized_elementwise_kernelILi2EZZZNS0_12prelu_kernelERNS_14TensorIteratorEENKUlvE_clEvENKUlvE2_clEvEUlN3c104HalfES7_E_St5arrayIPcLm3EEEEviT0_T1_,comdat
.Lfunc_end52:
	.size	_ZN2at6native29vectorized_elementwise_kernelILi2EZZZNS0_12prelu_kernelERNS_14TensorIteratorEENKUlvE_clEvENKUlvE2_clEvEUlN3c104HalfES7_E_St5arrayIPcLm3EEEEviT0_T1_, .Lfunc_end52-_ZN2at6native29vectorized_elementwise_kernelILi2EZZZNS0_12prelu_kernelERNS_14TensorIteratorEENKUlvE_clEvENKUlvE2_clEvEUlN3c104HalfES7_E_St5arrayIPcLm3EEEEviT0_T1_
                                        ; -- End function
	.set _ZN2at6native29vectorized_elementwise_kernelILi2EZZZNS0_12prelu_kernelERNS_14TensorIteratorEENKUlvE_clEvENKUlvE2_clEvEUlN3c104HalfES7_E_St5arrayIPcLm3EEEEviT0_T1_.num_vgpr, 20
	.set _ZN2at6native29vectorized_elementwise_kernelILi2EZZZNS0_12prelu_kernelERNS_14TensorIteratorEENKUlvE_clEvENKUlvE2_clEvEUlN3c104HalfES7_E_St5arrayIPcLm3EEEEviT0_T1_.num_agpr, 0
	.set _ZN2at6native29vectorized_elementwise_kernelILi2EZZZNS0_12prelu_kernelERNS_14TensorIteratorEENKUlvE_clEvENKUlvE2_clEvEUlN3c104HalfES7_E_St5arrayIPcLm3EEEEviT0_T1_.numbered_sgpr, 16
	.set _ZN2at6native29vectorized_elementwise_kernelILi2EZZZNS0_12prelu_kernelERNS_14TensorIteratorEENKUlvE_clEvENKUlvE2_clEvEUlN3c104HalfES7_E_St5arrayIPcLm3EEEEviT0_T1_.num_named_barrier, 0
	.set _ZN2at6native29vectorized_elementwise_kernelILi2EZZZNS0_12prelu_kernelERNS_14TensorIteratorEENKUlvE_clEvENKUlvE2_clEvEUlN3c104HalfES7_E_St5arrayIPcLm3EEEEviT0_T1_.private_seg_size, 0
	.set _ZN2at6native29vectorized_elementwise_kernelILi2EZZZNS0_12prelu_kernelERNS_14TensorIteratorEENKUlvE_clEvENKUlvE2_clEvEUlN3c104HalfES7_E_St5arrayIPcLm3EEEEviT0_T1_.uses_vcc, 1
	.set _ZN2at6native29vectorized_elementwise_kernelILi2EZZZNS0_12prelu_kernelERNS_14TensorIteratorEENKUlvE_clEvENKUlvE2_clEvEUlN3c104HalfES7_E_St5arrayIPcLm3EEEEviT0_T1_.uses_flat_scratch, 0
	.set _ZN2at6native29vectorized_elementwise_kernelILi2EZZZNS0_12prelu_kernelERNS_14TensorIteratorEENKUlvE_clEvENKUlvE2_clEvEUlN3c104HalfES7_E_St5arrayIPcLm3EEEEviT0_T1_.has_dyn_sized_stack, 0
	.set _ZN2at6native29vectorized_elementwise_kernelILi2EZZZNS0_12prelu_kernelERNS_14TensorIteratorEENKUlvE_clEvENKUlvE2_clEvEUlN3c104HalfES7_E_St5arrayIPcLm3EEEEviT0_T1_.has_recursion, 0
	.set _ZN2at6native29vectorized_elementwise_kernelILi2EZZZNS0_12prelu_kernelERNS_14TensorIteratorEENKUlvE_clEvENKUlvE2_clEvEUlN3c104HalfES7_E_St5arrayIPcLm3EEEEviT0_T1_.has_indirect_call, 0
	.section	.AMDGPU.csdata,"",@progbits
; Kernel info:
; codeLenInByte = 1852
; TotalNumSgprs: 18
; NumVgprs: 20
; ScratchSize: 0
; MemoryBound: 0
; FloatMode: 240
; IeeeMode: 1
; LDSByteSize: 0 bytes/workgroup (compile time only)
; SGPRBlocks: 0
; VGPRBlocks: 1
; NumSGPRsForWavesPerEU: 18
; NumVGPRsForWavesPerEU: 20
; NamedBarCnt: 0
; Occupancy: 16
; WaveLimiterHint : 1
; COMPUTE_PGM_RSRC2:SCRATCH_EN: 0
; COMPUTE_PGM_RSRC2:USER_SGPR: 2
; COMPUTE_PGM_RSRC2:TRAP_HANDLER: 0
; COMPUTE_PGM_RSRC2:TGID_X_EN: 1
; COMPUTE_PGM_RSRC2:TGID_Y_EN: 0
; COMPUTE_PGM_RSRC2:TGID_Z_EN: 0
; COMPUTE_PGM_RSRC2:TIDIG_COMP_CNT: 0
	.section	.text._ZN2at6native27unrolled_elementwise_kernelIZZZNS0_12prelu_kernelERNS_14TensorIteratorEENKUlvE_clEvENKUlvE2_clEvEUlN3c104HalfES7_E_St5arrayIPcLm3EELi4E23TrivialOffsetCalculatorILi2EjESC_ILi1EjENS0_6memory15LoadWithoutCastENSF_16StoreWithoutCastEEEviT_T0_T2_T3_T4_T5_,"axG",@progbits,_ZN2at6native27unrolled_elementwise_kernelIZZZNS0_12prelu_kernelERNS_14TensorIteratorEENKUlvE_clEvENKUlvE2_clEvEUlN3c104HalfES7_E_St5arrayIPcLm3EELi4E23TrivialOffsetCalculatorILi2EjESC_ILi1EjENS0_6memory15LoadWithoutCastENSF_16StoreWithoutCastEEEviT_T0_T2_T3_T4_T5_,comdat
	.globl	_ZN2at6native27unrolled_elementwise_kernelIZZZNS0_12prelu_kernelERNS_14TensorIteratorEENKUlvE_clEvENKUlvE2_clEvEUlN3c104HalfES7_E_St5arrayIPcLm3EELi4E23TrivialOffsetCalculatorILi2EjESC_ILi1EjENS0_6memory15LoadWithoutCastENSF_16StoreWithoutCastEEEviT_T0_T2_T3_T4_T5_ ; -- Begin function _ZN2at6native27unrolled_elementwise_kernelIZZZNS0_12prelu_kernelERNS_14TensorIteratorEENKUlvE_clEvENKUlvE2_clEvEUlN3c104HalfES7_E_St5arrayIPcLm3EELi4E23TrivialOffsetCalculatorILi2EjESC_ILi1EjENS0_6memory15LoadWithoutCastENSF_16StoreWithoutCastEEEviT_T0_T2_T3_T4_T5_
	.p2align	8
	.type	_ZN2at6native27unrolled_elementwise_kernelIZZZNS0_12prelu_kernelERNS_14TensorIteratorEENKUlvE_clEvENKUlvE2_clEvEUlN3c104HalfES7_E_St5arrayIPcLm3EELi4E23TrivialOffsetCalculatorILi2EjESC_ILi1EjENS0_6memory15LoadWithoutCastENSF_16StoreWithoutCastEEEviT_T0_T2_T3_T4_T5_,@function
_ZN2at6native27unrolled_elementwise_kernelIZZZNS0_12prelu_kernelERNS_14TensorIteratorEENKUlvE_clEvENKUlvE2_clEvEUlN3c104HalfES7_E_St5arrayIPcLm3EELi4E23TrivialOffsetCalculatorILi2EjESC_ILi1EjENS0_6memory15LoadWithoutCastENSF_16StoreWithoutCastEEEviT_T0_T2_T3_T4_T5_: ; @_ZN2at6native27unrolled_elementwise_kernelIZZZNS0_12prelu_kernelERNS_14TensorIteratorEENKUlvE_clEvENKUlvE2_clEvEUlN3c104HalfES7_E_St5arrayIPcLm3EELi4E23TrivialOffsetCalculatorILi2EjESC_ILi1EjENS0_6memory15LoadWithoutCastENSF_16StoreWithoutCastEEEviT_T0_T2_T3_T4_T5_
; %bb.0:
	s_load_b32 s8, s[0:1], 0x0
	s_bfe_u32 s10, ttmp6, 0x4000c
	s_clause 0x1
	s_load_b128 s[4:7], s[0:1], 0x8
	s_load_b64 s[2:3], s[0:1], 0x18
	s_add_co_i32 s10, s10, 1
	s_and_b32 s9, ttmp6, 15
	s_wait_xcnt 0x0
	s_mul_i32 s1, ttmp9, s10
	s_getreg_b32 s0, hwreg(HW_REG_IB_STS2, 6, 4)
	s_add_co_i32 s9, s9, s1
	s_cmp_eq_u32 s0, 0
	v_dual_mov_b32 v3, 0 :: v_dual_mov_b32 v1, 0
	s_cselect_b32 s0, ttmp9, s9
	v_or_b32_e32 v4, 0x100, v0
	s_lshl_b32 s1, s0, 10
	s_delay_alu instid0(SALU_CYCLE_1) | instskip(SKIP_3) | instid1(SALU_CYCLE_1)
	v_dual_mov_b32 v6, 0 :: v_dual_bitop2_b32 v5, s1, v0 bitop3:0x54
	v_mov_b32_e32 v11, v0
	s_wait_kmcnt 0x0
	s_sub_co_i32 s8, s8, s1
	v_cmp_gt_i32_e32 vcc_lo, s8, v0
	s_and_saveexec_b32 s0, vcc_lo
	s_cbranch_execz .LBB53_2
; %bb.1:
	s_clause 0x1
	global_load_u16 v6, v5, s[6:7] scale_offset
	global_load_u16 v3, v5, s[2:3] scale_offset
	v_or_b32_e32 v11, 0x100, v0
.LBB53_2:
	s_wait_xcnt 0x0
	s_or_b32 exec_lo, exec_lo, s0
	v_mov_b32_e32 v8, 0
	s_mov_b32 s9, exec_lo
	v_cmpx_gt_i32_e64 s8, v11
	s_cbranch_execz .LBB53_4
; %bb.3:
	v_add_nc_u32_e32 v2, s1, v11
	v_add_nc_u32_e32 v11, 0x100, v11
	s_clause 0x1
	global_load_u16 v1, v2, s[6:7] scale_offset
	global_load_u16 v8, v2, s[2:3] scale_offset
.LBB53_4:
	s_wait_xcnt 0x0
	s_or_b32 exec_lo, exec_lo, s9
	v_dual_mov_b32 v9, 0 :: v_dual_mov_b32 v2, 0
	v_mov_b32_e32 v7, 0
	s_mov_b32 s9, exec_lo
	v_cmpx_gt_i32_e64 s8, v11
	s_cbranch_execz .LBB53_6
; %bb.5:
	v_add_nc_u32_e32 v10, s1, v11
	v_add_nc_u32_e32 v11, 0x100, v11
	s_clause 0x1
	global_load_u16 v7, v10, s[6:7] scale_offset
	global_load_u16 v9, v10, s[2:3] scale_offset
.LBB53_6:
	s_wait_xcnt 0x0
	s_or_b32 exec_lo, exec_lo, s9
	v_mov_b32_e32 v10, 0
	s_mov_b32 s9, exec_lo
	v_cmpx_gt_i32_e64 s8, v11
	s_cbranch_execnz .LBB53_12
; %bb.7:
	s_or_b32 exec_lo, exec_lo, s9
	s_and_saveexec_b32 s0, vcc_lo
	s_cbranch_execnz .LBB53_13
.LBB53_8:
	s_or_b32 exec_lo, exec_lo, s0
	s_delay_alu instid0(SALU_CYCLE_1)
	s_mov_b32 s0, exec_lo
	v_cmpx_gt_i32_e64 s8, v0
	s_cbranch_execnz .LBB53_14
.LBB53_9:
	s_or_b32 exec_lo, exec_lo, s0
	s_delay_alu instid0(SALU_CYCLE_1)
	s_mov_b32 s0, exec_lo
	v_cmpx_gt_i32_e64 s8, v0
	s_cbranch_execnz .LBB53_15
.LBB53_10:
	s_or_b32 exec_lo, exec_lo, s0
	s_delay_alu instid0(SALU_CYCLE_1)
	s_mov_b32 s0, exec_lo
	v_cmpx_gt_i32_e64 s8, v0
	s_cbranch_execnz .LBB53_16
.LBB53_11:
	s_endpgm
.LBB53_12:
	v_add_nc_u32_e32 v11, s1, v11
	s_clause 0x1
	global_load_u16 v2, v11, s[6:7] scale_offset
	global_load_u16 v10, v11, s[2:3] scale_offset
	s_wait_xcnt 0x0
	s_or_b32 exec_lo, exec_lo, s9
	s_and_saveexec_b32 s0, vcc_lo
	s_cbranch_execz .LBB53_8
.LBB53_13:
	s_wait_loadcnt 0x0
	v_mul_f16_e32 v0, v3, v6
	v_cmp_lt_f16_e32 vcc_lo, 0, v6
	s_delay_alu instid0(VALU_DEP_2) | instskip(SKIP_4) | instid1(SALU_CYCLE_1)
	v_cndmask_b32_e32 v3, v0, v6, vcc_lo
	v_mov_b32_e32 v0, v4
	global_store_b16 v5, v3, s[4:5] scale_offset
	s_wait_xcnt 0x0
	s_or_b32 exec_lo, exec_lo, s0
	s_mov_b32 s0, exec_lo
	v_cmpx_gt_i32_e64 s8, v0
	s_cbranch_execz .LBB53_9
.LBB53_14:
	s_wait_loadcnt 0x0
	v_mul_f16_e32 v3, v8, v1
	v_cmp_lt_f16_e32 vcc_lo, 0, v1
	s_delay_alu instid0(VALU_DEP_2) | instskip(NEXT) | instid1(VALU_DEP_1)
	v_dual_cndmask_b32 v1, v3, v1 :: v_dual_add_nc_u32 v4, 0x100, v0
	v_dual_mov_b32 v0, v4 :: v_dual_add_nc_u32 v3, s1, v0
	global_store_b16 v3, v1, s[4:5] scale_offset
	s_wait_xcnt 0x0
	s_or_b32 exec_lo, exec_lo, s0
	s_delay_alu instid0(SALU_CYCLE_1)
	s_mov_b32 s0, exec_lo
	v_cmpx_gt_i32_e64 s8, v0
	s_cbranch_execz .LBB53_10
.LBB53_15:
	s_wait_loadcnt 0x0
	v_mul_f16_e32 v1, v9, v7
	v_add_nc_u32_e32 v3, 0x100, v0
	v_cmp_lt_f16_e32 vcc_lo, 0, v7
	s_delay_alu instid0(VALU_DEP_2) | instskip(NEXT) | instid1(VALU_DEP_4)
	v_dual_add_nc_u32 v4, s1, v0 :: v_dual_mov_b32 v0, v3
	v_cndmask_b32_e32 v1, v1, v7, vcc_lo
	global_store_b16 v4, v1, s[4:5] scale_offset
	s_wait_xcnt 0x0
	s_or_b32 exec_lo, exec_lo, s0
	s_delay_alu instid0(SALU_CYCLE_1)
	s_mov_b32 s0, exec_lo
	v_cmpx_gt_i32_e64 s8, v0
	s_cbranch_execz .LBB53_11
.LBB53_16:
	s_wait_loadcnt 0x0
	v_mul_f16_e32 v1, v10, v2
	v_cmp_lt_f16_e32 vcc_lo, 0, v2
	s_delay_alu instid0(VALU_DEP_2)
	v_dual_cndmask_b32 v1, v1, v2 :: v_dual_add_nc_u32 v0, s1, v0
	global_store_b16 v0, v1, s[4:5] scale_offset
	s_endpgm
	.section	.rodata,"a",@progbits
	.p2align	6, 0x0
	.amdhsa_kernel _ZN2at6native27unrolled_elementwise_kernelIZZZNS0_12prelu_kernelERNS_14TensorIteratorEENKUlvE_clEvENKUlvE2_clEvEUlN3c104HalfES7_E_St5arrayIPcLm3EELi4E23TrivialOffsetCalculatorILi2EjESC_ILi1EjENS0_6memory15LoadWithoutCastENSF_16StoreWithoutCastEEEviT_T0_T2_T3_T4_T5_
		.amdhsa_group_segment_fixed_size 0
		.amdhsa_private_segment_fixed_size 0
		.amdhsa_kernarg_size 36
		.amdhsa_user_sgpr_count 2
		.amdhsa_user_sgpr_dispatch_ptr 0
		.amdhsa_user_sgpr_queue_ptr 0
		.amdhsa_user_sgpr_kernarg_segment_ptr 1
		.amdhsa_user_sgpr_dispatch_id 0
		.amdhsa_user_sgpr_kernarg_preload_length 0
		.amdhsa_user_sgpr_kernarg_preload_offset 0
		.amdhsa_user_sgpr_private_segment_size 0
		.amdhsa_wavefront_size32 1
		.amdhsa_uses_dynamic_stack 0
		.amdhsa_enable_private_segment 0
		.amdhsa_system_sgpr_workgroup_id_x 1
		.amdhsa_system_sgpr_workgroup_id_y 0
		.amdhsa_system_sgpr_workgroup_id_z 0
		.amdhsa_system_sgpr_workgroup_info 0
		.amdhsa_system_vgpr_workitem_id 0
		.amdhsa_next_free_vgpr 12
		.amdhsa_next_free_sgpr 11
		.amdhsa_named_barrier_count 0
		.amdhsa_reserve_vcc 1
		.amdhsa_float_round_mode_32 0
		.amdhsa_float_round_mode_16_64 0
		.amdhsa_float_denorm_mode_32 3
		.amdhsa_float_denorm_mode_16_64 3
		.amdhsa_fp16_overflow 0
		.amdhsa_memory_ordered 1
		.amdhsa_forward_progress 1
		.amdhsa_inst_pref_size 6
		.amdhsa_round_robin_scheduling 0
		.amdhsa_exception_fp_ieee_invalid_op 0
		.amdhsa_exception_fp_denorm_src 0
		.amdhsa_exception_fp_ieee_div_zero 0
		.amdhsa_exception_fp_ieee_overflow 0
		.amdhsa_exception_fp_ieee_underflow 0
		.amdhsa_exception_fp_ieee_inexact 0
		.amdhsa_exception_int_div_zero 0
	.end_amdhsa_kernel
	.section	.text._ZN2at6native27unrolled_elementwise_kernelIZZZNS0_12prelu_kernelERNS_14TensorIteratorEENKUlvE_clEvENKUlvE2_clEvEUlN3c104HalfES7_E_St5arrayIPcLm3EELi4E23TrivialOffsetCalculatorILi2EjESC_ILi1EjENS0_6memory15LoadWithoutCastENSF_16StoreWithoutCastEEEviT_T0_T2_T3_T4_T5_,"axG",@progbits,_ZN2at6native27unrolled_elementwise_kernelIZZZNS0_12prelu_kernelERNS_14TensorIteratorEENKUlvE_clEvENKUlvE2_clEvEUlN3c104HalfES7_E_St5arrayIPcLm3EELi4E23TrivialOffsetCalculatorILi2EjESC_ILi1EjENS0_6memory15LoadWithoutCastENSF_16StoreWithoutCastEEEviT_T0_T2_T3_T4_T5_,comdat
.Lfunc_end53:
	.size	_ZN2at6native27unrolled_elementwise_kernelIZZZNS0_12prelu_kernelERNS_14TensorIteratorEENKUlvE_clEvENKUlvE2_clEvEUlN3c104HalfES7_E_St5arrayIPcLm3EELi4E23TrivialOffsetCalculatorILi2EjESC_ILi1EjENS0_6memory15LoadWithoutCastENSF_16StoreWithoutCastEEEviT_T0_T2_T3_T4_T5_, .Lfunc_end53-_ZN2at6native27unrolled_elementwise_kernelIZZZNS0_12prelu_kernelERNS_14TensorIteratorEENKUlvE_clEvENKUlvE2_clEvEUlN3c104HalfES7_E_St5arrayIPcLm3EELi4E23TrivialOffsetCalculatorILi2EjESC_ILi1EjENS0_6memory15LoadWithoutCastENSF_16StoreWithoutCastEEEviT_T0_T2_T3_T4_T5_
                                        ; -- End function
	.set _ZN2at6native27unrolled_elementwise_kernelIZZZNS0_12prelu_kernelERNS_14TensorIteratorEENKUlvE_clEvENKUlvE2_clEvEUlN3c104HalfES7_E_St5arrayIPcLm3EELi4E23TrivialOffsetCalculatorILi2EjESC_ILi1EjENS0_6memory15LoadWithoutCastENSF_16StoreWithoutCastEEEviT_T0_T2_T3_T4_T5_.num_vgpr, 12
	.set _ZN2at6native27unrolled_elementwise_kernelIZZZNS0_12prelu_kernelERNS_14TensorIteratorEENKUlvE_clEvENKUlvE2_clEvEUlN3c104HalfES7_E_St5arrayIPcLm3EELi4E23TrivialOffsetCalculatorILi2EjESC_ILi1EjENS0_6memory15LoadWithoutCastENSF_16StoreWithoutCastEEEviT_T0_T2_T3_T4_T5_.num_agpr, 0
	.set _ZN2at6native27unrolled_elementwise_kernelIZZZNS0_12prelu_kernelERNS_14TensorIteratorEENKUlvE_clEvENKUlvE2_clEvEUlN3c104HalfES7_E_St5arrayIPcLm3EELi4E23TrivialOffsetCalculatorILi2EjESC_ILi1EjENS0_6memory15LoadWithoutCastENSF_16StoreWithoutCastEEEviT_T0_T2_T3_T4_T5_.numbered_sgpr, 11
	.set _ZN2at6native27unrolled_elementwise_kernelIZZZNS0_12prelu_kernelERNS_14TensorIteratorEENKUlvE_clEvENKUlvE2_clEvEUlN3c104HalfES7_E_St5arrayIPcLm3EELi4E23TrivialOffsetCalculatorILi2EjESC_ILi1EjENS0_6memory15LoadWithoutCastENSF_16StoreWithoutCastEEEviT_T0_T2_T3_T4_T5_.num_named_barrier, 0
	.set _ZN2at6native27unrolled_elementwise_kernelIZZZNS0_12prelu_kernelERNS_14TensorIteratorEENKUlvE_clEvENKUlvE2_clEvEUlN3c104HalfES7_E_St5arrayIPcLm3EELi4E23TrivialOffsetCalculatorILi2EjESC_ILi1EjENS0_6memory15LoadWithoutCastENSF_16StoreWithoutCastEEEviT_T0_T2_T3_T4_T5_.private_seg_size, 0
	.set _ZN2at6native27unrolled_elementwise_kernelIZZZNS0_12prelu_kernelERNS_14TensorIteratorEENKUlvE_clEvENKUlvE2_clEvEUlN3c104HalfES7_E_St5arrayIPcLm3EELi4E23TrivialOffsetCalculatorILi2EjESC_ILi1EjENS0_6memory15LoadWithoutCastENSF_16StoreWithoutCastEEEviT_T0_T2_T3_T4_T5_.uses_vcc, 1
	.set _ZN2at6native27unrolled_elementwise_kernelIZZZNS0_12prelu_kernelERNS_14TensorIteratorEENKUlvE_clEvENKUlvE2_clEvEUlN3c104HalfES7_E_St5arrayIPcLm3EELi4E23TrivialOffsetCalculatorILi2EjESC_ILi1EjENS0_6memory15LoadWithoutCastENSF_16StoreWithoutCastEEEviT_T0_T2_T3_T4_T5_.uses_flat_scratch, 0
	.set _ZN2at6native27unrolled_elementwise_kernelIZZZNS0_12prelu_kernelERNS_14TensorIteratorEENKUlvE_clEvENKUlvE2_clEvEUlN3c104HalfES7_E_St5arrayIPcLm3EELi4E23TrivialOffsetCalculatorILi2EjESC_ILi1EjENS0_6memory15LoadWithoutCastENSF_16StoreWithoutCastEEEviT_T0_T2_T3_T4_T5_.has_dyn_sized_stack, 0
	.set _ZN2at6native27unrolled_elementwise_kernelIZZZNS0_12prelu_kernelERNS_14TensorIteratorEENKUlvE_clEvENKUlvE2_clEvEUlN3c104HalfES7_E_St5arrayIPcLm3EELi4E23TrivialOffsetCalculatorILi2EjESC_ILi1EjENS0_6memory15LoadWithoutCastENSF_16StoreWithoutCastEEEviT_T0_T2_T3_T4_T5_.has_recursion, 0
	.set _ZN2at6native27unrolled_elementwise_kernelIZZZNS0_12prelu_kernelERNS_14TensorIteratorEENKUlvE_clEvENKUlvE2_clEvEUlN3c104HalfES7_E_St5arrayIPcLm3EELi4E23TrivialOffsetCalculatorILi2EjESC_ILi1EjENS0_6memory15LoadWithoutCastENSF_16StoreWithoutCastEEEviT_T0_T2_T3_T4_T5_.has_indirect_call, 0
	.section	.AMDGPU.csdata,"",@progbits
; Kernel info:
; codeLenInByte = 732
; TotalNumSgprs: 13
; NumVgprs: 12
; ScratchSize: 0
; MemoryBound: 0
; FloatMode: 240
; IeeeMode: 1
; LDSByteSize: 0 bytes/workgroup (compile time only)
; SGPRBlocks: 0
; VGPRBlocks: 0
; NumSGPRsForWavesPerEU: 13
; NumVGPRsForWavesPerEU: 12
; NamedBarCnt: 0
; Occupancy: 16
; WaveLimiterHint : 0
; COMPUTE_PGM_RSRC2:SCRATCH_EN: 0
; COMPUTE_PGM_RSRC2:USER_SGPR: 2
; COMPUTE_PGM_RSRC2:TRAP_HANDLER: 0
; COMPUTE_PGM_RSRC2:TGID_X_EN: 1
; COMPUTE_PGM_RSRC2:TGID_Y_EN: 0
; COMPUTE_PGM_RSRC2:TGID_Z_EN: 0
; COMPUTE_PGM_RSRC2:TIDIG_COMP_CNT: 0
	.section	.text._ZN2at6native32elementwise_kernel_manual_unrollILi128ELi8EZNS0_22gpu_kernel_impl_nocastIZZZNS0_12prelu_kernelERNS_14TensorIteratorEENKUlvE_clEvENKUlvE2_clEvEUlN3c104HalfES8_E_EEvRNS_18TensorIteratorBaseERKT_EUlibE_EEviT1_,"axG",@progbits,_ZN2at6native32elementwise_kernel_manual_unrollILi128ELi8EZNS0_22gpu_kernel_impl_nocastIZZZNS0_12prelu_kernelERNS_14TensorIteratorEENKUlvE_clEvENKUlvE2_clEvEUlN3c104HalfES8_E_EEvRNS_18TensorIteratorBaseERKT_EUlibE_EEviT1_,comdat
	.globl	_ZN2at6native32elementwise_kernel_manual_unrollILi128ELi8EZNS0_22gpu_kernel_impl_nocastIZZZNS0_12prelu_kernelERNS_14TensorIteratorEENKUlvE_clEvENKUlvE2_clEvEUlN3c104HalfES8_E_EEvRNS_18TensorIteratorBaseERKT_EUlibE_EEviT1_ ; -- Begin function _ZN2at6native32elementwise_kernel_manual_unrollILi128ELi8EZNS0_22gpu_kernel_impl_nocastIZZZNS0_12prelu_kernelERNS_14TensorIteratorEENKUlvE_clEvENKUlvE2_clEvEUlN3c104HalfES8_E_EEvRNS_18TensorIteratorBaseERKT_EUlibE_EEviT1_
	.p2align	8
	.type	_ZN2at6native32elementwise_kernel_manual_unrollILi128ELi8EZNS0_22gpu_kernel_impl_nocastIZZZNS0_12prelu_kernelERNS_14TensorIteratorEENKUlvE_clEvENKUlvE2_clEvEUlN3c104HalfES8_E_EEvRNS_18TensorIteratorBaseERKT_EUlibE_EEviT1_,@function
_ZN2at6native32elementwise_kernel_manual_unrollILi128ELi8EZNS0_22gpu_kernel_impl_nocastIZZZNS0_12prelu_kernelERNS_14TensorIteratorEENKUlvE_clEvENKUlvE2_clEvEUlN3c104HalfES8_E_EEvRNS_18TensorIteratorBaseERKT_EUlibE_EEviT1_: ; @_ZN2at6native32elementwise_kernel_manual_unrollILi128ELi8EZNS0_22gpu_kernel_impl_nocastIZZZNS0_12prelu_kernelERNS_14TensorIteratorEENKUlvE_clEvENKUlvE2_clEvEUlN3c104HalfES8_E_EEvRNS_18TensorIteratorBaseERKT_EUlibE_EEviT1_
; %bb.0:
	s_clause 0x1
	s_load_b32 s26, s[0:1], 0x8
	s_load_b32 s33, s[0:1], 0x0
	s_bfe_u32 s2, ttmp6, 0x4000c
	s_and_b32 s3, ttmp6, 15
	s_add_co_i32 s2, s2, 1
	s_getreg_b32 s4, hwreg(HW_REG_IB_STS2, 6, 4)
	s_mul_i32 s2, ttmp9, s2
	s_add_nc_u64 s[12:13], s[0:1], 8
	s_add_co_i32 s3, s3, s2
	s_cmp_eq_u32 s4, 0
	s_mov_b32 s21, 0
	s_cselect_b32 s2, ttmp9, s3
	s_wait_xcnt 0x0
	s_mov_b32 s0, exec_lo
	v_lshl_or_b32 v0, s2, 10, v0
	s_delay_alu instid0(VALU_DEP_1) | instskip(SKIP_2) | instid1(SALU_CYCLE_1)
	v_or_b32_e32 v4, 0x380, v0
	s_wait_kmcnt 0x0
	s_add_co_i32 s27, s26, -1
	s_cmp_gt_u32 s27, 1
	s_cselect_b32 s28, -1, 0
	v_cmpx_le_i32_e64 s33, v4
	s_xor_b32 s29, exec_lo, s0
	s_cbranch_execz .LBB54_106
; %bb.1:
	s_clause 0x5
	s_load_b128 s[4:7], s[12:13], 0x4
	s_load_b64 s[16:17], s[12:13], 0x14
	s_load_b128 s[8:11], s[12:13], 0xc4
	s_load_b64 s[18:19], s[12:13], 0xd4
	s_load_b64 s[14:15], s[12:13], 0x198
	s_load_b128 s[0:3], s[12:13], 0x188
	s_cmp_lg_u32 s26, 0
	s_mov_b32 s23, s21
	s_cselect_b32 s34, -1, 0
	s_min_u32 s31, s27, 15
	s_cmp_gt_u32 s26, 1
	s_cselect_b32 s30, -1, 0
	s_wait_kmcnt 0x0
	s_mov_b32 s20, s5
	s_mov_b32 s22, s16
	s_mov_b32 s5, exec_lo
	v_cmpx_gt_i32_e64 s33, v0
	s_cbranch_execnz .LBB54_9
; %bb.2:
	s_or_b32 exec_lo, exec_lo, s5
	s_delay_alu instid0(SALU_CYCLE_1)
	s_mov_b32 s5, exec_lo
	v_cmpx_gt_i32_e64 s33, v0
	s_cbranch_execnz .LBB54_21
.LBB54_3:
	s_or_b32 exec_lo, exec_lo, s5
	s_delay_alu instid0(SALU_CYCLE_1)
	s_mov_b32 s5, exec_lo
	v_cmpx_gt_i32_e64 s33, v0
	s_cbranch_execnz .LBB54_33
.LBB54_4:
	s_or_b32 exec_lo, exec_lo, s5
	s_delay_alu instid0(SALU_CYCLE_1)
	s_mov_b32 s5, exec_lo
	v_cmpx_gt_i32_e64 s33, v0
	s_cbranch_execnz .LBB54_45
.LBB54_5:
	s_or_b32 exec_lo, exec_lo, s5
	s_delay_alu instid0(SALU_CYCLE_1)
	s_mov_b32 s5, exec_lo
	v_cmpx_gt_i32_e64 s33, v0
	s_cbranch_execnz .LBB54_57
.LBB54_6:
	s_or_b32 exec_lo, exec_lo, s5
	s_delay_alu instid0(SALU_CYCLE_1)
	s_mov_b32 s5, exec_lo
	v_cmpx_gt_i32_e64 s33, v0
	s_cbranch_execnz .LBB54_69
.LBB54_7:
	s_or_b32 exec_lo, exec_lo, s5
	s_delay_alu instid0(SALU_CYCLE_1)
	s_mov_b32 s5, exec_lo
	v_cmpx_gt_i32_e64 s33, v0
	s_cbranch_execnz .LBB54_81
.LBB54_8:
	s_or_b32 exec_lo, exec_lo, s5
	s_delay_alu instid0(SALU_CYCLE_1)
	s_mov_b32 s5, exec_lo
	v_cmpx_gt_i32_e64 s33, v0
	s_cbranch_execnz .LBB54_93
	s_branch .LBB54_105
.LBB54_9:
	s_and_not1_b32 vcc_lo, exec_lo, s28
	s_cbranch_vccnz .LBB54_15
; %bb.10:
	s_and_not1_b32 vcc_lo, exec_lo, s34
	s_cbranch_vccnz .LBB54_16
; %bb.11:
	v_dual_mov_b32 v4, 0 :: v_dual_mov_b32 v1, v0
	v_dual_mov_b32 v6, 0 :: v_dual_mov_b32 v5, 0
	s_add_co_i32 s16, s31, 1
	s_mov_b64 s[24:25], 0xffffffffffffffe8
	s_and_b32 s16, s16, 30
	s_add_nc_u64 s[24:25], s[12:13], s[24:25]
.LBB54_12:                              ; =>This Inner Loop Header: Depth=1
	s_clause 0x1
	s_load_b128 s[36:39], s[24:25], 0x1c
	s_load_b64 s[44:45], s[24:25], 0x2c
	s_add_co_i32 s16, s16, -2
	s_delay_alu instid0(SALU_CYCLE_1) | instskip(SKIP_2) | instid1(VALU_DEP_1)
	s_cmp_lg_u32 s16, 0
	s_wait_kmcnt 0x0
	v_mul_hi_u32 v2, s37, v1
	v_add_nc_u32_e32 v2, v1, v2
	s_delay_alu instid0(VALU_DEP_1) | instskip(NEXT) | instid1(VALU_DEP_1)
	v_lshrrev_b32_e32 v2, s38, v2
	v_mul_hi_u32 v3, s44, v2
	v_mul_lo_u32 v7, v2, s36
	s_clause 0x1
	s_load_b128 s[40:43], s[24:25], 0xdc
	s_load_b64 s[36:37], s[24:25], 0xec
	s_wait_xcnt 0x0
	s_add_nc_u64 s[24:25], s[24:25], 24
	s_delay_alu instid0(VALU_DEP_2) | instskip(NEXT) | instid1(VALU_DEP_2)
	v_add_nc_u32_e32 v3, v2, v3
	v_sub_nc_u32_e32 v7, v1, v7
	s_delay_alu instid0(VALU_DEP_2) | instskip(SKIP_1) | instid1(VALU_DEP_2)
	v_lshrrev_b32_e32 v1, s45, v3
	s_wait_kmcnt 0x0
	v_mad_u32 v4, v7, s40, v4
	s_delay_alu instid0(VALU_DEP_2) | instskip(SKIP_2) | instid1(VALU_DEP_3)
	v_mul_lo_u32 v3, v1, s39
	v_mad_u32 v5, v7, s42, v5
	v_mad_u32 v6, v7, s41, v6
	v_sub_nc_u32_e32 v2, v2, v3
	s_delay_alu instid0(VALU_DEP_1) | instskip(NEXT) | instid1(VALU_DEP_4)
	v_mad_u32 v4, v2, s43, v4
	v_mad_u32 v5, v2, s37, v5
	s_delay_alu instid0(VALU_DEP_4)
	v_mad_u32 v6, v2, s36, v6
	s_cbranch_scc1 .LBB54_12
; %bb.13:
	s_bitcmp1_b32 s31, 0
	s_cselect_b32 s16, -1, 0
	s_delay_alu instid0(SALU_CYCLE_1)
	s_and_b32 vcc_lo, exec_lo, s16
	s_cbranch_vccnz .LBB54_17
; %bb.14:
	s_clause 0x1
	s_load_b96 s[36:38], s[24:25], 0x1c
	s_load_b96 s[40:42], s[24:25], 0xdc
	s_wait_kmcnt 0x0
	v_mul_hi_u32 v2, s37, v1
	s_delay_alu instid0(VALU_DEP_1) | instskip(NEXT) | instid1(VALU_DEP_1)
	v_add_nc_u32_e32 v2, v1, v2
	v_lshrrev_b32_e32 v2, s38, v2
	s_delay_alu instid0(VALU_DEP_1) | instskip(NEXT) | instid1(VALU_DEP_1)
	v_mul_lo_u32 v2, v2, s36
	v_sub_nc_u32_e32 v1, v1, v2
	s_delay_alu instid0(VALU_DEP_1)
	v_mad_u32 v4, v1, s40, v4
	v_mad_u32 v6, v1, s41, v6
	;; [unrolled: 1-line block ×3, first 2 shown]
	s_cbranch_execz .LBB54_18
	s_branch .LBB54_20
.LBB54_15:
                                        ; implicit-def: $vgpr5
                                        ; implicit-def: $vgpr6
                                        ; implicit-def: $vgpr4
	s_branch .LBB54_18
.LBB54_16:
	v_dual_mov_b32 v5, 0 :: v_dual_mov_b32 v6, 0
	v_mov_b32_e32 v4, 0
.LBB54_17:
	s_cbranch_execnz .LBB54_20
.LBB54_18:
	v_mov_b32_e32 v1, 0
	s_and_not1_b32 vcc_lo, exec_lo, s30
	s_delay_alu instid0(VALU_DEP_1) | instskip(NEXT) | instid1(VALU_DEP_1)
	v_mul_u64_e32 v[2:3], s[20:21], v[0:1]
	v_add_nc_u32_e32 v2, v0, v3
	s_delay_alu instid0(VALU_DEP_1) | instskip(NEXT) | instid1(VALU_DEP_1)
	v_lshrrev_b32_e32 v2, s6, v2
	v_mul_lo_u32 v3, v2, s4
	s_delay_alu instid0(VALU_DEP_1) | instskip(NEXT) | instid1(VALU_DEP_1)
	v_sub_nc_u32_e32 v3, v0, v3
	v_mul_lo_u32 v4, v3, s8
	v_mul_lo_u32 v5, v3, s10
	;; [unrolled: 1-line block ×3, first 2 shown]
	s_cbranch_vccnz .LBB54_20
; %bb.19:
	v_mov_b32_e32 v3, v1
	s_delay_alu instid0(VALU_DEP_1) | instskip(NEXT) | instid1(VALU_DEP_1)
	v_mul_u64_e32 v[8:9], s[22:23], v[2:3]
	v_add_nc_u32_e32 v1, v2, v9
	s_delay_alu instid0(VALU_DEP_1) | instskip(NEXT) | instid1(VALU_DEP_1)
	v_lshrrev_b32_e32 v1, s17, v1
	v_mul_lo_u32 v1, v1, s7
	s_delay_alu instid0(VALU_DEP_1) | instskip(NEXT) | instid1(VALU_DEP_1)
	v_sub_nc_u32_e32 v1, v2, v1
	v_mad_u32 v4, v1, s11, v4
	v_mad_u32 v6, v1, s18, v6
	;; [unrolled: 1-line block ×3, first 2 shown]
.LBB54_20:
	global_load_u16 v1, v6, s[2:3]
	global_load_u16 v2, v5, s[14:15]
	v_add_nc_u32_e32 v0, 0x80, v0
	s_wait_loadcnt 0x1
	v_cmp_lt_f16_e32 vcc_lo, 0, v1
	s_wait_loadcnt 0x0
	v_mul_f16_e32 v2, v2, v1
	s_delay_alu instid0(VALU_DEP_1) | instskip(SKIP_3) | instid1(SALU_CYCLE_1)
	v_cndmask_b32_e32 v1, v2, v1, vcc_lo
	global_store_b16 v4, v1, s[0:1]
	s_wait_xcnt 0x0
	s_or_b32 exec_lo, exec_lo, s5
	s_mov_b32 s5, exec_lo
	v_cmpx_gt_i32_e64 s33, v0
	s_cbranch_execz .LBB54_3
.LBB54_21:
	s_and_not1_b32 vcc_lo, exec_lo, s28
	s_cbranch_vccnz .LBB54_27
; %bb.22:
	s_and_not1_b32 vcc_lo, exec_lo, s34
	s_cbranch_vccnz .LBB54_28
; %bb.23:
	v_dual_mov_b32 v4, 0 :: v_dual_mov_b32 v1, v0
	v_dual_mov_b32 v6, 0 :: v_dual_mov_b32 v5, 0
	s_add_co_i32 s16, s31, 1
	s_mov_b64 s[24:25], 0xffffffffffffffe8
	s_and_b32 s16, s16, 30
	s_add_nc_u64 s[24:25], s[12:13], s[24:25]
.LBB54_24:                              ; =>This Inner Loop Header: Depth=1
	s_clause 0x1
	s_load_b128 s[36:39], s[24:25], 0x1c
	s_load_b64 s[44:45], s[24:25], 0x2c
	s_add_co_i32 s16, s16, -2
	s_delay_alu instid0(SALU_CYCLE_1) | instskip(SKIP_2) | instid1(VALU_DEP_1)
	s_cmp_eq_u32 s16, 0
	s_wait_kmcnt 0x0
	v_mul_hi_u32 v2, s37, v1
	v_add_nc_u32_e32 v2, v1, v2
	s_delay_alu instid0(VALU_DEP_1) | instskip(NEXT) | instid1(VALU_DEP_1)
	v_lshrrev_b32_e32 v2, s38, v2
	v_mul_hi_u32 v3, s44, v2
	v_mul_lo_u32 v7, v2, s36
	s_clause 0x1
	s_load_b128 s[40:43], s[24:25], 0xdc
	s_load_b64 s[36:37], s[24:25], 0xec
	s_wait_xcnt 0x0
	s_add_nc_u64 s[24:25], s[24:25], 24
	s_delay_alu instid0(VALU_DEP_2) | instskip(NEXT) | instid1(VALU_DEP_2)
	v_add_nc_u32_e32 v3, v2, v3
	v_sub_nc_u32_e32 v7, v1, v7
	s_delay_alu instid0(VALU_DEP_2) | instskip(SKIP_1) | instid1(VALU_DEP_2)
	v_lshrrev_b32_e32 v1, s45, v3
	s_wait_kmcnt 0x0
	v_mad_u32 v4, v7, s40, v4
	s_delay_alu instid0(VALU_DEP_2) | instskip(SKIP_2) | instid1(VALU_DEP_3)
	v_mul_lo_u32 v3, v1, s39
	v_mad_u32 v5, v7, s42, v5
	v_mad_u32 v6, v7, s41, v6
	v_sub_nc_u32_e32 v2, v2, v3
	s_delay_alu instid0(VALU_DEP_1) | instskip(NEXT) | instid1(VALU_DEP_4)
	v_mad_u32 v4, v2, s43, v4
	v_mad_u32 v5, v2, s37, v5
	s_delay_alu instid0(VALU_DEP_4)
	v_mad_u32 v6, v2, s36, v6
	s_cbranch_scc0 .LBB54_24
; %bb.25:
	s_bitcmp1_b32 s31, 0
	s_cselect_b32 s16, -1, 0
	s_delay_alu instid0(SALU_CYCLE_1)
	s_and_b32 vcc_lo, exec_lo, s16
	s_cbranch_vccnz .LBB54_29
; %bb.26:
	s_clause 0x1
	s_load_b96 s[36:38], s[24:25], 0x1c
	s_load_b96 s[40:42], s[24:25], 0xdc
	s_wait_kmcnt 0x0
	v_mul_hi_u32 v2, s37, v1
	s_delay_alu instid0(VALU_DEP_1) | instskip(NEXT) | instid1(VALU_DEP_1)
	v_add_nc_u32_e32 v2, v1, v2
	v_lshrrev_b32_e32 v2, s38, v2
	s_delay_alu instid0(VALU_DEP_1) | instskip(NEXT) | instid1(VALU_DEP_1)
	v_mul_lo_u32 v2, v2, s36
	v_sub_nc_u32_e32 v1, v1, v2
	s_delay_alu instid0(VALU_DEP_1)
	v_mad_u32 v4, v1, s40, v4
	v_mad_u32 v6, v1, s41, v6
	;; [unrolled: 1-line block ×3, first 2 shown]
	s_branch .LBB54_29
.LBB54_27:
                                        ; implicit-def: $vgpr5
                                        ; implicit-def: $vgpr6
                                        ; implicit-def: $vgpr4
	s_branch .LBB54_30
.LBB54_28:
	v_dual_mov_b32 v5, 0 :: v_dual_mov_b32 v6, 0
	v_mov_b32_e32 v4, 0
.LBB54_29:
	s_cbranch_execnz .LBB54_32
.LBB54_30:
	v_mov_b32_e32 v1, 0
	s_and_not1_b32 vcc_lo, exec_lo, s30
	s_delay_alu instid0(VALU_DEP_1) | instskip(NEXT) | instid1(VALU_DEP_1)
	v_mul_u64_e32 v[2:3], s[20:21], v[0:1]
	v_add_nc_u32_e32 v2, v0, v3
	s_delay_alu instid0(VALU_DEP_1) | instskip(NEXT) | instid1(VALU_DEP_1)
	v_lshrrev_b32_e32 v2, s6, v2
	v_mul_lo_u32 v3, v2, s4
	s_delay_alu instid0(VALU_DEP_1) | instskip(NEXT) | instid1(VALU_DEP_1)
	v_sub_nc_u32_e32 v3, v0, v3
	v_mul_lo_u32 v4, v3, s8
	v_mul_lo_u32 v5, v3, s10
	;; [unrolled: 1-line block ×3, first 2 shown]
	s_cbranch_vccnz .LBB54_32
; %bb.31:
	v_mov_b32_e32 v3, v1
	s_delay_alu instid0(VALU_DEP_1) | instskip(NEXT) | instid1(VALU_DEP_1)
	v_mul_u64_e32 v[8:9], s[22:23], v[2:3]
	v_add_nc_u32_e32 v1, v2, v9
	s_delay_alu instid0(VALU_DEP_1) | instskip(NEXT) | instid1(VALU_DEP_1)
	v_lshrrev_b32_e32 v1, s17, v1
	v_mul_lo_u32 v1, v1, s7
	s_delay_alu instid0(VALU_DEP_1) | instskip(NEXT) | instid1(VALU_DEP_1)
	v_sub_nc_u32_e32 v1, v2, v1
	v_mad_u32 v4, v1, s11, v4
	v_mad_u32 v6, v1, s18, v6
	v_mad_u32 v5, v1, s19, v5
.LBB54_32:
	global_load_u16 v1, v6, s[2:3]
	global_load_u16 v2, v5, s[14:15]
	v_add_nc_u32_e32 v0, 0x80, v0
	s_wait_loadcnt 0x1
	v_cmp_lt_f16_e32 vcc_lo, 0, v1
	s_wait_loadcnt 0x0
	v_mul_f16_e32 v2, v2, v1
	s_delay_alu instid0(VALU_DEP_1) | instskip(SKIP_3) | instid1(SALU_CYCLE_1)
	v_cndmask_b32_e32 v1, v2, v1, vcc_lo
	global_store_b16 v4, v1, s[0:1]
	s_wait_xcnt 0x0
	s_or_b32 exec_lo, exec_lo, s5
	s_mov_b32 s5, exec_lo
	v_cmpx_gt_i32_e64 s33, v0
	s_cbranch_execz .LBB54_4
.LBB54_33:
	s_and_not1_b32 vcc_lo, exec_lo, s28
	s_cbranch_vccnz .LBB54_39
; %bb.34:
	s_and_not1_b32 vcc_lo, exec_lo, s34
	s_cbranch_vccnz .LBB54_40
; %bb.35:
	v_dual_mov_b32 v4, 0 :: v_dual_mov_b32 v1, v0
	v_dual_mov_b32 v6, 0 :: v_dual_mov_b32 v5, 0
	s_add_co_i32 s16, s31, 1
	s_mov_b64 s[24:25], 0xffffffffffffffe8
	s_and_b32 s16, s16, 30
	s_add_nc_u64 s[24:25], s[12:13], s[24:25]
.LBB54_36:                              ; =>This Inner Loop Header: Depth=1
	s_clause 0x1
	s_load_b128 s[36:39], s[24:25], 0x1c
	s_load_b64 s[44:45], s[24:25], 0x2c
	s_add_co_i32 s16, s16, -2
	s_delay_alu instid0(SALU_CYCLE_1) | instskip(SKIP_2) | instid1(VALU_DEP_1)
	s_cmp_eq_u32 s16, 0
	s_wait_kmcnt 0x0
	v_mul_hi_u32 v2, s37, v1
	v_add_nc_u32_e32 v2, v1, v2
	s_delay_alu instid0(VALU_DEP_1) | instskip(NEXT) | instid1(VALU_DEP_1)
	v_lshrrev_b32_e32 v2, s38, v2
	v_mul_hi_u32 v3, s44, v2
	v_mul_lo_u32 v7, v2, s36
	s_clause 0x1
	s_load_b128 s[40:43], s[24:25], 0xdc
	s_load_b64 s[36:37], s[24:25], 0xec
	s_wait_xcnt 0x0
	s_add_nc_u64 s[24:25], s[24:25], 24
	s_delay_alu instid0(VALU_DEP_2) | instskip(NEXT) | instid1(VALU_DEP_2)
	v_add_nc_u32_e32 v3, v2, v3
	v_sub_nc_u32_e32 v7, v1, v7
	s_delay_alu instid0(VALU_DEP_2) | instskip(SKIP_1) | instid1(VALU_DEP_2)
	v_lshrrev_b32_e32 v1, s45, v3
	s_wait_kmcnt 0x0
	v_mad_u32 v4, v7, s40, v4
	s_delay_alu instid0(VALU_DEP_2) | instskip(SKIP_2) | instid1(VALU_DEP_3)
	v_mul_lo_u32 v3, v1, s39
	v_mad_u32 v5, v7, s42, v5
	v_mad_u32 v6, v7, s41, v6
	v_sub_nc_u32_e32 v2, v2, v3
	s_delay_alu instid0(VALU_DEP_1) | instskip(NEXT) | instid1(VALU_DEP_4)
	v_mad_u32 v4, v2, s43, v4
	v_mad_u32 v5, v2, s37, v5
	s_delay_alu instid0(VALU_DEP_4)
	v_mad_u32 v6, v2, s36, v6
	s_cbranch_scc0 .LBB54_36
; %bb.37:
	s_bitcmp1_b32 s31, 0
	s_cselect_b32 s16, -1, 0
	s_delay_alu instid0(SALU_CYCLE_1)
	s_and_b32 vcc_lo, exec_lo, s16
	s_cbranch_vccnz .LBB54_41
; %bb.38:
	s_clause 0x1
	s_load_b96 s[36:38], s[24:25], 0x1c
	s_load_b96 s[40:42], s[24:25], 0xdc
	s_wait_kmcnt 0x0
	v_mul_hi_u32 v2, s37, v1
	s_delay_alu instid0(VALU_DEP_1) | instskip(NEXT) | instid1(VALU_DEP_1)
	v_add_nc_u32_e32 v2, v1, v2
	v_lshrrev_b32_e32 v2, s38, v2
	s_delay_alu instid0(VALU_DEP_1) | instskip(NEXT) | instid1(VALU_DEP_1)
	v_mul_lo_u32 v2, v2, s36
	v_sub_nc_u32_e32 v1, v1, v2
	s_delay_alu instid0(VALU_DEP_1)
	v_mad_u32 v4, v1, s40, v4
	v_mad_u32 v6, v1, s41, v6
	;; [unrolled: 1-line block ×3, first 2 shown]
	s_branch .LBB54_41
.LBB54_39:
                                        ; implicit-def: $vgpr5
                                        ; implicit-def: $vgpr6
                                        ; implicit-def: $vgpr4
	s_branch .LBB54_42
.LBB54_40:
	v_dual_mov_b32 v5, 0 :: v_dual_mov_b32 v6, 0
	v_mov_b32_e32 v4, 0
.LBB54_41:
	s_cbranch_execnz .LBB54_44
.LBB54_42:
	v_mov_b32_e32 v1, 0
	s_and_not1_b32 vcc_lo, exec_lo, s30
	s_delay_alu instid0(VALU_DEP_1) | instskip(NEXT) | instid1(VALU_DEP_1)
	v_mul_u64_e32 v[2:3], s[20:21], v[0:1]
	v_add_nc_u32_e32 v2, v0, v3
	s_delay_alu instid0(VALU_DEP_1) | instskip(NEXT) | instid1(VALU_DEP_1)
	v_lshrrev_b32_e32 v2, s6, v2
	v_mul_lo_u32 v3, v2, s4
	s_delay_alu instid0(VALU_DEP_1) | instskip(NEXT) | instid1(VALU_DEP_1)
	v_sub_nc_u32_e32 v3, v0, v3
	v_mul_lo_u32 v4, v3, s8
	v_mul_lo_u32 v5, v3, s10
	v_mul_lo_u32 v6, v3, s9
	s_cbranch_vccnz .LBB54_44
; %bb.43:
	v_mov_b32_e32 v3, v1
	s_delay_alu instid0(VALU_DEP_1) | instskip(NEXT) | instid1(VALU_DEP_1)
	v_mul_u64_e32 v[8:9], s[22:23], v[2:3]
	v_add_nc_u32_e32 v1, v2, v9
	s_delay_alu instid0(VALU_DEP_1) | instskip(NEXT) | instid1(VALU_DEP_1)
	v_lshrrev_b32_e32 v1, s17, v1
	v_mul_lo_u32 v1, v1, s7
	s_delay_alu instid0(VALU_DEP_1) | instskip(NEXT) | instid1(VALU_DEP_1)
	v_sub_nc_u32_e32 v1, v2, v1
	v_mad_u32 v4, v1, s11, v4
	v_mad_u32 v6, v1, s18, v6
	;; [unrolled: 1-line block ×3, first 2 shown]
.LBB54_44:
	global_load_u16 v1, v6, s[2:3]
	global_load_u16 v2, v5, s[14:15]
	v_add_nc_u32_e32 v0, 0x80, v0
	s_wait_loadcnt 0x1
	v_cmp_lt_f16_e32 vcc_lo, 0, v1
	s_wait_loadcnt 0x0
	v_mul_f16_e32 v2, v2, v1
	s_delay_alu instid0(VALU_DEP_1) | instskip(SKIP_3) | instid1(SALU_CYCLE_1)
	v_cndmask_b32_e32 v1, v2, v1, vcc_lo
	global_store_b16 v4, v1, s[0:1]
	s_wait_xcnt 0x0
	s_or_b32 exec_lo, exec_lo, s5
	s_mov_b32 s5, exec_lo
	v_cmpx_gt_i32_e64 s33, v0
	s_cbranch_execz .LBB54_5
.LBB54_45:
	s_and_not1_b32 vcc_lo, exec_lo, s28
	s_cbranch_vccnz .LBB54_51
; %bb.46:
	s_and_not1_b32 vcc_lo, exec_lo, s34
	s_cbranch_vccnz .LBB54_52
; %bb.47:
	v_dual_mov_b32 v4, 0 :: v_dual_mov_b32 v1, v0
	v_dual_mov_b32 v6, 0 :: v_dual_mov_b32 v5, 0
	s_add_co_i32 s16, s31, 1
	s_mov_b64 s[24:25], 0xffffffffffffffe8
	s_and_b32 s16, s16, 30
	s_add_nc_u64 s[24:25], s[12:13], s[24:25]
.LBB54_48:                              ; =>This Inner Loop Header: Depth=1
	s_clause 0x1
	s_load_b128 s[36:39], s[24:25], 0x1c
	s_load_b64 s[44:45], s[24:25], 0x2c
	s_add_co_i32 s16, s16, -2
	s_delay_alu instid0(SALU_CYCLE_1) | instskip(SKIP_2) | instid1(VALU_DEP_1)
	s_cmp_eq_u32 s16, 0
	s_wait_kmcnt 0x0
	v_mul_hi_u32 v2, s37, v1
	v_add_nc_u32_e32 v2, v1, v2
	s_delay_alu instid0(VALU_DEP_1) | instskip(NEXT) | instid1(VALU_DEP_1)
	v_lshrrev_b32_e32 v2, s38, v2
	v_mul_hi_u32 v3, s44, v2
	v_mul_lo_u32 v7, v2, s36
	s_clause 0x1
	s_load_b128 s[40:43], s[24:25], 0xdc
	s_load_b64 s[36:37], s[24:25], 0xec
	s_wait_xcnt 0x0
	s_add_nc_u64 s[24:25], s[24:25], 24
	s_delay_alu instid0(VALU_DEP_2) | instskip(NEXT) | instid1(VALU_DEP_2)
	v_add_nc_u32_e32 v3, v2, v3
	v_sub_nc_u32_e32 v7, v1, v7
	s_delay_alu instid0(VALU_DEP_2) | instskip(SKIP_1) | instid1(VALU_DEP_2)
	v_lshrrev_b32_e32 v1, s45, v3
	s_wait_kmcnt 0x0
	v_mad_u32 v4, v7, s40, v4
	s_delay_alu instid0(VALU_DEP_2) | instskip(SKIP_2) | instid1(VALU_DEP_3)
	v_mul_lo_u32 v3, v1, s39
	v_mad_u32 v5, v7, s42, v5
	v_mad_u32 v6, v7, s41, v6
	v_sub_nc_u32_e32 v2, v2, v3
	s_delay_alu instid0(VALU_DEP_1) | instskip(NEXT) | instid1(VALU_DEP_4)
	v_mad_u32 v4, v2, s43, v4
	v_mad_u32 v5, v2, s37, v5
	s_delay_alu instid0(VALU_DEP_4)
	v_mad_u32 v6, v2, s36, v6
	s_cbranch_scc0 .LBB54_48
; %bb.49:
	s_bitcmp1_b32 s31, 0
	s_cselect_b32 s16, -1, 0
	s_delay_alu instid0(SALU_CYCLE_1)
	s_and_b32 vcc_lo, exec_lo, s16
	s_cbranch_vccnz .LBB54_53
; %bb.50:
	s_clause 0x1
	s_load_b96 s[36:38], s[24:25], 0x1c
	s_load_b96 s[40:42], s[24:25], 0xdc
	s_wait_kmcnt 0x0
	v_mul_hi_u32 v2, s37, v1
	s_delay_alu instid0(VALU_DEP_1) | instskip(NEXT) | instid1(VALU_DEP_1)
	v_add_nc_u32_e32 v2, v1, v2
	v_lshrrev_b32_e32 v2, s38, v2
	s_delay_alu instid0(VALU_DEP_1) | instskip(NEXT) | instid1(VALU_DEP_1)
	v_mul_lo_u32 v2, v2, s36
	v_sub_nc_u32_e32 v1, v1, v2
	s_delay_alu instid0(VALU_DEP_1)
	v_mad_u32 v4, v1, s40, v4
	v_mad_u32 v6, v1, s41, v6
	;; [unrolled: 1-line block ×3, first 2 shown]
	s_branch .LBB54_53
.LBB54_51:
                                        ; implicit-def: $vgpr5
                                        ; implicit-def: $vgpr6
                                        ; implicit-def: $vgpr4
	s_branch .LBB54_54
.LBB54_52:
	v_dual_mov_b32 v5, 0 :: v_dual_mov_b32 v6, 0
	v_mov_b32_e32 v4, 0
.LBB54_53:
	s_cbranch_execnz .LBB54_56
.LBB54_54:
	v_mov_b32_e32 v1, 0
	s_and_not1_b32 vcc_lo, exec_lo, s30
	s_delay_alu instid0(VALU_DEP_1) | instskip(NEXT) | instid1(VALU_DEP_1)
	v_mul_u64_e32 v[2:3], s[20:21], v[0:1]
	v_add_nc_u32_e32 v2, v0, v3
	s_delay_alu instid0(VALU_DEP_1) | instskip(NEXT) | instid1(VALU_DEP_1)
	v_lshrrev_b32_e32 v2, s6, v2
	v_mul_lo_u32 v3, v2, s4
	s_delay_alu instid0(VALU_DEP_1) | instskip(NEXT) | instid1(VALU_DEP_1)
	v_sub_nc_u32_e32 v3, v0, v3
	v_mul_lo_u32 v4, v3, s8
	v_mul_lo_u32 v5, v3, s10
	;; [unrolled: 1-line block ×3, first 2 shown]
	s_cbranch_vccnz .LBB54_56
; %bb.55:
	v_mov_b32_e32 v3, v1
	s_delay_alu instid0(VALU_DEP_1) | instskip(NEXT) | instid1(VALU_DEP_1)
	v_mul_u64_e32 v[8:9], s[22:23], v[2:3]
	v_add_nc_u32_e32 v1, v2, v9
	s_delay_alu instid0(VALU_DEP_1) | instskip(NEXT) | instid1(VALU_DEP_1)
	v_lshrrev_b32_e32 v1, s17, v1
	v_mul_lo_u32 v1, v1, s7
	s_delay_alu instid0(VALU_DEP_1) | instskip(NEXT) | instid1(VALU_DEP_1)
	v_sub_nc_u32_e32 v1, v2, v1
	v_mad_u32 v4, v1, s11, v4
	v_mad_u32 v6, v1, s18, v6
	;; [unrolled: 1-line block ×3, first 2 shown]
.LBB54_56:
	global_load_u16 v1, v6, s[2:3]
	global_load_u16 v2, v5, s[14:15]
	v_add_nc_u32_e32 v0, 0x80, v0
	s_wait_loadcnt 0x1
	v_cmp_lt_f16_e32 vcc_lo, 0, v1
	s_wait_loadcnt 0x0
	v_mul_f16_e32 v2, v2, v1
	s_delay_alu instid0(VALU_DEP_1) | instskip(SKIP_3) | instid1(SALU_CYCLE_1)
	v_cndmask_b32_e32 v1, v2, v1, vcc_lo
	global_store_b16 v4, v1, s[0:1]
	s_wait_xcnt 0x0
	s_or_b32 exec_lo, exec_lo, s5
	s_mov_b32 s5, exec_lo
	v_cmpx_gt_i32_e64 s33, v0
	s_cbranch_execz .LBB54_6
.LBB54_57:
	s_and_not1_b32 vcc_lo, exec_lo, s28
	s_cbranch_vccnz .LBB54_63
; %bb.58:
	s_and_not1_b32 vcc_lo, exec_lo, s34
	s_cbranch_vccnz .LBB54_64
; %bb.59:
	v_dual_mov_b32 v4, 0 :: v_dual_mov_b32 v1, v0
	v_dual_mov_b32 v6, 0 :: v_dual_mov_b32 v5, 0
	s_add_co_i32 s16, s31, 1
	s_mov_b64 s[24:25], 0xffffffffffffffe8
	s_and_b32 s16, s16, 30
	s_add_nc_u64 s[24:25], s[12:13], s[24:25]
.LBB54_60:                              ; =>This Inner Loop Header: Depth=1
	s_clause 0x1
	s_load_b128 s[36:39], s[24:25], 0x1c
	s_load_b64 s[44:45], s[24:25], 0x2c
	s_add_co_i32 s16, s16, -2
	s_delay_alu instid0(SALU_CYCLE_1) | instskip(SKIP_2) | instid1(VALU_DEP_1)
	s_cmp_eq_u32 s16, 0
	s_wait_kmcnt 0x0
	v_mul_hi_u32 v2, s37, v1
	v_add_nc_u32_e32 v2, v1, v2
	s_delay_alu instid0(VALU_DEP_1) | instskip(NEXT) | instid1(VALU_DEP_1)
	v_lshrrev_b32_e32 v2, s38, v2
	v_mul_hi_u32 v3, s44, v2
	v_mul_lo_u32 v7, v2, s36
	s_clause 0x1
	s_load_b128 s[40:43], s[24:25], 0xdc
	s_load_b64 s[36:37], s[24:25], 0xec
	s_wait_xcnt 0x0
	s_add_nc_u64 s[24:25], s[24:25], 24
	s_delay_alu instid0(VALU_DEP_2) | instskip(NEXT) | instid1(VALU_DEP_2)
	v_add_nc_u32_e32 v3, v2, v3
	v_sub_nc_u32_e32 v7, v1, v7
	s_delay_alu instid0(VALU_DEP_2) | instskip(SKIP_1) | instid1(VALU_DEP_2)
	v_lshrrev_b32_e32 v1, s45, v3
	s_wait_kmcnt 0x0
	v_mad_u32 v4, v7, s40, v4
	s_delay_alu instid0(VALU_DEP_2) | instskip(SKIP_2) | instid1(VALU_DEP_3)
	v_mul_lo_u32 v3, v1, s39
	v_mad_u32 v5, v7, s42, v5
	v_mad_u32 v6, v7, s41, v6
	v_sub_nc_u32_e32 v2, v2, v3
	s_delay_alu instid0(VALU_DEP_1) | instskip(NEXT) | instid1(VALU_DEP_4)
	v_mad_u32 v4, v2, s43, v4
	v_mad_u32 v5, v2, s37, v5
	s_delay_alu instid0(VALU_DEP_4)
	v_mad_u32 v6, v2, s36, v6
	s_cbranch_scc0 .LBB54_60
; %bb.61:
	s_bitcmp1_b32 s31, 0
	s_cselect_b32 s16, -1, 0
	s_delay_alu instid0(SALU_CYCLE_1)
	s_and_b32 vcc_lo, exec_lo, s16
	s_cbranch_vccnz .LBB54_65
; %bb.62:
	s_clause 0x1
	s_load_b96 s[36:38], s[24:25], 0x1c
	s_load_b96 s[40:42], s[24:25], 0xdc
	s_wait_kmcnt 0x0
	v_mul_hi_u32 v2, s37, v1
	s_delay_alu instid0(VALU_DEP_1) | instskip(NEXT) | instid1(VALU_DEP_1)
	v_add_nc_u32_e32 v2, v1, v2
	v_lshrrev_b32_e32 v2, s38, v2
	s_delay_alu instid0(VALU_DEP_1) | instskip(NEXT) | instid1(VALU_DEP_1)
	v_mul_lo_u32 v2, v2, s36
	v_sub_nc_u32_e32 v1, v1, v2
	s_delay_alu instid0(VALU_DEP_1)
	v_mad_u32 v4, v1, s40, v4
	v_mad_u32 v6, v1, s41, v6
	;; [unrolled: 1-line block ×3, first 2 shown]
	s_branch .LBB54_65
.LBB54_63:
                                        ; implicit-def: $vgpr5
                                        ; implicit-def: $vgpr6
                                        ; implicit-def: $vgpr4
	s_branch .LBB54_66
.LBB54_64:
	v_dual_mov_b32 v5, 0 :: v_dual_mov_b32 v6, 0
	v_mov_b32_e32 v4, 0
.LBB54_65:
	s_cbranch_execnz .LBB54_68
.LBB54_66:
	v_mov_b32_e32 v1, 0
	s_and_not1_b32 vcc_lo, exec_lo, s30
	s_delay_alu instid0(VALU_DEP_1) | instskip(NEXT) | instid1(VALU_DEP_1)
	v_mul_u64_e32 v[2:3], s[20:21], v[0:1]
	v_add_nc_u32_e32 v2, v0, v3
	s_delay_alu instid0(VALU_DEP_1) | instskip(NEXT) | instid1(VALU_DEP_1)
	v_lshrrev_b32_e32 v2, s6, v2
	v_mul_lo_u32 v3, v2, s4
	s_delay_alu instid0(VALU_DEP_1) | instskip(NEXT) | instid1(VALU_DEP_1)
	v_sub_nc_u32_e32 v3, v0, v3
	v_mul_lo_u32 v4, v3, s8
	v_mul_lo_u32 v5, v3, s10
	;; [unrolled: 1-line block ×3, first 2 shown]
	s_cbranch_vccnz .LBB54_68
; %bb.67:
	v_mov_b32_e32 v3, v1
	s_delay_alu instid0(VALU_DEP_1) | instskip(NEXT) | instid1(VALU_DEP_1)
	v_mul_u64_e32 v[8:9], s[22:23], v[2:3]
	v_add_nc_u32_e32 v1, v2, v9
	s_delay_alu instid0(VALU_DEP_1) | instskip(NEXT) | instid1(VALU_DEP_1)
	v_lshrrev_b32_e32 v1, s17, v1
	v_mul_lo_u32 v1, v1, s7
	s_delay_alu instid0(VALU_DEP_1) | instskip(NEXT) | instid1(VALU_DEP_1)
	v_sub_nc_u32_e32 v1, v2, v1
	v_mad_u32 v4, v1, s11, v4
	v_mad_u32 v6, v1, s18, v6
	v_mad_u32 v5, v1, s19, v5
.LBB54_68:
	global_load_u16 v1, v6, s[2:3]
	global_load_u16 v2, v5, s[14:15]
	v_add_nc_u32_e32 v0, 0x80, v0
	s_wait_loadcnt 0x1
	v_cmp_lt_f16_e32 vcc_lo, 0, v1
	s_wait_loadcnt 0x0
	v_mul_f16_e32 v2, v2, v1
	s_delay_alu instid0(VALU_DEP_1) | instskip(SKIP_3) | instid1(SALU_CYCLE_1)
	v_cndmask_b32_e32 v1, v2, v1, vcc_lo
	global_store_b16 v4, v1, s[0:1]
	s_wait_xcnt 0x0
	s_or_b32 exec_lo, exec_lo, s5
	s_mov_b32 s5, exec_lo
	v_cmpx_gt_i32_e64 s33, v0
	s_cbranch_execz .LBB54_7
.LBB54_69:
	s_and_not1_b32 vcc_lo, exec_lo, s28
	s_cbranch_vccnz .LBB54_75
; %bb.70:
	s_and_not1_b32 vcc_lo, exec_lo, s34
	s_cbranch_vccnz .LBB54_76
; %bb.71:
	v_dual_mov_b32 v4, 0 :: v_dual_mov_b32 v1, v0
	v_dual_mov_b32 v6, 0 :: v_dual_mov_b32 v5, 0
	s_add_co_i32 s16, s31, 1
	s_mov_b64 s[24:25], 0xffffffffffffffe8
	s_and_b32 s16, s16, 30
	s_add_nc_u64 s[24:25], s[12:13], s[24:25]
.LBB54_72:                              ; =>This Inner Loop Header: Depth=1
	s_clause 0x1
	s_load_b128 s[36:39], s[24:25], 0x1c
	s_load_b64 s[44:45], s[24:25], 0x2c
	s_add_co_i32 s16, s16, -2
	s_delay_alu instid0(SALU_CYCLE_1) | instskip(SKIP_2) | instid1(VALU_DEP_1)
	s_cmp_eq_u32 s16, 0
	s_wait_kmcnt 0x0
	v_mul_hi_u32 v2, s37, v1
	v_add_nc_u32_e32 v2, v1, v2
	s_delay_alu instid0(VALU_DEP_1) | instskip(NEXT) | instid1(VALU_DEP_1)
	v_lshrrev_b32_e32 v2, s38, v2
	v_mul_hi_u32 v3, s44, v2
	v_mul_lo_u32 v7, v2, s36
	s_clause 0x1
	s_load_b128 s[40:43], s[24:25], 0xdc
	s_load_b64 s[36:37], s[24:25], 0xec
	s_wait_xcnt 0x0
	s_add_nc_u64 s[24:25], s[24:25], 24
	s_delay_alu instid0(VALU_DEP_2) | instskip(NEXT) | instid1(VALU_DEP_2)
	v_add_nc_u32_e32 v3, v2, v3
	v_sub_nc_u32_e32 v7, v1, v7
	s_delay_alu instid0(VALU_DEP_2) | instskip(SKIP_1) | instid1(VALU_DEP_2)
	v_lshrrev_b32_e32 v1, s45, v3
	s_wait_kmcnt 0x0
	v_mad_u32 v4, v7, s40, v4
	s_delay_alu instid0(VALU_DEP_2) | instskip(SKIP_2) | instid1(VALU_DEP_3)
	v_mul_lo_u32 v3, v1, s39
	v_mad_u32 v5, v7, s42, v5
	v_mad_u32 v6, v7, s41, v6
	v_sub_nc_u32_e32 v2, v2, v3
	s_delay_alu instid0(VALU_DEP_1) | instskip(NEXT) | instid1(VALU_DEP_4)
	v_mad_u32 v4, v2, s43, v4
	v_mad_u32 v5, v2, s37, v5
	s_delay_alu instid0(VALU_DEP_4)
	v_mad_u32 v6, v2, s36, v6
	s_cbranch_scc0 .LBB54_72
; %bb.73:
	s_bitcmp1_b32 s31, 0
	s_cselect_b32 s16, -1, 0
	s_delay_alu instid0(SALU_CYCLE_1)
	s_and_b32 vcc_lo, exec_lo, s16
	s_cbranch_vccnz .LBB54_77
; %bb.74:
	s_clause 0x1
	s_load_b96 s[36:38], s[24:25], 0x1c
	s_load_b96 s[40:42], s[24:25], 0xdc
	s_wait_kmcnt 0x0
	v_mul_hi_u32 v2, s37, v1
	s_delay_alu instid0(VALU_DEP_1) | instskip(NEXT) | instid1(VALU_DEP_1)
	v_add_nc_u32_e32 v2, v1, v2
	v_lshrrev_b32_e32 v2, s38, v2
	s_delay_alu instid0(VALU_DEP_1) | instskip(NEXT) | instid1(VALU_DEP_1)
	v_mul_lo_u32 v2, v2, s36
	v_sub_nc_u32_e32 v1, v1, v2
	s_delay_alu instid0(VALU_DEP_1)
	v_mad_u32 v4, v1, s40, v4
	v_mad_u32 v6, v1, s41, v6
	;; [unrolled: 1-line block ×3, first 2 shown]
	s_branch .LBB54_77
.LBB54_75:
                                        ; implicit-def: $vgpr5
                                        ; implicit-def: $vgpr6
                                        ; implicit-def: $vgpr4
	s_branch .LBB54_78
.LBB54_76:
	v_dual_mov_b32 v5, 0 :: v_dual_mov_b32 v6, 0
	v_mov_b32_e32 v4, 0
.LBB54_77:
	s_cbranch_execnz .LBB54_80
.LBB54_78:
	v_mov_b32_e32 v1, 0
	s_and_not1_b32 vcc_lo, exec_lo, s30
	s_delay_alu instid0(VALU_DEP_1) | instskip(NEXT) | instid1(VALU_DEP_1)
	v_mul_u64_e32 v[2:3], s[20:21], v[0:1]
	v_add_nc_u32_e32 v2, v0, v3
	s_delay_alu instid0(VALU_DEP_1) | instskip(NEXT) | instid1(VALU_DEP_1)
	v_lshrrev_b32_e32 v2, s6, v2
	v_mul_lo_u32 v3, v2, s4
	s_delay_alu instid0(VALU_DEP_1) | instskip(NEXT) | instid1(VALU_DEP_1)
	v_sub_nc_u32_e32 v3, v0, v3
	v_mul_lo_u32 v4, v3, s8
	v_mul_lo_u32 v5, v3, s10
	;; [unrolled: 1-line block ×3, first 2 shown]
	s_cbranch_vccnz .LBB54_80
; %bb.79:
	v_mov_b32_e32 v3, v1
	s_delay_alu instid0(VALU_DEP_1) | instskip(NEXT) | instid1(VALU_DEP_1)
	v_mul_u64_e32 v[8:9], s[22:23], v[2:3]
	v_add_nc_u32_e32 v1, v2, v9
	s_delay_alu instid0(VALU_DEP_1) | instskip(NEXT) | instid1(VALU_DEP_1)
	v_lshrrev_b32_e32 v1, s17, v1
	v_mul_lo_u32 v1, v1, s7
	s_delay_alu instid0(VALU_DEP_1) | instskip(NEXT) | instid1(VALU_DEP_1)
	v_sub_nc_u32_e32 v1, v2, v1
	v_mad_u32 v4, v1, s11, v4
	v_mad_u32 v6, v1, s18, v6
	;; [unrolled: 1-line block ×3, first 2 shown]
.LBB54_80:
	global_load_u16 v1, v6, s[2:3]
	global_load_u16 v2, v5, s[14:15]
	v_add_nc_u32_e32 v0, 0x80, v0
	s_wait_loadcnt 0x1
	v_cmp_lt_f16_e32 vcc_lo, 0, v1
	s_wait_loadcnt 0x0
	v_mul_f16_e32 v2, v2, v1
	s_delay_alu instid0(VALU_DEP_1) | instskip(SKIP_3) | instid1(SALU_CYCLE_1)
	v_cndmask_b32_e32 v1, v2, v1, vcc_lo
	global_store_b16 v4, v1, s[0:1]
	s_wait_xcnt 0x0
	s_or_b32 exec_lo, exec_lo, s5
	s_mov_b32 s5, exec_lo
	v_cmpx_gt_i32_e64 s33, v0
	s_cbranch_execz .LBB54_8
.LBB54_81:
	s_and_not1_b32 vcc_lo, exec_lo, s28
	s_cbranch_vccnz .LBB54_87
; %bb.82:
	s_and_not1_b32 vcc_lo, exec_lo, s34
	s_cbranch_vccnz .LBB54_88
; %bb.83:
	v_dual_mov_b32 v4, 0 :: v_dual_mov_b32 v1, v0
	v_dual_mov_b32 v6, 0 :: v_dual_mov_b32 v5, 0
	s_add_co_i32 s16, s31, 1
	s_mov_b64 s[24:25], 0xffffffffffffffe8
	s_and_b32 s16, s16, 30
	s_add_nc_u64 s[24:25], s[12:13], s[24:25]
.LBB54_84:                              ; =>This Inner Loop Header: Depth=1
	s_clause 0x1
	s_load_b128 s[36:39], s[24:25], 0x1c
	s_load_b64 s[44:45], s[24:25], 0x2c
	s_add_co_i32 s16, s16, -2
	s_delay_alu instid0(SALU_CYCLE_1) | instskip(SKIP_2) | instid1(VALU_DEP_1)
	s_cmp_eq_u32 s16, 0
	s_wait_kmcnt 0x0
	v_mul_hi_u32 v2, s37, v1
	v_add_nc_u32_e32 v2, v1, v2
	s_delay_alu instid0(VALU_DEP_1) | instskip(NEXT) | instid1(VALU_DEP_1)
	v_lshrrev_b32_e32 v2, s38, v2
	v_mul_hi_u32 v3, s44, v2
	v_mul_lo_u32 v7, v2, s36
	s_clause 0x1
	s_load_b128 s[40:43], s[24:25], 0xdc
	s_load_b64 s[36:37], s[24:25], 0xec
	s_wait_xcnt 0x0
	s_add_nc_u64 s[24:25], s[24:25], 24
	s_delay_alu instid0(VALU_DEP_2) | instskip(NEXT) | instid1(VALU_DEP_2)
	v_add_nc_u32_e32 v3, v2, v3
	v_sub_nc_u32_e32 v7, v1, v7
	s_delay_alu instid0(VALU_DEP_2) | instskip(SKIP_1) | instid1(VALU_DEP_2)
	v_lshrrev_b32_e32 v1, s45, v3
	s_wait_kmcnt 0x0
	v_mad_u32 v4, v7, s40, v4
	s_delay_alu instid0(VALU_DEP_2) | instskip(SKIP_2) | instid1(VALU_DEP_3)
	v_mul_lo_u32 v3, v1, s39
	v_mad_u32 v5, v7, s42, v5
	v_mad_u32 v6, v7, s41, v6
	v_sub_nc_u32_e32 v2, v2, v3
	s_delay_alu instid0(VALU_DEP_1) | instskip(NEXT) | instid1(VALU_DEP_4)
	v_mad_u32 v4, v2, s43, v4
	v_mad_u32 v5, v2, s37, v5
	s_delay_alu instid0(VALU_DEP_4)
	v_mad_u32 v6, v2, s36, v6
	s_cbranch_scc0 .LBB54_84
; %bb.85:
	s_bitcmp1_b32 s31, 0
	s_cselect_b32 s16, -1, 0
	s_delay_alu instid0(SALU_CYCLE_1)
	s_and_b32 vcc_lo, exec_lo, s16
	s_cbranch_vccnz .LBB54_89
; %bb.86:
	s_clause 0x1
	s_load_b96 s[36:38], s[24:25], 0x1c
	s_load_b96 s[40:42], s[24:25], 0xdc
	s_wait_kmcnt 0x0
	v_mul_hi_u32 v2, s37, v1
	s_delay_alu instid0(VALU_DEP_1) | instskip(NEXT) | instid1(VALU_DEP_1)
	v_add_nc_u32_e32 v2, v1, v2
	v_lshrrev_b32_e32 v2, s38, v2
	s_delay_alu instid0(VALU_DEP_1) | instskip(NEXT) | instid1(VALU_DEP_1)
	v_mul_lo_u32 v2, v2, s36
	v_sub_nc_u32_e32 v1, v1, v2
	s_delay_alu instid0(VALU_DEP_1)
	v_mad_u32 v4, v1, s40, v4
	v_mad_u32 v6, v1, s41, v6
	;; [unrolled: 1-line block ×3, first 2 shown]
	s_branch .LBB54_89
.LBB54_87:
                                        ; implicit-def: $vgpr5
                                        ; implicit-def: $vgpr6
                                        ; implicit-def: $vgpr4
	s_branch .LBB54_90
.LBB54_88:
	v_dual_mov_b32 v5, 0 :: v_dual_mov_b32 v6, 0
	v_mov_b32_e32 v4, 0
.LBB54_89:
	s_cbranch_execnz .LBB54_92
.LBB54_90:
	v_mov_b32_e32 v1, 0
	s_and_not1_b32 vcc_lo, exec_lo, s30
	s_delay_alu instid0(VALU_DEP_1) | instskip(NEXT) | instid1(VALU_DEP_1)
	v_mul_u64_e32 v[2:3], s[20:21], v[0:1]
	v_add_nc_u32_e32 v2, v0, v3
	s_delay_alu instid0(VALU_DEP_1) | instskip(NEXT) | instid1(VALU_DEP_1)
	v_lshrrev_b32_e32 v2, s6, v2
	v_mul_lo_u32 v3, v2, s4
	s_delay_alu instid0(VALU_DEP_1) | instskip(NEXT) | instid1(VALU_DEP_1)
	v_sub_nc_u32_e32 v3, v0, v3
	v_mul_lo_u32 v4, v3, s8
	v_mul_lo_u32 v5, v3, s10
	;; [unrolled: 1-line block ×3, first 2 shown]
	s_cbranch_vccnz .LBB54_92
; %bb.91:
	v_mov_b32_e32 v3, v1
	s_delay_alu instid0(VALU_DEP_1) | instskip(NEXT) | instid1(VALU_DEP_1)
	v_mul_u64_e32 v[8:9], s[22:23], v[2:3]
	v_add_nc_u32_e32 v1, v2, v9
	s_delay_alu instid0(VALU_DEP_1) | instskip(NEXT) | instid1(VALU_DEP_1)
	v_lshrrev_b32_e32 v1, s17, v1
	v_mul_lo_u32 v1, v1, s7
	s_delay_alu instid0(VALU_DEP_1) | instskip(NEXT) | instid1(VALU_DEP_1)
	v_sub_nc_u32_e32 v1, v2, v1
	v_mad_u32 v4, v1, s11, v4
	v_mad_u32 v6, v1, s18, v6
	;; [unrolled: 1-line block ×3, first 2 shown]
.LBB54_92:
	global_load_u16 v1, v6, s[2:3]
	global_load_u16 v2, v5, s[14:15]
	v_add_nc_u32_e32 v0, 0x80, v0
	s_wait_loadcnt 0x1
	v_cmp_lt_f16_e32 vcc_lo, 0, v1
	s_wait_loadcnt 0x0
	v_mul_f16_e32 v2, v2, v1
	s_delay_alu instid0(VALU_DEP_1) | instskip(SKIP_3) | instid1(SALU_CYCLE_1)
	v_cndmask_b32_e32 v1, v2, v1, vcc_lo
	global_store_b16 v4, v1, s[0:1]
	s_wait_xcnt 0x0
	s_or_b32 exec_lo, exec_lo, s5
	s_mov_b32 s5, exec_lo
	v_cmpx_gt_i32_e64 s33, v0
	s_cbranch_execz .LBB54_105
.LBB54_93:
	s_and_not1_b32 vcc_lo, exec_lo, s28
	s_cbranch_vccnz .LBB54_99
; %bb.94:
	s_and_not1_b32 vcc_lo, exec_lo, s34
	s_cbranch_vccnz .LBB54_100
; %bb.95:
	v_dual_mov_b32 v4, 0 :: v_dual_mov_b32 v1, v0
	v_dual_mov_b32 v6, 0 :: v_dual_mov_b32 v5, 0
	s_add_co_i32 s16, s31, 1
	s_mov_b64 s[24:25], 0xffffffffffffffe8
	s_and_b32 s16, s16, 30
	s_add_nc_u64 s[24:25], s[12:13], s[24:25]
.LBB54_96:                              ; =>This Inner Loop Header: Depth=1
	s_clause 0x1
	s_load_b128 s[36:39], s[24:25], 0x1c
	s_load_b64 s[34:35], s[24:25], 0x2c
	s_add_co_i32 s16, s16, -2
	s_delay_alu instid0(SALU_CYCLE_1) | instskip(SKIP_2) | instid1(VALU_DEP_1)
	s_cmp_eq_u32 s16, 0
	s_wait_kmcnt 0x0
	v_mul_hi_u32 v2, s37, v1
	v_add_nc_u32_e32 v2, v1, v2
	s_delay_alu instid0(VALU_DEP_1) | instskip(NEXT) | instid1(VALU_DEP_1)
	v_lshrrev_b32_e32 v2, s38, v2
	v_mul_hi_u32 v3, s34, v2
	v_mul_lo_u32 v7, v2, s36
	s_clause 0x1
	s_load_b128 s[40:43], s[24:25], 0xdc
	s_load_b64 s[36:37], s[24:25], 0xec
	s_wait_xcnt 0x0
	s_add_nc_u64 s[24:25], s[24:25], 24
	s_delay_alu instid0(VALU_DEP_2) | instskip(NEXT) | instid1(VALU_DEP_2)
	v_add_nc_u32_e32 v3, v2, v3
	v_sub_nc_u32_e32 v7, v1, v7
	s_delay_alu instid0(VALU_DEP_2) | instskip(SKIP_1) | instid1(VALU_DEP_2)
	v_lshrrev_b32_e32 v1, s35, v3
	s_wait_kmcnt 0x0
	v_mad_u32 v4, v7, s40, v4
	s_delay_alu instid0(VALU_DEP_2) | instskip(SKIP_2) | instid1(VALU_DEP_3)
	v_mul_lo_u32 v3, v1, s39
	v_mad_u32 v5, v7, s42, v5
	v_mad_u32 v6, v7, s41, v6
	v_sub_nc_u32_e32 v2, v2, v3
	s_delay_alu instid0(VALU_DEP_1) | instskip(NEXT) | instid1(VALU_DEP_4)
	v_mad_u32 v4, v2, s43, v4
	v_mad_u32 v5, v2, s37, v5
	s_delay_alu instid0(VALU_DEP_4)
	v_mad_u32 v6, v2, s36, v6
	s_cbranch_scc0 .LBB54_96
; %bb.97:
	s_bitcmp1_b32 s31, 0
	s_cselect_b32 s16, -1, 0
	s_delay_alu instid0(SALU_CYCLE_1)
	s_and_b32 vcc_lo, exec_lo, s16
	s_cbranch_vccnz .LBB54_101
; %bb.98:
	s_clause 0x1
	s_load_b96 s[36:38], s[24:25], 0x1c
	s_load_b96 s[40:42], s[24:25], 0xdc
	s_wait_kmcnt 0x0
	v_mul_hi_u32 v2, s37, v1
	s_delay_alu instid0(VALU_DEP_1) | instskip(NEXT) | instid1(VALU_DEP_1)
	v_add_nc_u32_e32 v2, v1, v2
	v_lshrrev_b32_e32 v2, s38, v2
	s_delay_alu instid0(VALU_DEP_1) | instskip(NEXT) | instid1(VALU_DEP_1)
	v_mul_lo_u32 v2, v2, s36
	v_sub_nc_u32_e32 v1, v1, v2
	s_delay_alu instid0(VALU_DEP_1)
	v_mad_u32 v4, v1, s40, v4
	v_mad_u32 v6, v1, s41, v6
	;; [unrolled: 1-line block ×3, first 2 shown]
	s_branch .LBB54_101
.LBB54_99:
                                        ; implicit-def: $vgpr5
                                        ; implicit-def: $vgpr6
                                        ; implicit-def: $vgpr4
	s_branch .LBB54_102
.LBB54_100:
	v_dual_mov_b32 v5, 0 :: v_dual_mov_b32 v6, 0
	v_mov_b32_e32 v4, 0
.LBB54_101:
	s_cbranch_execnz .LBB54_104
.LBB54_102:
	v_mov_b32_e32 v1, 0
	s_and_not1_b32 vcc_lo, exec_lo, s30
	s_delay_alu instid0(VALU_DEP_1) | instskip(NEXT) | instid1(VALU_DEP_1)
	v_mul_u64_e32 v[2:3], s[20:21], v[0:1]
	v_add_nc_u32_e32 v2, v0, v3
	s_delay_alu instid0(VALU_DEP_1) | instskip(NEXT) | instid1(VALU_DEP_1)
	v_lshrrev_b32_e32 v2, s6, v2
	v_mul_lo_u32 v3, v2, s4
	s_delay_alu instid0(VALU_DEP_1) | instskip(NEXT) | instid1(VALU_DEP_1)
	v_sub_nc_u32_e32 v0, v0, v3
	v_mul_lo_u32 v4, v0, s8
	v_mul_lo_u32 v5, v0, s10
	;; [unrolled: 1-line block ×3, first 2 shown]
	s_cbranch_vccnz .LBB54_104
; %bb.103:
	v_mov_b32_e32 v3, v1
	s_delay_alu instid0(VALU_DEP_1) | instskip(NEXT) | instid1(VALU_DEP_1)
	v_mul_u64_e32 v[0:1], s[22:23], v[2:3]
	v_add_nc_u32_e32 v0, v2, v1
	s_delay_alu instid0(VALU_DEP_1) | instskip(NEXT) | instid1(VALU_DEP_1)
	v_lshrrev_b32_e32 v0, s17, v0
	v_mul_lo_u32 v0, v0, s7
	s_delay_alu instid0(VALU_DEP_1) | instskip(NEXT) | instid1(VALU_DEP_1)
	v_sub_nc_u32_e32 v0, v2, v0
	v_mad_u32 v4, v0, s11, v4
	v_mad_u32 v6, v0, s18, v6
	;; [unrolled: 1-line block ×3, first 2 shown]
.LBB54_104:
	global_load_u16 v0, v6, s[2:3]
	global_load_u16 v1, v5, s[14:15]
	s_wait_loadcnt 0x1
	v_cmp_lt_f16_e32 vcc_lo, 0, v0
	s_wait_loadcnt 0x0
	v_mul_f16_e32 v1, v1, v0
	s_delay_alu instid0(VALU_DEP_1)
	v_cndmask_b32_e32 v0, v1, v0, vcc_lo
	global_store_b16 v4, v0, s[0:1]
.LBB54_105:
	s_wait_xcnt 0x0
	s_or_b32 exec_lo, exec_lo, s5
                                        ; implicit-def: $vgpr4
                                        ; implicit-def: $vgpr0
.LBB54_106:
	s_and_not1_saveexec_b32 s0, s29
	s_cbranch_execz .LBB54_113
; %bb.107:
	v_cndmask_b32_e64 v8, 0, 1, s28
	s_and_not1_b32 vcc_lo, exec_lo, s28
	s_cbranch_vccnz .LBB54_114
; %bb.108:
	s_cmp_lg_u32 s26, 0
	s_mov_b32 s2, 0
	s_cbranch_scc0 .LBB54_118
; %bb.109:
	s_min_u32 s3, s27, 15
	v_dual_mov_b32 v1, 0 :: v_dual_mov_b32 v5, v0
	v_dual_mov_b32 v3, 0 :: v_dual_mov_b32 v2, 0
	s_add_co_i32 s4, s3, 1
	s_mov_b64 s[0:1], 0xffffffffffffffe8
	s_and_b32 s4, s4, 30
	s_add_nc_u64 s[0:1], s[12:13], s[0:1]
.LBB54_110:                             ; =>This Inner Loop Header: Depth=1
	s_clause 0x1
	s_load_b128 s[8:11], s[0:1], 0x1c
	s_load_b64 s[6:7], s[0:1], 0x2c
	s_add_co_i32 s4, s4, -2
	s_delay_alu instid0(SALU_CYCLE_1) | instskip(SKIP_2) | instid1(VALU_DEP_1)
	s_cmp_lg_u32 s4, 0
	s_wait_kmcnt 0x0
	v_mul_hi_u32 v6, s9, v5
	v_add_nc_u32_e32 v6, v5, v6
	s_delay_alu instid0(VALU_DEP_1) | instskip(NEXT) | instid1(VALU_DEP_1)
	v_lshrrev_b32_e32 v6, s10, v6
	v_mul_hi_u32 v7, s6, v6
	v_mul_lo_u32 v9, v6, s8
	s_clause 0x1
	s_load_b128 s[16:19], s[0:1], 0xdc
	s_load_b64 s[8:9], s[0:1], 0xec
	s_wait_xcnt 0x0
	s_add_nc_u64 s[0:1], s[0:1], 24
	s_delay_alu instid0(VALU_DEP_1) | instskip(NEXT) | instid1(VALU_DEP_1)
	v_dual_add_nc_u32 v7, v6, v7 :: v_dual_sub_nc_u32 v9, v5, v9
	v_lshrrev_b32_e32 v5, s7, v7
	s_wait_kmcnt 0x0
	s_delay_alu instid0(VALU_DEP_2) | instskip(NEXT) | instid1(VALU_DEP_2)
	v_mad_u32 v1, v9, s16, v1
	v_mul_lo_u32 v7, v5, s11
	v_mad_u32 v2, v9, s18, v2
	v_mad_u32 v3, v9, s17, v3
	s_delay_alu instid0(VALU_DEP_3) | instskip(NEXT) | instid1(VALU_DEP_1)
	v_sub_nc_u32_e32 v6, v6, v7
	v_mad_u32 v1, v6, s19, v1
	s_delay_alu instid0(VALU_DEP_4) | instskip(NEXT) | instid1(VALU_DEP_4)
	v_mad_u32 v2, v6, s9, v2
	v_mad_u32 v3, v6, s8, v3
	s_cbranch_scc1 .LBB54_110
; %bb.111:
	s_bitcmp1_b32 s3, 0
	s_cselect_b32 s3, -1, 0
	s_delay_alu instid0(SALU_CYCLE_1)
	s_and_b32 vcc_lo, exec_lo, s3
	s_cbranch_vccnz .LBB54_115
; %bb.112:
	s_clause 0x1
	s_load_b96 s[4:6], s[0:1], 0x1c
	s_load_b96 s[8:10], s[0:1], 0xdc
	s_wait_kmcnt 0x0
	v_mul_hi_u32 v6, s5, v5
	s_delay_alu instid0(VALU_DEP_1) | instskip(NEXT) | instid1(VALU_DEP_1)
	v_add_nc_u32_e32 v6, v5, v6
	v_lshrrev_b32_e32 v6, s6, v6
	s_delay_alu instid0(VALU_DEP_1) | instskip(NEXT) | instid1(VALU_DEP_1)
	v_mul_lo_u32 v6, v6, s4
	v_sub_nc_u32_e32 v5, v5, v6
	s_delay_alu instid0(VALU_DEP_1)
	v_mad_u32 v1, v5, s8, v1
	v_mad_u32 v3, v5, s9, v3
	;; [unrolled: 1-line block ×3, first 2 shown]
	s_and_not1_b32 vcc_lo, exec_lo, s2
	s_cbranch_vccz .LBB54_116
	s_branch .LBB54_119
.LBB54_113:
	s_endpgm
.LBB54_114:
	s_mov_b32 s2, -1
                                        ; implicit-def: $vgpr2
                                        ; implicit-def: $vgpr3
                                        ; implicit-def: $vgpr1
.LBB54_115:
	s_delay_alu instid0(SALU_CYCLE_1)
	s_and_not1_b32 vcc_lo, exec_lo, s2
	s_cbranch_vccnz .LBB54_119
.LBB54_116:
	s_clause 0x1
	s_load_b96 s[0:2], s[12:13], 0x4
	s_load_b96 s[4:6], s[12:13], 0xc4
	s_cmp_lt_u32 s26, 2
	s_wait_kmcnt 0x0
	v_mul_hi_u32 v1, s1, v0
	s_delay_alu instid0(VALU_DEP_1) | instskip(NEXT) | instid1(VALU_DEP_1)
	v_add_nc_u32_e32 v1, v0, v1
	v_lshrrev_b32_e32 v5, s2, v1
	s_delay_alu instid0(VALU_DEP_1) | instskip(NEXT) | instid1(VALU_DEP_1)
	v_mul_lo_u32 v1, v5, s0
	v_sub_nc_u32_e32 v3, v0, v1
	s_delay_alu instid0(VALU_DEP_1)
	v_mul_lo_u32 v1, v3, s4
	v_mul_lo_u32 v2, v3, s6
	;; [unrolled: 1-line block ×3, first 2 shown]
	s_cbranch_scc1 .LBB54_119
; %bb.117:
	s_clause 0x1
	s_load_b96 s[0:2], s[12:13], 0x10
	s_load_b96 s[4:6], s[12:13], 0xd0
	s_wait_kmcnt 0x0
	v_mul_hi_u32 v6, s1, v5
	s_delay_alu instid0(VALU_DEP_1) | instskip(NEXT) | instid1(VALU_DEP_1)
	v_add_nc_u32_e32 v6, v5, v6
	v_lshrrev_b32_e32 v6, s2, v6
	s_delay_alu instid0(VALU_DEP_1) | instskip(NEXT) | instid1(VALU_DEP_1)
	v_mul_lo_u32 v6, v6, s0
	v_sub_nc_u32_e32 v5, v5, v6
	s_delay_alu instid0(VALU_DEP_1)
	v_mad_u32 v1, v5, s4, v1
	v_mad_u32 v3, v5, s5, v3
	;; [unrolled: 1-line block ×3, first 2 shown]
	s_branch .LBB54_119
.LBB54_118:
	v_dual_mov_b32 v2, 0 :: v_dual_mov_b32 v3, 0
	v_mov_b32_e32 v1, 0
	s_and_not1_b32 vcc_lo, exec_lo, s2
	s_cbranch_vccz .LBB54_116
.LBB54_119:
	v_cmp_ne_u32_e32 vcc_lo, 1, v8
	v_add_nc_u32_e32 v9, 0x80, v0
	s_cbranch_vccnz .LBB54_125
; %bb.120:
	s_cmp_lg_u32 s26, 0
	s_mov_b32 s2, 0
	s_cbranch_scc0 .LBB54_129
; %bb.121:
	s_min_u32 s3, s27, 15
	v_dual_mov_b32 v5, 0 :: v_dual_mov_b32 v10, v9
	v_dual_mov_b32 v7, 0 :: v_dual_mov_b32 v6, 0
	s_add_co_i32 s4, s3, 1
	s_mov_b64 s[0:1], 0xffffffffffffffe8
	s_and_b32 s4, s4, 30
	s_add_nc_u64 s[0:1], s[12:13], s[0:1]
.LBB54_122:                             ; =>This Inner Loop Header: Depth=1
	s_clause 0x1
	s_load_b128 s[8:11], s[0:1], 0x1c
	s_load_b64 s[6:7], s[0:1], 0x2c
	s_add_co_i32 s4, s4, -2
	s_delay_alu instid0(SALU_CYCLE_1) | instskip(SKIP_2) | instid1(VALU_DEP_1)
	s_cmp_lg_u32 s4, 0
	s_wait_kmcnt 0x0
	v_mul_hi_u32 v11, s9, v10
	v_add_nc_u32_e32 v11, v10, v11
	s_delay_alu instid0(VALU_DEP_1) | instskip(NEXT) | instid1(VALU_DEP_1)
	v_lshrrev_b32_e32 v11, s10, v11
	v_mul_hi_u32 v12, s6, v11
	v_mul_lo_u32 v13, v11, s8
	s_clause 0x1
	s_load_b128 s[16:19], s[0:1], 0xdc
	s_load_b64 s[8:9], s[0:1], 0xec
	s_wait_xcnt 0x0
	s_add_nc_u64 s[0:1], s[0:1], 24
	s_delay_alu instid0(VALU_DEP_1) | instskip(NEXT) | instid1(VALU_DEP_1)
	v_dual_add_nc_u32 v12, v11, v12 :: v_dual_sub_nc_u32 v13, v10, v13
	v_lshrrev_b32_e32 v10, s7, v12
	s_wait_kmcnt 0x0
	s_delay_alu instid0(VALU_DEP_2) | instskip(NEXT) | instid1(VALU_DEP_2)
	v_mad_u32 v5, v13, s16, v5
	v_mul_lo_u32 v12, v10, s11
	v_mad_u32 v6, v13, s18, v6
	v_mad_u32 v7, v13, s17, v7
	s_delay_alu instid0(VALU_DEP_3) | instskip(NEXT) | instid1(VALU_DEP_1)
	v_sub_nc_u32_e32 v11, v11, v12
	v_mad_u32 v5, v11, s19, v5
	s_delay_alu instid0(VALU_DEP_4) | instskip(NEXT) | instid1(VALU_DEP_4)
	v_mad_u32 v6, v11, s9, v6
	v_mad_u32 v7, v11, s8, v7
	s_cbranch_scc1 .LBB54_122
; %bb.123:
	s_bitcmp1_b32 s3, 0
	s_cselect_b32 s3, -1, 0
	s_delay_alu instid0(SALU_CYCLE_1)
	s_and_b32 vcc_lo, exec_lo, s3
	s_cbranch_vccnz .LBB54_126
; %bb.124:
	s_clause 0x1
	s_load_b96 s[4:6], s[0:1], 0x1c
	s_load_b96 s[8:10], s[0:1], 0xdc
	s_wait_kmcnt 0x0
	v_mul_hi_u32 v11, s5, v10
	s_delay_alu instid0(VALU_DEP_1) | instskip(NEXT) | instid1(VALU_DEP_1)
	v_add_nc_u32_e32 v11, v10, v11
	v_lshrrev_b32_e32 v11, s6, v11
	s_delay_alu instid0(VALU_DEP_1) | instskip(NEXT) | instid1(VALU_DEP_1)
	v_mul_lo_u32 v11, v11, s4
	v_sub_nc_u32_e32 v10, v10, v11
	s_delay_alu instid0(VALU_DEP_1)
	v_mad_u32 v5, v10, s8, v5
	v_mad_u32 v7, v10, s9, v7
	;; [unrolled: 1-line block ×3, first 2 shown]
	s_and_not1_b32 vcc_lo, exec_lo, s2
	s_cbranch_vccz .LBB54_127
	s_branch .LBB54_130
.LBB54_125:
	s_mov_b32 s2, -1
                                        ; implicit-def: $vgpr6
                                        ; implicit-def: $vgpr7
                                        ; implicit-def: $vgpr5
.LBB54_126:
	s_delay_alu instid0(SALU_CYCLE_1)
	s_and_not1_b32 vcc_lo, exec_lo, s2
	s_cbranch_vccnz .LBB54_130
.LBB54_127:
	s_clause 0x1
	s_load_b96 s[0:2], s[12:13], 0x4
	s_load_b96 s[4:6], s[12:13], 0xc4
	s_cmp_lt_u32 s26, 2
	s_wait_kmcnt 0x0
	v_mul_hi_u32 v5, s1, v9
	s_delay_alu instid0(VALU_DEP_1) | instskip(NEXT) | instid1(VALU_DEP_1)
	v_add_nc_u32_e32 v5, v9, v5
	v_lshrrev_b32_e32 v10, s2, v5
	s_delay_alu instid0(VALU_DEP_1) | instskip(NEXT) | instid1(VALU_DEP_1)
	v_mul_lo_u32 v5, v10, s0
	v_sub_nc_u32_e32 v7, v9, v5
	s_delay_alu instid0(VALU_DEP_1)
	v_mul_lo_u32 v5, v7, s4
	v_mul_lo_u32 v6, v7, s6
	;; [unrolled: 1-line block ×3, first 2 shown]
	s_cbranch_scc1 .LBB54_130
; %bb.128:
	s_clause 0x1
	s_load_b96 s[0:2], s[12:13], 0x10
	s_load_b96 s[4:6], s[12:13], 0xd0
	s_wait_kmcnt 0x0
	v_mul_hi_u32 v9, s1, v10
	s_delay_alu instid0(VALU_DEP_1) | instskip(NEXT) | instid1(VALU_DEP_1)
	v_add_nc_u32_e32 v9, v10, v9
	v_lshrrev_b32_e32 v9, s2, v9
	s_delay_alu instid0(VALU_DEP_1) | instskip(NEXT) | instid1(VALU_DEP_1)
	v_mul_lo_u32 v9, v9, s0
	v_sub_nc_u32_e32 v9, v10, v9
	s_delay_alu instid0(VALU_DEP_1)
	v_mad_u32 v5, v9, s4, v5
	v_mad_u32 v7, v9, s5, v7
	;; [unrolled: 1-line block ×3, first 2 shown]
	s_branch .LBB54_130
.LBB54_129:
	v_dual_mov_b32 v6, 0 :: v_dual_mov_b32 v7, 0
	v_mov_b32_e32 v5, 0
	s_and_not1_b32 vcc_lo, exec_lo, s2
	s_cbranch_vccz .LBB54_127
.LBB54_130:
	v_cmp_ne_u32_e32 vcc_lo, 1, v8
	v_add_nc_u32_e32 v12, 0x100, v0
	s_cbranch_vccnz .LBB54_136
; %bb.131:
	s_cmp_lg_u32 s26, 0
	s_mov_b32 s2, 0
	s_cbranch_scc0 .LBB54_140
; %bb.132:
	s_min_u32 s3, s27, 15
	v_dual_mov_b32 v9, 0 :: v_dual_mov_b32 v13, v12
	v_dual_mov_b32 v10, 0 :: v_dual_mov_b32 v11, 0
	s_add_co_i32 s4, s3, 1
	s_mov_b64 s[0:1], 0xffffffffffffffe8
	s_and_b32 s4, s4, 30
	s_add_nc_u64 s[0:1], s[12:13], s[0:1]
.LBB54_133:                             ; =>This Inner Loop Header: Depth=1
	s_clause 0x1
	s_load_b128 s[8:11], s[0:1], 0x1c
	s_load_b64 s[6:7], s[0:1], 0x2c
	s_add_co_i32 s4, s4, -2
	s_delay_alu instid0(SALU_CYCLE_1) | instskip(SKIP_2) | instid1(VALU_DEP_1)
	s_cmp_lg_u32 s4, 0
	s_wait_kmcnt 0x0
	v_mul_hi_u32 v14, s9, v13
	v_add_nc_u32_e32 v14, v13, v14
	s_delay_alu instid0(VALU_DEP_1) | instskip(NEXT) | instid1(VALU_DEP_1)
	v_lshrrev_b32_e32 v14, s10, v14
	v_mul_hi_u32 v15, s6, v14
	v_mul_lo_u32 v16, v14, s8
	s_clause 0x1
	s_load_b128 s[16:19], s[0:1], 0xdc
	s_load_b64 s[8:9], s[0:1], 0xec
	s_wait_xcnt 0x0
	s_add_nc_u64 s[0:1], s[0:1], 24
	s_delay_alu instid0(VALU_DEP_1) | instskip(NEXT) | instid1(VALU_DEP_1)
	v_dual_add_nc_u32 v15, v14, v15 :: v_dual_sub_nc_u32 v16, v13, v16
	v_lshrrev_b32_e32 v13, s7, v15
	s_wait_kmcnt 0x0
	s_delay_alu instid0(VALU_DEP_2) | instskip(NEXT) | instid1(VALU_DEP_2)
	v_mad_u32 v9, v16, s16, v9
	v_mul_lo_u32 v15, v13, s11
	v_mad_u32 v11, v16, s18, v11
	v_mad_u32 v10, v16, s17, v10
	s_delay_alu instid0(VALU_DEP_3) | instskip(NEXT) | instid1(VALU_DEP_1)
	v_sub_nc_u32_e32 v14, v14, v15
	v_mad_u32 v9, v14, s19, v9
	s_delay_alu instid0(VALU_DEP_4) | instskip(NEXT) | instid1(VALU_DEP_4)
	v_mad_u32 v11, v14, s9, v11
	v_mad_u32 v10, v14, s8, v10
	s_cbranch_scc1 .LBB54_133
; %bb.134:
	s_bitcmp1_b32 s3, 0
	s_cselect_b32 s3, -1, 0
	s_delay_alu instid0(SALU_CYCLE_1)
	s_and_b32 vcc_lo, exec_lo, s3
	s_cbranch_vccnz .LBB54_137
; %bb.135:
	s_clause 0x1
	s_load_b96 s[4:6], s[0:1], 0x1c
	s_load_b96 s[8:10], s[0:1], 0xdc
	s_wait_kmcnt 0x0
	v_mul_hi_u32 v14, s5, v13
	s_delay_alu instid0(VALU_DEP_1) | instskip(NEXT) | instid1(VALU_DEP_1)
	v_add_nc_u32_e32 v14, v13, v14
	v_lshrrev_b32_e32 v14, s6, v14
	s_delay_alu instid0(VALU_DEP_1) | instskip(NEXT) | instid1(VALU_DEP_1)
	v_mul_lo_u32 v14, v14, s4
	v_sub_nc_u32_e32 v13, v13, v14
	s_delay_alu instid0(VALU_DEP_1)
	v_mad_u32 v9, v13, s8, v9
	v_mad_u32 v10, v13, s9, v10
	;; [unrolled: 1-line block ×3, first 2 shown]
	s_and_not1_b32 vcc_lo, exec_lo, s2
	s_cbranch_vccz .LBB54_138
	s_branch .LBB54_141
.LBB54_136:
	s_mov_b32 s2, -1
                                        ; implicit-def: $vgpr11
                                        ; implicit-def: $vgpr10
                                        ; implicit-def: $vgpr9
.LBB54_137:
	s_delay_alu instid0(SALU_CYCLE_1)
	s_and_not1_b32 vcc_lo, exec_lo, s2
	s_cbranch_vccnz .LBB54_141
.LBB54_138:
	s_clause 0x1
	s_load_b96 s[0:2], s[12:13], 0x4
	s_load_b96 s[4:6], s[12:13], 0xc4
	s_cmp_lt_u32 s26, 2
	s_wait_kmcnt 0x0
	v_mul_hi_u32 v9, s1, v12
	s_delay_alu instid0(VALU_DEP_1) | instskip(NEXT) | instid1(VALU_DEP_1)
	v_add_nc_u32_e32 v9, v12, v9
	v_lshrrev_b32_e32 v13, s2, v9
	s_delay_alu instid0(VALU_DEP_1) | instskip(NEXT) | instid1(VALU_DEP_1)
	v_mul_lo_u32 v9, v13, s0
	v_sub_nc_u32_e32 v10, v12, v9
	s_delay_alu instid0(VALU_DEP_1)
	v_mul_lo_u32 v9, v10, s4
	v_mul_lo_u32 v11, v10, s6
	;; [unrolled: 1-line block ×3, first 2 shown]
	s_cbranch_scc1 .LBB54_141
; %bb.139:
	s_clause 0x1
	s_load_b96 s[0:2], s[12:13], 0x10
	s_load_b96 s[4:6], s[12:13], 0xd0
	s_wait_kmcnt 0x0
	v_mul_hi_u32 v12, s1, v13
	s_delay_alu instid0(VALU_DEP_1) | instskip(NEXT) | instid1(VALU_DEP_1)
	v_add_nc_u32_e32 v12, v13, v12
	v_lshrrev_b32_e32 v12, s2, v12
	s_delay_alu instid0(VALU_DEP_1) | instskip(NEXT) | instid1(VALU_DEP_1)
	v_mul_lo_u32 v12, v12, s0
	v_sub_nc_u32_e32 v12, v13, v12
	s_delay_alu instid0(VALU_DEP_1)
	v_mad_u32 v9, v12, s4, v9
	v_mad_u32 v10, v12, s5, v10
	;; [unrolled: 1-line block ×3, first 2 shown]
	s_branch .LBB54_141
.LBB54_140:
	v_dual_mov_b32 v11, 0 :: v_dual_mov_b32 v10, 0
	v_mov_b32_e32 v9, 0
	s_and_not1_b32 vcc_lo, exec_lo, s2
	s_cbranch_vccz .LBB54_138
.LBB54_141:
	v_cmp_ne_u32_e32 vcc_lo, 1, v8
	v_add_nc_u32_e32 v15, 0x180, v0
	s_cbranch_vccnz .LBB54_147
; %bb.142:
	s_cmp_lg_u32 s26, 0
	s_mov_b32 s2, 0
	s_cbranch_scc0 .LBB54_151
; %bb.143:
	s_min_u32 s3, s27, 15
	v_dual_mov_b32 v12, 0 :: v_dual_mov_b32 v16, v15
	v_dual_mov_b32 v13, 0 :: v_dual_mov_b32 v14, 0
	s_add_co_i32 s4, s3, 1
	s_mov_b64 s[0:1], 0xffffffffffffffe8
	s_and_b32 s4, s4, 30
	s_add_nc_u64 s[0:1], s[12:13], s[0:1]
.LBB54_144:                             ; =>This Inner Loop Header: Depth=1
	s_clause 0x1
	s_load_b128 s[8:11], s[0:1], 0x1c
	s_load_b64 s[6:7], s[0:1], 0x2c
	s_add_co_i32 s4, s4, -2
	s_delay_alu instid0(SALU_CYCLE_1) | instskip(SKIP_2) | instid1(VALU_DEP_1)
	s_cmp_lg_u32 s4, 0
	s_wait_kmcnt 0x0
	v_mul_hi_u32 v17, s9, v16
	v_add_nc_u32_e32 v17, v16, v17
	s_delay_alu instid0(VALU_DEP_1) | instskip(NEXT) | instid1(VALU_DEP_1)
	v_lshrrev_b32_e32 v17, s10, v17
	v_mul_hi_u32 v18, s6, v17
	v_mul_lo_u32 v19, v17, s8
	s_clause 0x1
	s_load_b128 s[16:19], s[0:1], 0xdc
	s_load_b64 s[8:9], s[0:1], 0xec
	s_wait_xcnt 0x0
	s_add_nc_u64 s[0:1], s[0:1], 24
	s_delay_alu instid0(VALU_DEP_1) | instskip(NEXT) | instid1(VALU_DEP_1)
	v_dual_add_nc_u32 v18, v17, v18 :: v_dual_sub_nc_u32 v19, v16, v19
	v_lshrrev_b32_e32 v16, s7, v18
	s_wait_kmcnt 0x0
	s_delay_alu instid0(VALU_DEP_2) | instskip(NEXT) | instid1(VALU_DEP_2)
	v_mad_u32 v12, v19, s16, v12
	v_mul_lo_u32 v18, v16, s11
	v_mad_u32 v14, v19, s18, v14
	v_mad_u32 v13, v19, s17, v13
	s_delay_alu instid0(VALU_DEP_3) | instskip(NEXT) | instid1(VALU_DEP_1)
	v_sub_nc_u32_e32 v17, v17, v18
	v_mad_u32 v12, v17, s19, v12
	s_delay_alu instid0(VALU_DEP_4) | instskip(NEXT) | instid1(VALU_DEP_4)
	v_mad_u32 v14, v17, s9, v14
	v_mad_u32 v13, v17, s8, v13
	s_cbranch_scc1 .LBB54_144
; %bb.145:
	s_bitcmp1_b32 s3, 0
	s_cselect_b32 s3, -1, 0
	s_delay_alu instid0(SALU_CYCLE_1)
	s_and_b32 vcc_lo, exec_lo, s3
	s_cbranch_vccnz .LBB54_148
; %bb.146:
	s_clause 0x1
	s_load_b96 s[4:6], s[0:1], 0x1c
	s_load_b96 s[8:10], s[0:1], 0xdc
	s_wait_kmcnt 0x0
	v_mul_hi_u32 v17, s5, v16
	s_delay_alu instid0(VALU_DEP_1) | instskip(NEXT) | instid1(VALU_DEP_1)
	v_add_nc_u32_e32 v17, v16, v17
	v_lshrrev_b32_e32 v17, s6, v17
	s_delay_alu instid0(VALU_DEP_1) | instskip(NEXT) | instid1(VALU_DEP_1)
	v_mul_lo_u32 v17, v17, s4
	v_sub_nc_u32_e32 v16, v16, v17
	s_delay_alu instid0(VALU_DEP_1)
	v_mad_u32 v12, v16, s8, v12
	v_mad_u32 v13, v16, s9, v13
	;; [unrolled: 1-line block ×3, first 2 shown]
	s_and_not1_b32 vcc_lo, exec_lo, s2
	s_cbranch_vccz .LBB54_149
	s_branch .LBB54_152
.LBB54_147:
	s_mov_b32 s2, -1
                                        ; implicit-def: $vgpr14
                                        ; implicit-def: $vgpr13
                                        ; implicit-def: $vgpr12
.LBB54_148:
	s_delay_alu instid0(SALU_CYCLE_1)
	s_and_not1_b32 vcc_lo, exec_lo, s2
	s_cbranch_vccnz .LBB54_152
.LBB54_149:
	s_clause 0x1
	s_load_b96 s[0:2], s[12:13], 0x4
	s_load_b96 s[4:6], s[12:13], 0xc4
	s_cmp_lt_u32 s26, 2
	s_wait_kmcnt 0x0
	v_mul_hi_u32 v12, s1, v15
	s_delay_alu instid0(VALU_DEP_1) | instskip(NEXT) | instid1(VALU_DEP_1)
	v_add_nc_u32_e32 v12, v15, v12
	v_lshrrev_b32_e32 v16, s2, v12
	s_delay_alu instid0(VALU_DEP_1) | instskip(NEXT) | instid1(VALU_DEP_1)
	v_mul_lo_u32 v12, v16, s0
	v_sub_nc_u32_e32 v13, v15, v12
	s_delay_alu instid0(VALU_DEP_1)
	v_mul_lo_u32 v12, v13, s4
	v_mul_lo_u32 v14, v13, s6
	v_mul_lo_u32 v13, v13, s5
	s_cbranch_scc1 .LBB54_152
; %bb.150:
	s_clause 0x1
	s_load_b96 s[0:2], s[12:13], 0x10
	s_load_b96 s[4:6], s[12:13], 0xd0
	s_wait_kmcnt 0x0
	v_mul_hi_u32 v15, s1, v16
	s_delay_alu instid0(VALU_DEP_1) | instskip(NEXT) | instid1(VALU_DEP_1)
	v_add_nc_u32_e32 v15, v16, v15
	v_lshrrev_b32_e32 v15, s2, v15
	s_delay_alu instid0(VALU_DEP_1) | instskip(NEXT) | instid1(VALU_DEP_1)
	v_mul_lo_u32 v15, v15, s0
	v_sub_nc_u32_e32 v15, v16, v15
	s_delay_alu instid0(VALU_DEP_1)
	v_mad_u32 v12, v15, s4, v12
	v_mad_u32 v13, v15, s5, v13
	;; [unrolled: 1-line block ×3, first 2 shown]
	s_branch .LBB54_152
.LBB54_151:
	v_dual_mov_b32 v14, 0 :: v_dual_mov_b32 v13, 0
	v_mov_b32_e32 v12, 0
	s_and_not1_b32 vcc_lo, exec_lo, s2
	s_cbranch_vccz .LBB54_149
.LBB54_152:
	v_cmp_ne_u32_e32 vcc_lo, 1, v8
	v_add_nc_u32_e32 v18, 0x200, v0
	s_cbranch_vccnz .LBB54_158
; %bb.153:
	s_cmp_lg_u32 s26, 0
	s_mov_b32 s2, 0
	s_cbranch_scc0 .LBB54_162
; %bb.154:
	s_min_u32 s3, s27, 15
	v_dual_mov_b32 v15, 0 :: v_dual_mov_b32 v19, v18
	v_dual_mov_b32 v17, 0 :: v_dual_mov_b32 v16, 0
	s_add_co_i32 s4, s3, 1
	s_mov_b64 s[0:1], 0xffffffffffffffe8
	s_and_b32 s4, s4, 30
	s_add_nc_u64 s[0:1], s[12:13], s[0:1]
.LBB54_155:                             ; =>This Inner Loop Header: Depth=1
	s_clause 0x1
	s_load_b128 s[8:11], s[0:1], 0x1c
	s_load_b64 s[6:7], s[0:1], 0x2c
	s_add_co_i32 s4, s4, -2
	s_delay_alu instid0(SALU_CYCLE_1) | instskip(SKIP_2) | instid1(VALU_DEP_1)
	s_cmp_lg_u32 s4, 0
	s_wait_kmcnt 0x0
	v_mul_hi_u32 v20, s9, v19
	v_add_nc_u32_e32 v20, v19, v20
	s_delay_alu instid0(VALU_DEP_1) | instskip(NEXT) | instid1(VALU_DEP_1)
	v_lshrrev_b32_e32 v20, s10, v20
	v_mul_hi_u32 v21, s6, v20
	v_mul_lo_u32 v22, v20, s8
	s_clause 0x1
	s_load_b128 s[16:19], s[0:1], 0xdc
	s_load_b64 s[8:9], s[0:1], 0xec
	s_wait_xcnt 0x0
	s_add_nc_u64 s[0:1], s[0:1], 24
	s_delay_alu instid0(VALU_DEP_1) | instskip(NEXT) | instid1(VALU_DEP_1)
	v_dual_add_nc_u32 v21, v20, v21 :: v_dual_sub_nc_u32 v22, v19, v22
	v_lshrrev_b32_e32 v19, s7, v21
	s_wait_kmcnt 0x0
	s_delay_alu instid0(VALU_DEP_2) | instskip(NEXT) | instid1(VALU_DEP_2)
	v_mad_u32 v15, v22, s16, v15
	v_mul_lo_u32 v21, v19, s11
	v_mad_u32 v16, v22, s18, v16
	v_mad_u32 v17, v22, s17, v17
	s_delay_alu instid0(VALU_DEP_3) | instskip(NEXT) | instid1(VALU_DEP_1)
	v_sub_nc_u32_e32 v20, v20, v21
	v_mad_u32 v15, v20, s19, v15
	s_delay_alu instid0(VALU_DEP_4) | instskip(NEXT) | instid1(VALU_DEP_4)
	v_mad_u32 v16, v20, s9, v16
	v_mad_u32 v17, v20, s8, v17
	s_cbranch_scc1 .LBB54_155
; %bb.156:
	s_bitcmp1_b32 s3, 0
	s_cselect_b32 s3, -1, 0
	s_delay_alu instid0(SALU_CYCLE_1)
	s_and_b32 vcc_lo, exec_lo, s3
	s_cbranch_vccnz .LBB54_159
; %bb.157:
	s_clause 0x1
	s_load_b96 s[4:6], s[0:1], 0x1c
	s_load_b96 s[8:10], s[0:1], 0xdc
	s_wait_kmcnt 0x0
	v_mul_hi_u32 v20, s5, v19
	s_delay_alu instid0(VALU_DEP_1) | instskip(NEXT) | instid1(VALU_DEP_1)
	v_add_nc_u32_e32 v20, v19, v20
	v_lshrrev_b32_e32 v20, s6, v20
	s_delay_alu instid0(VALU_DEP_1) | instskip(NEXT) | instid1(VALU_DEP_1)
	v_mul_lo_u32 v20, v20, s4
	v_sub_nc_u32_e32 v19, v19, v20
	s_delay_alu instid0(VALU_DEP_1)
	v_mad_u32 v15, v19, s8, v15
	v_mad_u32 v17, v19, s9, v17
	;; [unrolled: 1-line block ×3, first 2 shown]
	s_and_not1_b32 vcc_lo, exec_lo, s2
	s_cbranch_vccz .LBB54_160
	s_branch .LBB54_163
.LBB54_158:
	s_mov_b32 s2, -1
                                        ; implicit-def: $vgpr16
                                        ; implicit-def: $vgpr17
                                        ; implicit-def: $vgpr15
.LBB54_159:
	s_delay_alu instid0(SALU_CYCLE_1)
	s_and_not1_b32 vcc_lo, exec_lo, s2
	s_cbranch_vccnz .LBB54_163
.LBB54_160:
	s_clause 0x1
	s_load_b96 s[0:2], s[12:13], 0x4
	s_load_b96 s[4:6], s[12:13], 0xc4
	s_cmp_lt_u32 s26, 2
	s_wait_kmcnt 0x0
	v_mul_hi_u32 v15, s1, v18
	s_delay_alu instid0(VALU_DEP_1) | instskip(NEXT) | instid1(VALU_DEP_1)
	v_add_nc_u32_e32 v15, v18, v15
	v_lshrrev_b32_e32 v19, s2, v15
	s_delay_alu instid0(VALU_DEP_1) | instskip(NEXT) | instid1(VALU_DEP_1)
	v_mul_lo_u32 v15, v19, s0
	v_sub_nc_u32_e32 v17, v18, v15
	s_delay_alu instid0(VALU_DEP_1)
	v_mul_lo_u32 v15, v17, s4
	v_mul_lo_u32 v16, v17, s6
	;; [unrolled: 1-line block ×3, first 2 shown]
	s_cbranch_scc1 .LBB54_163
; %bb.161:
	s_clause 0x1
	s_load_b96 s[0:2], s[12:13], 0x10
	s_load_b96 s[4:6], s[12:13], 0xd0
	s_wait_kmcnt 0x0
	v_mul_hi_u32 v18, s1, v19
	s_delay_alu instid0(VALU_DEP_1) | instskip(NEXT) | instid1(VALU_DEP_1)
	v_add_nc_u32_e32 v18, v19, v18
	v_lshrrev_b32_e32 v18, s2, v18
	s_delay_alu instid0(VALU_DEP_1) | instskip(NEXT) | instid1(VALU_DEP_1)
	v_mul_lo_u32 v18, v18, s0
	v_sub_nc_u32_e32 v18, v19, v18
	s_delay_alu instid0(VALU_DEP_1)
	v_mad_u32 v15, v18, s4, v15
	v_mad_u32 v17, v18, s5, v17
	;; [unrolled: 1-line block ×3, first 2 shown]
	s_branch .LBB54_163
.LBB54_162:
	v_dual_mov_b32 v16, 0 :: v_dual_mov_b32 v17, 0
	v_mov_b32_e32 v15, 0
	s_and_not1_b32 vcc_lo, exec_lo, s2
	s_cbranch_vccz .LBB54_160
.LBB54_163:
	v_cmp_ne_u32_e32 vcc_lo, 1, v8
	v_add_nc_u32_e32 v21, 0x280, v0
	s_cbranch_vccnz .LBB54_169
; %bb.164:
	s_cmp_lg_u32 s26, 0
	s_mov_b32 s2, 0
	s_cbranch_scc0 .LBB54_173
; %bb.165:
	s_min_u32 s3, s27, 15
	v_dual_mov_b32 v18, 0 :: v_dual_mov_b32 v22, v21
	v_dual_mov_b32 v20, 0 :: v_dual_mov_b32 v19, 0
	s_add_co_i32 s4, s3, 1
	s_mov_b64 s[0:1], 0xffffffffffffffe8
	s_and_b32 s4, s4, 30
	s_add_nc_u64 s[0:1], s[12:13], s[0:1]
.LBB54_166:                             ; =>This Inner Loop Header: Depth=1
	s_clause 0x1
	s_load_b128 s[8:11], s[0:1], 0x1c
	s_load_b64 s[6:7], s[0:1], 0x2c
	s_add_co_i32 s4, s4, -2
	s_delay_alu instid0(SALU_CYCLE_1) | instskip(SKIP_2) | instid1(VALU_DEP_1)
	s_cmp_lg_u32 s4, 0
	s_wait_kmcnt 0x0
	v_mul_hi_u32 v23, s9, v22
	v_add_nc_u32_e32 v23, v22, v23
	s_delay_alu instid0(VALU_DEP_1) | instskip(NEXT) | instid1(VALU_DEP_1)
	v_lshrrev_b32_e32 v23, s10, v23
	v_mul_hi_u32 v24, s6, v23
	v_mul_lo_u32 v25, v23, s8
	s_clause 0x1
	s_load_b128 s[16:19], s[0:1], 0xdc
	s_load_b64 s[8:9], s[0:1], 0xec
	s_wait_xcnt 0x0
	s_add_nc_u64 s[0:1], s[0:1], 24
	s_delay_alu instid0(VALU_DEP_1) | instskip(NEXT) | instid1(VALU_DEP_1)
	v_dual_add_nc_u32 v24, v23, v24 :: v_dual_sub_nc_u32 v25, v22, v25
	v_lshrrev_b32_e32 v22, s7, v24
	s_wait_kmcnt 0x0
	s_delay_alu instid0(VALU_DEP_2) | instskip(NEXT) | instid1(VALU_DEP_2)
	v_mad_u32 v18, v25, s16, v18
	v_mul_lo_u32 v24, v22, s11
	v_mad_u32 v19, v25, s18, v19
	v_mad_u32 v20, v25, s17, v20
	s_delay_alu instid0(VALU_DEP_3) | instskip(NEXT) | instid1(VALU_DEP_1)
	v_sub_nc_u32_e32 v23, v23, v24
	v_mad_u32 v18, v23, s19, v18
	s_delay_alu instid0(VALU_DEP_4) | instskip(NEXT) | instid1(VALU_DEP_4)
	v_mad_u32 v19, v23, s9, v19
	v_mad_u32 v20, v23, s8, v20
	s_cbranch_scc1 .LBB54_166
; %bb.167:
	s_bitcmp1_b32 s3, 0
	s_cselect_b32 s3, -1, 0
	s_delay_alu instid0(SALU_CYCLE_1)
	s_and_b32 vcc_lo, exec_lo, s3
	s_cbranch_vccnz .LBB54_170
; %bb.168:
	s_clause 0x1
	s_load_b96 s[4:6], s[0:1], 0x1c
	s_load_b96 s[8:10], s[0:1], 0xdc
	s_wait_kmcnt 0x0
	v_mul_hi_u32 v23, s5, v22
	s_delay_alu instid0(VALU_DEP_1) | instskip(NEXT) | instid1(VALU_DEP_1)
	v_add_nc_u32_e32 v23, v22, v23
	v_lshrrev_b32_e32 v23, s6, v23
	s_delay_alu instid0(VALU_DEP_1) | instskip(NEXT) | instid1(VALU_DEP_1)
	v_mul_lo_u32 v23, v23, s4
	v_sub_nc_u32_e32 v22, v22, v23
	s_delay_alu instid0(VALU_DEP_1)
	v_mad_u32 v18, v22, s8, v18
	v_mad_u32 v20, v22, s9, v20
	;; [unrolled: 1-line block ×3, first 2 shown]
	s_and_not1_b32 vcc_lo, exec_lo, s2
	s_cbranch_vccz .LBB54_171
	s_branch .LBB54_174
.LBB54_169:
	s_mov_b32 s2, -1
                                        ; implicit-def: $vgpr19
                                        ; implicit-def: $vgpr20
                                        ; implicit-def: $vgpr18
.LBB54_170:
	s_delay_alu instid0(SALU_CYCLE_1)
	s_and_not1_b32 vcc_lo, exec_lo, s2
	s_cbranch_vccnz .LBB54_174
.LBB54_171:
	s_clause 0x1
	s_load_b96 s[0:2], s[12:13], 0x4
	s_load_b96 s[4:6], s[12:13], 0xc4
	s_cmp_lt_u32 s26, 2
	s_wait_kmcnt 0x0
	v_mul_hi_u32 v18, s1, v21
	s_delay_alu instid0(VALU_DEP_1) | instskip(NEXT) | instid1(VALU_DEP_1)
	v_add_nc_u32_e32 v18, v21, v18
	v_lshrrev_b32_e32 v22, s2, v18
	s_delay_alu instid0(VALU_DEP_1) | instskip(NEXT) | instid1(VALU_DEP_1)
	v_mul_lo_u32 v18, v22, s0
	v_sub_nc_u32_e32 v20, v21, v18
	s_delay_alu instid0(VALU_DEP_1)
	v_mul_lo_u32 v18, v20, s4
	v_mul_lo_u32 v19, v20, s6
	v_mul_lo_u32 v20, v20, s5
	s_cbranch_scc1 .LBB54_174
; %bb.172:
	s_clause 0x1
	s_load_b96 s[0:2], s[12:13], 0x10
	s_load_b96 s[4:6], s[12:13], 0xd0
	s_wait_kmcnt 0x0
	v_mul_hi_u32 v21, s1, v22
	s_delay_alu instid0(VALU_DEP_1) | instskip(NEXT) | instid1(VALU_DEP_1)
	v_add_nc_u32_e32 v21, v22, v21
	v_lshrrev_b32_e32 v21, s2, v21
	s_delay_alu instid0(VALU_DEP_1) | instskip(NEXT) | instid1(VALU_DEP_1)
	v_mul_lo_u32 v21, v21, s0
	v_sub_nc_u32_e32 v21, v22, v21
	s_delay_alu instid0(VALU_DEP_1)
	v_mad_u32 v18, v21, s4, v18
	v_mad_u32 v20, v21, s5, v20
	;; [unrolled: 1-line block ×3, first 2 shown]
	s_branch .LBB54_174
.LBB54_173:
	v_dual_mov_b32 v19, 0 :: v_dual_mov_b32 v20, 0
	v_mov_b32_e32 v18, 0
	s_and_not1_b32 vcc_lo, exec_lo, s2
	s_cbranch_vccz .LBB54_171
.LBB54_174:
	v_cmp_ne_u32_e32 vcc_lo, 1, v8
	v_add_nc_u32_e32 v23, 0x300, v0
	s_cbranch_vccnz .LBB54_180
; %bb.175:
	s_cmp_lg_u32 s26, 0
	s_mov_b32 s2, 0
	s_cbranch_scc0 .LBB54_184
; %bb.176:
	s_min_u32 s3, s27, 15
	v_dual_mov_b32 v0, 0 :: v_dual_mov_b32 v24, v23
	v_dual_mov_b32 v21, 0 :: v_dual_mov_b32 v22, 0
	s_add_co_i32 s4, s3, 1
	s_mov_b64 s[0:1], 0xffffffffffffffe8
	s_and_b32 s4, s4, 30
	s_add_nc_u64 s[0:1], s[12:13], s[0:1]
.LBB54_177:                             ; =>This Inner Loop Header: Depth=1
	s_clause 0x1
	s_load_b128 s[8:11], s[0:1], 0x1c
	s_load_b64 s[6:7], s[0:1], 0x2c
	s_add_co_i32 s4, s4, -2
	s_delay_alu instid0(SALU_CYCLE_1) | instskip(SKIP_2) | instid1(VALU_DEP_1)
	s_cmp_lg_u32 s4, 0
	s_wait_kmcnt 0x0
	v_mul_hi_u32 v25, s9, v24
	v_add_nc_u32_e32 v25, v24, v25
	s_delay_alu instid0(VALU_DEP_1) | instskip(NEXT) | instid1(VALU_DEP_1)
	v_lshrrev_b32_e32 v25, s10, v25
	v_mul_hi_u32 v26, s6, v25
	v_mul_lo_u32 v27, v25, s8
	s_clause 0x1
	s_load_b128 s[16:19], s[0:1], 0xdc
	s_load_b64 s[8:9], s[0:1], 0xec
	s_wait_xcnt 0x0
	s_add_nc_u64 s[0:1], s[0:1], 24
	s_delay_alu instid0(VALU_DEP_1) | instskip(NEXT) | instid1(VALU_DEP_1)
	v_dual_add_nc_u32 v26, v25, v26 :: v_dual_sub_nc_u32 v27, v24, v27
	v_lshrrev_b32_e32 v24, s7, v26
	s_wait_kmcnt 0x0
	s_delay_alu instid0(VALU_DEP_2) | instskip(NEXT) | instid1(VALU_DEP_2)
	v_mad_u32 v0, v27, s16, v0
	v_mul_lo_u32 v26, v24, s11
	v_mad_u32 v22, v27, s18, v22
	v_mad_u32 v21, v27, s17, v21
	s_delay_alu instid0(VALU_DEP_3) | instskip(NEXT) | instid1(VALU_DEP_1)
	v_sub_nc_u32_e32 v25, v25, v26
	v_mad_u32 v0, v25, s19, v0
	s_delay_alu instid0(VALU_DEP_4) | instskip(NEXT) | instid1(VALU_DEP_4)
	v_mad_u32 v22, v25, s9, v22
	v_mad_u32 v21, v25, s8, v21
	s_cbranch_scc1 .LBB54_177
; %bb.178:
	s_bitcmp1_b32 s3, 0
	s_cselect_b32 s3, -1, 0
	s_delay_alu instid0(SALU_CYCLE_1)
	s_and_b32 vcc_lo, exec_lo, s3
	s_cbranch_vccnz .LBB54_181
; %bb.179:
	s_clause 0x1
	s_load_b96 s[4:6], s[0:1], 0x1c
	s_load_b96 s[8:10], s[0:1], 0xdc
	s_wait_kmcnt 0x0
	v_mul_hi_u32 v25, s5, v24
	s_delay_alu instid0(VALU_DEP_1) | instskip(NEXT) | instid1(VALU_DEP_1)
	v_add_nc_u32_e32 v25, v24, v25
	v_lshrrev_b32_e32 v25, s6, v25
	s_delay_alu instid0(VALU_DEP_1) | instskip(NEXT) | instid1(VALU_DEP_1)
	v_mul_lo_u32 v25, v25, s4
	v_sub_nc_u32_e32 v24, v24, v25
	s_delay_alu instid0(VALU_DEP_1)
	v_mad_u32 v0, v24, s8, v0
	v_mad_u32 v21, v24, s9, v21
	;; [unrolled: 1-line block ×3, first 2 shown]
	s_and_not1_b32 vcc_lo, exec_lo, s2
	s_cbranch_vccz .LBB54_182
	s_branch .LBB54_185
.LBB54_180:
	s_mov_b32 s2, -1
                                        ; implicit-def: $vgpr22
                                        ; implicit-def: $vgpr21
                                        ; implicit-def: $vgpr0
.LBB54_181:
	s_delay_alu instid0(SALU_CYCLE_1)
	s_and_not1_b32 vcc_lo, exec_lo, s2
	s_cbranch_vccnz .LBB54_185
.LBB54_182:
	s_clause 0x1
	s_load_b96 s[0:2], s[12:13], 0x4
	s_load_b96 s[4:6], s[12:13], 0xc4
	s_cmp_lt_u32 s26, 2
	s_wait_kmcnt 0x0
	v_mul_hi_u32 v0, s1, v23
	s_delay_alu instid0(VALU_DEP_1) | instskip(NEXT) | instid1(VALU_DEP_1)
	v_add_nc_u32_e32 v0, v23, v0
	v_lshrrev_b32_e32 v24, s2, v0
	s_delay_alu instid0(VALU_DEP_1) | instskip(NEXT) | instid1(VALU_DEP_1)
	v_mul_lo_u32 v0, v24, s0
	v_sub_nc_u32_e32 v21, v23, v0
	s_delay_alu instid0(VALU_DEP_1)
	v_mul_lo_u32 v0, v21, s4
	v_mul_lo_u32 v22, v21, s6
	v_mul_lo_u32 v21, v21, s5
	s_cbranch_scc1 .LBB54_185
; %bb.183:
	s_clause 0x1
	s_load_b96 s[0:2], s[12:13], 0x10
	s_load_b96 s[4:6], s[12:13], 0xd0
	s_wait_kmcnt 0x0
	v_mul_hi_u32 v23, s1, v24
	s_delay_alu instid0(VALU_DEP_1) | instskip(NEXT) | instid1(VALU_DEP_1)
	v_add_nc_u32_e32 v23, v24, v23
	v_lshrrev_b32_e32 v23, s2, v23
	s_delay_alu instid0(VALU_DEP_1) | instskip(NEXT) | instid1(VALU_DEP_1)
	v_mul_lo_u32 v23, v23, s0
	v_sub_nc_u32_e32 v23, v24, v23
	s_delay_alu instid0(VALU_DEP_1)
	v_mad_u32 v0, v23, s4, v0
	v_mad_u32 v21, v23, s5, v21
	;; [unrolled: 1-line block ×3, first 2 shown]
	s_branch .LBB54_185
.LBB54_184:
	v_dual_mov_b32 v22, 0 :: v_dual_mov_b32 v21, 0
	v_mov_b32_e32 v0, 0
	s_and_not1_b32 vcc_lo, exec_lo, s2
	s_cbranch_vccz .LBB54_182
.LBB54_185:
	v_cmp_ne_u32_e32 vcc_lo, 1, v8
	s_cbranch_vccnz .LBB54_191
; %bb.186:
	s_cmp_lg_u32 s26, 0
	s_mov_b32 s2, 0
	s_cbranch_scc0 .LBB54_195
; %bb.187:
	s_min_u32 s3, s27, 15
	v_dual_mov_b32 v8, 0 :: v_dual_mov_b32 v25, v4
	v_dual_mov_b32 v24, 0 :: v_dual_mov_b32 v23, 0
	s_add_co_i32 s4, s3, 1
	s_mov_b64 s[0:1], 0xffffffffffffffe8
	s_and_b32 s4, s4, 30
	s_add_nc_u64 s[0:1], s[12:13], s[0:1]
.LBB54_188:                             ; =>This Inner Loop Header: Depth=1
	s_clause 0x1
	s_load_b128 s[8:11], s[0:1], 0x1c
	s_load_b64 s[6:7], s[0:1], 0x2c
	s_add_co_i32 s4, s4, -2
	s_delay_alu instid0(SALU_CYCLE_1) | instskip(SKIP_2) | instid1(VALU_DEP_1)
	s_cmp_lg_u32 s4, 0
	s_wait_kmcnt 0x0
	v_mul_hi_u32 v26, s9, v25
	v_add_nc_u32_e32 v26, v25, v26
	s_delay_alu instid0(VALU_DEP_1) | instskip(NEXT) | instid1(VALU_DEP_1)
	v_lshrrev_b32_e32 v26, s10, v26
	v_mul_hi_u32 v27, s6, v26
	v_mul_lo_u32 v28, v26, s8
	s_clause 0x1
	s_load_b128 s[16:19], s[0:1], 0xdc
	s_load_b64 s[8:9], s[0:1], 0xec
	s_wait_xcnt 0x0
	s_add_nc_u64 s[0:1], s[0:1], 24
	s_delay_alu instid0(VALU_DEP_1) | instskip(NEXT) | instid1(VALU_DEP_1)
	v_dual_add_nc_u32 v27, v26, v27 :: v_dual_sub_nc_u32 v28, v25, v28
	v_lshrrev_b32_e32 v25, s7, v27
	s_wait_kmcnt 0x0
	s_delay_alu instid0(VALU_DEP_2) | instskip(NEXT) | instid1(VALU_DEP_2)
	v_mad_u32 v8, v28, s16, v8
	v_mul_lo_u32 v27, v25, s11
	v_mad_u32 v23, v28, s18, v23
	v_mad_u32 v24, v28, s17, v24
	s_delay_alu instid0(VALU_DEP_3) | instskip(NEXT) | instid1(VALU_DEP_1)
	v_sub_nc_u32_e32 v26, v26, v27
	v_mad_u32 v8, v26, s19, v8
	s_delay_alu instid0(VALU_DEP_4) | instskip(NEXT) | instid1(VALU_DEP_4)
	v_mad_u32 v23, v26, s9, v23
	v_mad_u32 v24, v26, s8, v24
	s_cbranch_scc1 .LBB54_188
; %bb.189:
	s_bitcmp1_b32 s3, 0
	s_cselect_b32 s3, -1, 0
	s_delay_alu instid0(SALU_CYCLE_1)
	s_and_b32 vcc_lo, exec_lo, s3
	s_cbranch_vccnz .LBB54_192
; %bb.190:
	s_clause 0x1
	s_load_b96 s[4:6], s[0:1], 0x1c
	s_load_b96 s[8:10], s[0:1], 0xdc
	s_wait_kmcnt 0x0
	v_mul_hi_u32 v26, s5, v25
	s_delay_alu instid0(VALU_DEP_1) | instskip(NEXT) | instid1(VALU_DEP_1)
	v_add_nc_u32_e32 v26, v25, v26
	v_lshrrev_b32_e32 v26, s6, v26
	s_delay_alu instid0(VALU_DEP_1) | instskip(NEXT) | instid1(VALU_DEP_1)
	v_mul_lo_u32 v26, v26, s4
	v_sub_nc_u32_e32 v25, v25, v26
	s_delay_alu instid0(VALU_DEP_1)
	v_mad_u32 v8, v25, s8, v8
	v_mad_u32 v24, v25, s9, v24
	;; [unrolled: 1-line block ×3, first 2 shown]
	s_and_not1_b32 vcc_lo, exec_lo, s2
	s_cbranch_vccz .LBB54_193
	s_branch .LBB54_196
.LBB54_191:
	s_mov_b32 s2, -1
                                        ; implicit-def: $vgpr23
                                        ; implicit-def: $vgpr24
                                        ; implicit-def: $vgpr8
.LBB54_192:
	s_delay_alu instid0(SALU_CYCLE_1)
	s_and_not1_b32 vcc_lo, exec_lo, s2
	s_cbranch_vccnz .LBB54_196
.LBB54_193:
	s_clause 0x1
	s_load_b96 s[0:2], s[12:13], 0x4
	s_load_b96 s[4:6], s[12:13], 0xc4
	s_cmp_lt_u32 s26, 2
	s_wait_kmcnt 0x0
	v_mul_hi_u32 v8, s1, v4
	s_delay_alu instid0(VALU_DEP_1) | instskip(NEXT) | instid1(VALU_DEP_1)
	v_add_nc_u32_e32 v8, v4, v8
	v_lshrrev_b32_e32 v25, s2, v8
	s_delay_alu instid0(VALU_DEP_1) | instskip(NEXT) | instid1(VALU_DEP_1)
	v_mul_lo_u32 v8, v25, s0
	v_sub_nc_u32_e32 v4, v4, v8
	s_delay_alu instid0(VALU_DEP_1)
	v_mul_lo_u32 v8, v4, s4
	v_mul_lo_u32 v23, v4, s6
	;; [unrolled: 1-line block ×3, first 2 shown]
	s_cbranch_scc1 .LBB54_196
; %bb.194:
	s_clause 0x1
	s_load_b96 s[0:2], s[12:13], 0x10
	s_load_b96 s[4:6], s[12:13], 0xd0
	s_wait_kmcnt 0x0
	v_mul_hi_u32 v4, s1, v25
	s_delay_alu instid0(VALU_DEP_1) | instskip(NEXT) | instid1(VALU_DEP_1)
	v_add_nc_u32_e32 v4, v25, v4
	v_lshrrev_b32_e32 v4, s2, v4
	s_delay_alu instid0(VALU_DEP_1) | instskip(NEXT) | instid1(VALU_DEP_1)
	v_mul_lo_u32 v4, v4, s0
	v_sub_nc_u32_e32 v4, v25, v4
	s_delay_alu instid0(VALU_DEP_1)
	v_mad_u32 v8, v4, s4, v8
	v_mad_u32 v24, v4, s5, v24
	;; [unrolled: 1-line block ×3, first 2 shown]
	s_branch .LBB54_196
.LBB54_195:
	v_dual_mov_b32 v23, 0 :: v_dual_mov_b32 v24, 0
	v_mov_b32_e32 v8, 0
	s_and_not1_b32 vcc_lo, exec_lo, s2
	s_cbranch_vccz .LBB54_193
.LBB54_196:
	s_clause 0x1
	s_load_b128 s[0:3], s[12:13], 0x188
	s_load_b64 s[4:5], s[12:13], 0x198
	s_wait_kmcnt 0x0
	global_load_u16 v4, v3, s[2:3]
	global_load_u16 v25, v2, s[4:5]
	;; [unrolled: 1-line block ×15, first 2 shown]
                                        ; kill: killed $sgpr2_sgpr3
                                        ; kill: killed $vgpr24
                                        ; kill: killed $vgpr11
                                        ; kill: killed $vgpr3
                                        ; kill: killed $vgpr22
                                        ; kill: killed $vgpr17
                                        ; kill: killed $vgpr14
                                        ; kill: killed $vgpr7
                                        ; kill: killed $vgpr20
                                        ; kill: killed $vgpr2
                                        ; kill: killed $vgpr16
                                        ; kill: killed $vgpr10
                                        ; kill: killed $vgpr21
                                        ; kill: killed $vgpr6
                                        ; kill: killed $vgpr19
                                        ; kill: killed $vgpr13
	global_load_u16 v2, v23, s[4:5]
	s_wait_loadcnt 0xf
	v_cmp_lt_f16_e32 vcc_lo, 0, v4
	s_wait_loadcnt 0xe
	v_mul_f16_e32 v3, v25, v4
	s_wait_loadcnt 0xc
	s_wait_xcnt 0xc
	v_mul_f16_e32 v6, v27, v26
	s_wait_loadcnt 0xa
	v_mul_f16_e32 v7, v29, v28
	v_cndmask_b32_e32 v3, v3, v4, vcc_lo
	v_cmp_lt_f16_e32 vcc_lo, 0, v26
	s_wait_loadcnt 0x8
	s_wait_xcnt 0xb
	v_mul_f16_e32 v10, v31, v30
	s_wait_loadcnt 0x6
	s_wait_xcnt 0xa
	v_mul_f16_e32 v11, v33, v32
	;; [unrolled: 3-line block ×3, first 2 shown]
	v_cndmask_b32_e32 v4, v6, v26, vcc_lo
	v_cmp_lt_f16_e32 vcc_lo, 0, v28
	s_wait_loadcnt 0x2
	s_wait_xcnt 0x8
	v_mul_f16_e32 v14, v37, v36
	v_cndmask_b32_e32 v6, v7, v28, vcc_lo
	v_cmp_lt_f16_e32 vcc_lo, 0, v30
	v_cndmask_b32_e32 v7, v10, v30, vcc_lo
	v_cmp_lt_f16_e32 vcc_lo, 0, v32
	;; [unrolled: 2-line block ×3, first 2 shown]
	s_wait_loadcnt 0x0
	v_mul_f16_e32 v2, v2, v38
	v_cndmask_b32_e32 v11, v13, v34, vcc_lo
	v_cmp_lt_f16_e32 vcc_lo, 0, v36
	v_cndmask_b32_e32 v13, v14, v36, vcc_lo
	v_cmp_lt_f16_e32 vcc_lo, 0, v38
	v_cndmask_b32_e32 v2, v2, v38, vcc_lo
	s_clause 0x7
	global_store_b16 v1, v3, s[0:1]
	global_store_b16 v5, v4, s[0:1]
	;; [unrolled: 1-line block ×8, first 2 shown]
	s_endpgm
	.section	.rodata,"a",@progbits
	.p2align	6, 0x0
	.amdhsa_kernel _ZN2at6native32elementwise_kernel_manual_unrollILi128ELi8EZNS0_22gpu_kernel_impl_nocastIZZZNS0_12prelu_kernelERNS_14TensorIteratorEENKUlvE_clEvENKUlvE2_clEvEUlN3c104HalfES8_E_EEvRNS_18TensorIteratorBaseERKT_EUlibE_EEviT1_
		.amdhsa_group_segment_fixed_size 0
		.amdhsa_private_segment_fixed_size 0
		.amdhsa_kernarg_size 432
		.amdhsa_user_sgpr_count 2
		.amdhsa_user_sgpr_dispatch_ptr 0
		.amdhsa_user_sgpr_queue_ptr 0
		.amdhsa_user_sgpr_kernarg_segment_ptr 1
		.amdhsa_user_sgpr_dispatch_id 0
		.amdhsa_user_sgpr_kernarg_preload_length 0
		.amdhsa_user_sgpr_kernarg_preload_offset 0
		.amdhsa_user_sgpr_private_segment_size 0
		.amdhsa_wavefront_size32 1
		.amdhsa_uses_dynamic_stack 0
		.amdhsa_enable_private_segment 0
		.amdhsa_system_sgpr_workgroup_id_x 1
		.amdhsa_system_sgpr_workgroup_id_y 0
		.amdhsa_system_sgpr_workgroup_id_z 0
		.amdhsa_system_sgpr_workgroup_info 0
		.amdhsa_system_vgpr_workitem_id 0
		.amdhsa_next_free_vgpr 39
		.amdhsa_next_free_sgpr 46
		.amdhsa_named_barrier_count 0
		.amdhsa_reserve_vcc 1
		.amdhsa_float_round_mode_32 0
		.amdhsa_float_round_mode_16_64 0
		.amdhsa_float_denorm_mode_32 3
		.amdhsa_float_denorm_mode_16_64 3
		.amdhsa_fp16_overflow 0
		.amdhsa_memory_ordered 1
		.amdhsa_forward_progress 1
		.amdhsa_inst_pref_size 84
		.amdhsa_round_robin_scheduling 0
		.amdhsa_exception_fp_ieee_invalid_op 0
		.amdhsa_exception_fp_denorm_src 0
		.amdhsa_exception_fp_ieee_div_zero 0
		.amdhsa_exception_fp_ieee_overflow 0
		.amdhsa_exception_fp_ieee_underflow 0
		.amdhsa_exception_fp_ieee_inexact 0
		.amdhsa_exception_int_div_zero 0
	.end_amdhsa_kernel
	.section	.text._ZN2at6native32elementwise_kernel_manual_unrollILi128ELi8EZNS0_22gpu_kernel_impl_nocastIZZZNS0_12prelu_kernelERNS_14TensorIteratorEENKUlvE_clEvENKUlvE2_clEvEUlN3c104HalfES8_E_EEvRNS_18TensorIteratorBaseERKT_EUlibE_EEviT1_,"axG",@progbits,_ZN2at6native32elementwise_kernel_manual_unrollILi128ELi8EZNS0_22gpu_kernel_impl_nocastIZZZNS0_12prelu_kernelERNS_14TensorIteratorEENKUlvE_clEvENKUlvE2_clEvEUlN3c104HalfES8_E_EEvRNS_18TensorIteratorBaseERKT_EUlibE_EEviT1_,comdat
.Lfunc_end54:
	.size	_ZN2at6native32elementwise_kernel_manual_unrollILi128ELi8EZNS0_22gpu_kernel_impl_nocastIZZZNS0_12prelu_kernelERNS_14TensorIteratorEENKUlvE_clEvENKUlvE2_clEvEUlN3c104HalfES8_E_EEvRNS_18TensorIteratorBaseERKT_EUlibE_EEviT1_, .Lfunc_end54-_ZN2at6native32elementwise_kernel_manual_unrollILi128ELi8EZNS0_22gpu_kernel_impl_nocastIZZZNS0_12prelu_kernelERNS_14TensorIteratorEENKUlvE_clEvENKUlvE2_clEvEUlN3c104HalfES8_E_EEvRNS_18TensorIteratorBaseERKT_EUlibE_EEviT1_
                                        ; -- End function
	.set _ZN2at6native32elementwise_kernel_manual_unrollILi128ELi8EZNS0_22gpu_kernel_impl_nocastIZZZNS0_12prelu_kernelERNS_14TensorIteratorEENKUlvE_clEvENKUlvE2_clEvEUlN3c104HalfES8_E_EEvRNS_18TensorIteratorBaseERKT_EUlibE_EEviT1_.num_vgpr, 39
	.set _ZN2at6native32elementwise_kernel_manual_unrollILi128ELi8EZNS0_22gpu_kernel_impl_nocastIZZZNS0_12prelu_kernelERNS_14TensorIteratorEENKUlvE_clEvENKUlvE2_clEvEUlN3c104HalfES8_E_EEvRNS_18TensorIteratorBaseERKT_EUlibE_EEviT1_.num_agpr, 0
	.set _ZN2at6native32elementwise_kernel_manual_unrollILi128ELi8EZNS0_22gpu_kernel_impl_nocastIZZZNS0_12prelu_kernelERNS_14TensorIteratorEENKUlvE_clEvENKUlvE2_clEvEUlN3c104HalfES8_E_EEvRNS_18TensorIteratorBaseERKT_EUlibE_EEviT1_.numbered_sgpr, 46
	.set _ZN2at6native32elementwise_kernel_manual_unrollILi128ELi8EZNS0_22gpu_kernel_impl_nocastIZZZNS0_12prelu_kernelERNS_14TensorIteratorEENKUlvE_clEvENKUlvE2_clEvEUlN3c104HalfES8_E_EEvRNS_18TensorIteratorBaseERKT_EUlibE_EEviT1_.num_named_barrier, 0
	.set _ZN2at6native32elementwise_kernel_manual_unrollILi128ELi8EZNS0_22gpu_kernel_impl_nocastIZZZNS0_12prelu_kernelERNS_14TensorIteratorEENKUlvE_clEvENKUlvE2_clEvEUlN3c104HalfES8_E_EEvRNS_18TensorIteratorBaseERKT_EUlibE_EEviT1_.private_seg_size, 0
	.set _ZN2at6native32elementwise_kernel_manual_unrollILi128ELi8EZNS0_22gpu_kernel_impl_nocastIZZZNS0_12prelu_kernelERNS_14TensorIteratorEENKUlvE_clEvENKUlvE2_clEvEUlN3c104HalfES8_E_EEvRNS_18TensorIteratorBaseERKT_EUlibE_EEviT1_.uses_vcc, 1
	.set _ZN2at6native32elementwise_kernel_manual_unrollILi128ELi8EZNS0_22gpu_kernel_impl_nocastIZZZNS0_12prelu_kernelERNS_14TensorIteratorEENKUlvE_clEvENKUlvE2_clEvEUlN3c104HalfES8_E_EEvRNS_18TensorIteratorBaseERKT_EUlibE_EEviT1_.uses_flat_scratch, 0
	.set _ZN2at6native32elementwise_kernel_manual_unrollILi128ELi8EZNS0_22gpu_kernel_impl_nocastIZZZNS0_12prelu_kernelERNS_14TensorIteratorEENKUlvE_clEvENKUlvE2_clEvEUlN3c104HalfES8_E_EEvRNS_18TensorIteratorBaseERKT_EUlibE_EEviT1_.has_dyn_sized_stack, 0
	.set _ZN2at6native32elementwise_kernel_manual_unrollILi128ELi8EZNS0_22gpu_kernel_impl_nocastIZZZNS0_12prelu_kernelERNS_14TensorIteratorEENKUlvE_clEvENKUlvE2_clEvEUlN3c104HalfES8_E_EEvRNS_18TensorIteratorBaseERKT_EUlibE_EEviT1_.has_recursion, 0
	.set _ZN2at6native32elementwise_kernel_manual_unrollILi128ELi8EZNS0_22gpu_kernel_impl_nocastIZZZNS0_12prelu_kernelERNS_14TensorIteratorEENKUlvE_clEvENKUlvE2_clEvEUlN3c104HalfES8_E_EEvRNS_18TensorIteratorBaseERKT_EUlibE_EEviT1_.has_indirect_call, 0
	.section	.AMDGPU.csdata,"",@progbits
; Kernel info:
; codeLenInByte = 10672
; TotalNumSgprs: 48
; NumVgprs: 39
; ScratchSize: 0
; MemoryBound: 0
; FloatMode: 240
; IeeeMode: 1
; LDSByteSize: 0 bytes/workgroup (compile time only)
; SGPRBlocks: 0
; VGPRBlocks: 2
; NumSGPRsForWavesPerEU: 48
; NumVGPRsForWavesPerEU: 39
; NamedBarCnt: 0
; Occupancy: 16
; WaveLimiterHint : 1
; COMPUTE_PGM_RSRC2:SCRATCH_EN: 0
; COMPUTE_PGM_RSRC2:USER_SGPR: 2
; COMPUTE_PGM_RSRC2:TRAP_HANDLER: 0
; COMPUTE_PGM_RSRC2:TGID_X_EN: 1
; COMPUTE_PGM_RSRC2:TGID_Y_EN: 0
; COMPUTE_PGM_RSRC2:TGID_Z_EN: 0
; COMPUTE_PGM_RSRC2:TIDIG_COMP_CNT: 0
	.section	.text._ZN2at6native32elementwise_kernel_manual_unrollILi128ELi4EZNS0_15gpu_kernel_implIZZZNS0_12prelu_kernelERNS_14TensorIteratorEENKUlvE_clEvENKUlvE2_clEvEUlN3c104HalfES8_E_EEvRNS_18TensorIteratorBaseERKT_EUlibE_EEviT1_,"axG",@progbits,_ZN2at6native32elementwise_kernel_manual_unrollILi128ELi4EZNS0_15gpu_kernel_implIZZZNS0_12prelu_kernelERNS_14TensorIteratorEENKUlvE_clEvENKUlvE2_clEvEUlN3c104HalfES8_E_EEvRNS_18TensorIteratorBaseERKT_EUlibE_EEviT1_,comdat
	.globl	_ZN2at6native32elementwise_kernel_manual_unrollILi128ELi4EZNS0_15gpu_kernel_implIZZZNS0_12prelu_kernelERNS_14TensorIteratorEENKUlvE_clEvENKUlvE2_clEvEUlN3c104HalfES8_E_EEvRNS_18TensorIteratorBaseERKT_EUlibE_EEviT1_ ; -- Begin function _ZN2at6native32elementwise_kernel_manual_unrollILi128ELi4EZNS0_15gpu_kernel_implIZZZNS0_12prelu_kernelERNS_14TensorIteratorEENKUlvE_clEvENKUlvE2_clEvEUlN3c104HalfES8_E_EEvRNS_18TensorIteratorBaseERKT_EUlibE_EEviT1_
	.p2align	8
	.type	_ZN2at6native32elementwise_kernel_manual_unrollILi128ELi4EZNS0_15gpu_kernel_implIZZZNS0_12prelu_kernelERNS_14TensorIteratorEENKUlvE_clEvENKUlvE2_clEvEUlN3c104HalfES8_E_EEvRNS_18TensorIteratorBaseERKT_EUlibE_EEviT1_,@function
_ZN2at6native32elementwise_kernel_manual_unrollILi128ELi4EZNS0_15gpu_kernel_implIZZZNS0_12prelu_kernelERNS_14TensorIteratorEENKUlvE_clEvENKUlvE2_clEvEUlN3c104HalfES8_E_EEvRNS_18TensorIteratorBaseERKT_EUlibE_EEviT1_: ; @_ZN2at6native32elementwise_kernel_manual_unrollILi128ELi4EZNS0_15gpu_kernel_implIZZZNS0_12prelu_kernelERNS_14TensorIteratorEENKUlvE_clEvENKUlvE2_clEvEUlN3c104HalfES8_E_EEvRNS_18TensorIteratorBaseERKT_EUlibE_EEviT1_
; %bb.0:
	v_mov_b32_e32 v1, 0
	s_bfe_u32 s4, ttmp6, 0x4000c
	s_load_b32 s16, s[0:1], 0x0
	s_add_co_i32 s13, s4, 1
	s_load_b128 s[4:7], s[0:1], 0x8
	s_clause 0x1
	global_load_u16 v2, v1, s[0:1] offset:45
	global_load_i8 v3, v1, s[0:1] offset:47
	s_clause 0x1
	s_load_b64 s[2:3], s[0:1], 0x18
	s_load_b96 s[8:10], s[0:1], 0x20
	s_and_b32 s12, ttmp6, 15
	s_wait_xcnt 0x0
	s_mul_i32 s0, ttmp9, s13
	s_getreg_b32 s14, hwreg(HW_REG_IB_STS2, 6, 4)
	s_add_co_i32 s12, s12, s0
	s_mov_b32 s15, 0
	s_wait_loadcnt 0x1
	v_readfirstlane_b32 s11, v2
	s_wait_loadcnt 0x0
	v_readfirstlane_b32 s1, v3
	s_lshr_b32 s13, s11, 8
	s_cmp_eq_u32 s14, 0
	s_cselect_b32 s0, ttmp9, s12
	s_mov_b32 s12, 0
	v_lshl_or_b32 v6, s0, 9, v0
	s_mov_b32 s0, exec_lo
	s_delay_alu instid0(VALU_DEP_1) | instskip(SKIP_1) | instid1(VALU_DEP_1)
	v_or_b32_e32 v0, 0x180, v6
	s_wait_kmcnt 0x0
	v_cmpx_le_i32_e64 s16, v0
	s_xor_b32 s14, exec_lo, s0
	s_cbranch_execz .LBB55_1543
; %bb.1:
	s_mov_b32 s23, -1
	s_mov_b32 s20, 0
	s_mov_b32 s18, 0
	;; [unrolled: 1-line block ×3, first 2 shown]
	s_mov_b32 s19, exec_lo
	v_cmpx_gt_i32_e64 s16, v6
	s_cbranch_execz .LBB55_381
; %bb.2:
	v_mul_lo_u32 v0, v6, s9
	s_and_b32 s0, s13, 0xff
	s_delay_alu instid0(SALU_CYCLE_1) | instskip(NEXT) | instid1(VALU_DEP_1)
	s_cmp_lt_i32 s0, 11
	v_ashrrev_i32_e32 v1, 31, v0
	s_delay_alu instid0(VALU_DEP_1)
	v_add_nc_u64_e32 v[0:1], s[6:7], v[0:1]
	s_cbranch_scc1 .LBB55_9
; %bb.3:
	s_and_b32 s15, 0xffff, s0
	s_delay_alu instid0(SALU_CYCLE_1)
	s_cmp_gt_i32 s15, 25
	s_cbranch_scc0 .LBB55_18
; %bb.4:
	s_cmp_gt_i32 s15, 28
	s_cbranch_scc0 .LBB55_67
; %bb.5:
	;; [unrolled: 3-line block ×4, first 2 shown]
	s_cmp_eq_u32 s15, 46
	s_mov_b32 s21, 0
	s_cbranch_scc0 .LBB55_75
; %bb.8:
	global_load_b32 v2, v[0:1], off
	s_mov_b32 s17, -1
	s_wait_loadcnt 0x0
	v_lshlrev_b32_e32 v2, 16, v2
	s_delay_alu instid0(VALU_DEP_1)
	v_cvt_f16_f32_e32 v2, v2
	s_branch .LBB55_77
.LBB55_9:
                                        ; implicit-def: $vgpr2
	s_cbranch_execnz .LBB55_143
.LBB55_10:
	s_and_not1_b32 vcc_lo, exec_lo, s17
	s_cbranch_vccnz .LBB55_190
.LBB55_11:
	s_wait_xcnt 0x0
	v_mul_lo_u32 v0, v6, s10
	s_and_b32 s0, s1, 0xff
	s_delay_alu instid0(SALU_CYCLE_1) | instskip(NEXT) | instid1(VALU_DEP_1)
	s_cmp_lt_i32 s0, 11
	v_ashrrev_i32_e32 v1, 31, v0
	s_delay_alu instid0(VALU_DEP_1)
	v_add_nc_u64_e32 v[0:1], s[2:3], v[0:1]
	s_cbranch_scc1 .LBB55_19
; %bb.12:
	s_and_b32 s15, 0xffff, s0
	s_delay_alu instid0(SALU_CYCLE_1)
	s_cmp_gt_i32 s15, 25
	s_cbranch_scc0 .LBB55_68
; %bb.13:
	s_cmp_gt_i32 s15, 28
	s_cbranch_scc0 .LBB55_70
; %bb.14:
	;; [unrolled: 3-line block ×4, first 2 shown]
	s_cmp_eq_u32 s15, 46
	s_mov_b32 s22, 0
	s_cbranch_scc0 .LBB55_191
; %bb.17:
	global_load_b32 v3, v[0:1], off
	s_mov_b32 s21, -1
	s_mov_b32 s17, 0
	s_wait_loadcnt 0x0
	v_lshlrev_b32_e32 v3, 16, v3
	s_delay_alu instid0(VALU_DEP_1)
	v_cvt_f16_f32_e32 v3, v3
	s_branch .LBB55_193
.LBB55_18:
                                        ; implicit-def: $vgpr2
	s_cbranch_execnz .LBB55_108
	s_branch .LBB55_142
.LBB55_19:
	s_mov_b32 s17, 0
	s_mov_b32 s21, 0
                                        ; implicit-def: $vgpr3
	s_cbranch_execnz .LBB55_330
.LBB55_20:
	s_and_not1_b32 vcc_lo, exec_lo, s21
	s_cbranch_vccnz .LBB55_378
.LBB55_21:
	s_wait_xcnt 0x0
	v_mul_lo_u32 v0, v6, s8
	s_wait_loadcnt 0x0
	v_mul_f16_e32 v3, v2, v3
	v_cmp_lt_f16_e32 vcc_lo, 0, v2
	s_and_b32 s15, s11, 0xff
	s_mov_b32 s0, 0
	s_mov_b32 s21, -1
	s_cmp_lt_i32 s15, 11
	s_mov_b32 s22, 0
	s_delay_alu instid0(VALU_DEP_3) | instskip(NEXT) | instid1(VALU_DEP_1)
	v_dual_cndmask_b32 v2, v3, v2 :: v_dual_ashrrev_i32 v1, 31, v0
	v_add_nc_u64_e32 v[0:1], s[4:5], v[0:1]
	s_cbranch_scc1 .LBB55_28
; %bb.22:
	s_and_b32 s21, 0xffff, s15
	s_delay_alu instid0(SALU_CYCLE_1)
	s_cmp_gt_i32 s21, 25
	s_cbranch_scc0 .LBB55_71
; %bb.23:
	s_cmp_gt_i32 s21, 28
	s_cbranch_scc0 .LBB55_74
; %bb.24:
	;; [unrolled: 3-line block ×4, first 2 shown]
	s_mov_b32 s23, 0
	s_mov_b32 s0, -1
	s_cmp_eq_u32 s21, 46
	s_cbranch_scc0 .LBB55_197
; %bb.27:
	v_cvt_f32_f16_e32 v3, v2
	v_cmp_o_f16_e32 vcc_lo, v2, v2
	s_mov_b32 s22, -1
	s_mov_b32 s0, 0
	s_delay_alu instid0(VALU_DEP_2) | instskip(NEXT) | instid1(VALU_DEP_1)
	v_bfe_u32 v4, v3, 16, 1
	v_add3_u32 v3, v3, v4, 0x7fff
	s_delay_alu instid0(VALU_DEP_1) | instskip(NEXT) | instid1(VALU_DEP_1)
	v_lshrrev_b32_e32 v3, 16, v3
	v_cndmask_b32_e32 v3, 0x7fc0, v3, vcc_lo
	global_store_b32 v[0:1], v3, off
	s_branch .LBB55_197
.LBB55_28:
	s_and_b32 vcc_lo, exec_lo, s21
	s_cbranch_vccz .LBB55_266
; %bb.29:
	s_and_b32 s15, 0xffff, s15
	s_mov_b32 s21, -1
	s_cmp_lt_i32 s15, 5
	s_cbranch_scc1 .LBB55_50
; %bb.30:
	s_cmp_lt_i32 s15, 8
	s_cbranch_scc1 .LBB55_40
; %bb.31:
	;; [unrolled: 3-line block ×3, first 2 shown]
	s_cmp_gt_i32 s15, 9
	s_cbranch_scc0 .LBB55_34
; %bb.33:
	s_wait_xcnt 0x0
	v_cvt_f32_f16_e32 v3, v2
	v_mov_b32_e32 v10, 0
	s_mov_b32 s21, 0
	s_delay_alu instid0(VALU_DEP_2) | instskip(NEXT) | instid1(VALU_DEP_2)
	v_cvt_f64_f32_e32 v[8:9], v3
	v_mov_b32_e32 v11, v10
	global_store_b128 v[0:1], v[8:11], off
.LBB55_34:
	s_and_not1_b32 vcc_lo, exec_lo, s21
	s_cbranch_vccnz .LBB55_36
; %bb.35:
	s_wait_xcnt 0x0
	v_cvt_f32_f16_e32 v4, v2
	v_mov_b32_e32 v5, 0
	global_store_b64 v[0:1], v[4:5], off
.LBB55_36:
	s_mov_b32 s21, 0
.LBB55_37:
	s_delay_alu instid0(SALU_CYCLE_1)
	s_and_not1_b32 vcc_lo, exec_lo, s21
	s_cbranch_vccnz .LBB55_39
; %bb.38:
	s_wait_xcnt 0x0
	v_and_b32_e32 v3, 0xffff, v2
	global_store_b32 v[0:1], v3, off
.LBB55_39:
	s_mov_b32 s21, 0
.LBB55_40:
	s_delay_alu instid0(SALU_CYCLE_1)
	s_and_not1_b32 vcc_lo, exec_lo, s21
	s_cbranch_vccnz .LBB55_49
; %bb.41:
	s_cmp_lt_i32 s15, 6
	s_mov_b32 s21, -1
	s_cbranch_scc1 .LBB55_47
; %bb.42:
	s_cmp_gt_i32 s15, 6
	s_cbranch_scc0 .LBB55_44
; %bb.43:
	s_wait_xcnt 0x0
	v_cvt_f32_f16_e32 v3, v2
	s_mov_b32 s21, 0
	s_delay_alu instid0(VALU_DEP_1)
	v_cvt_f64_f32_e32 v[4:5], v3
	global_store_b64 v[0:1], v[4:5], off
.LBB55_44:
	s_and_not1_b32 vcc_lo, exec_lo, s21
	s_cbranch_vccnz .LBB55_46
; %bb.45:
	s_wait_xcnt 0x0
	v_cvt_f32_f16_e32 v3, v2
	global_store_b32 v[0:1], v3, off
.LBB55_46:
	s_mov_b32 s21, 0
.LBB55_47:
	s_delay_alu instid0(SALU_CYCLE_1)
	s_and_not1_b32 vcc_lo, exec_lo, s21
	s_cbranch_vccnz .LBB55_49
; %bb.48:
	global_store_b16 v[0:1], v2, off
.LBB55_49:
	s_mov_b32 s21, 0
.LBB55_50:
	s_delay_alu instid0(SALU_CYCLE_1)
	s_and_not1_b32 vcc_lo, exec_lo, s21
	s_cbranch_vccnz .LBB55_66
; %bb.51:
	s_cmp_lt_i32 s15, 2
	s_mov_b32 s21, -1
	s_cbranch_scc1 .LBB55_61
; %bb.52:
	s_cmp_lt_i32 s15, 3
	s_cbranch_scc1 .LBB55_58
; %bb.53:
	s_cmp_gt_i32 s15, 3
	s_cbranch_scc0 .LBB55_55
; %bb.54:
	s_wait_xcnt 0x0
	v_cvt_f32_f16_e32 v3, v2
	s_mov_b32 s21, 0
	s_delay_alu instid0(VALU_DEP_1) | instskip(NEXT) | instid1(VALU_DEP_1)
	v_cvt_i32_f32_e32 v4, v3
	v_ashrrev_i32_e32 v5, 31, v4
	global_store_b64 v[0:1], v[4:5], off
.LBB55_55:
	s_and_not1_b32 vcc_lo, exec_lo, s21
	s_cbranch_vccnz .LBB55_57
; %bb.56:
	s_wait_xcnt 0x0
	v_cvt_f32_f16_e32 v3, v2
	s_delay_alu instid0(VALU_DEP_1)
	v_cvt_i32_f32_e32 v3, v3
	global_store_b32 v[0:1], v3, off
.LBB55_57:
	s_mov_b32 s21, 0
.LBB55_58:
	s_delay_alu instid0(SALU_CYCLE_1)
	s_and_not1_b32 vcc_lo, exec_lo, s21
	s_cbranch_vccnz .LBB55_60
; %bb.59:
	s_wait_xcnt 0x0
	v_cvt_i16_f16_e32 v3, v2
	global_store_b16 v[0:1], v3, off
.LBB55_60:
	s_mov_b32 s21, 0
.LBB55_61:
	s_delay_alu instid0(SALU_CYCLE_1)
	s_and_not1_b32 vcc_lo, exec_lo, s21
	s_cbranch_vccnz .LBB55_66
; %bb.62:
	s_cmp_gt_i32 s15, 0
	s_mov_b32 s15, -1
	s_cbranch_scc0 .LBB55_64
; %bb.63:
	s_wait_xcnt 0x0
	v_cvt_i16_f16_e32 v3, v2
	s_mov_b32 s15, 0
	global_store_b8 v[0:1], v3, off
.LBB55_64:
	s_and_not1_b32 vcc_lo, exec_lo, s15
	s_cbranch_vccnz .LBB55_66
; %bb.65:
	s_wait_xcnt 0x0
	v_cvt_f32_f16_e32 v2, v2
	s_delay_alu instid0(VALU_DEP_1)
	v_cvt_i32_f32_e32 v2, v2
	global_store_b8 v[0:1], v2, off
.LBB55_66:
	s_branch .LBB55_267
.LBB55_67:
	s_mov_b32 s21, -1
                                        ; implicit-def: $vgpr2
	s_branch .LBB55_89
.LBB55_68:
	s_mov_b32 s22, -1
	s_mov_b32 s17, 0
	s_mov_b32 s21, 0
                                        ; implicit-def: $vgpr3
	s_branch .LBB55_294
.LBB55_69:
	s_mov_b32 s21, -1
                                        ; implicit-def: $vgpr2
	s_branch .LBB55_84
.LBB55_70:
	s_mov_b32 s22, -1
	s_mov_b32 s17, 0
	s_mov_b32 s21, 0
                                        ; implicit-def: $vgpr3
	s_branch .LBB55_275
.LBB55_71:
	s_mov_b32 s23, -1
	s_branch .LBB55_224
.LBB55_72:
	s_mov_b32 s21, -1
	s_branch .LBB55_76
.LBB55_73:
	s_mov_b32 s22, -1
	s_mov_b32 s17, 0
	s_mov_b32 s21, 0
                                        ; implicit-def: $vgpr3
	s_branch .LBB55_270
.LBB55_74:
	s_mov_b32 s23, -1
	s_branch .LBB55_207
.LBB55_75:
	s_mov_b32 s18, -1
.LBB55_76:
                                        ; implicit-def: $vgpr2
.LBB55_77:
	s_and_b32 vcc_lo, exec_lo, s21
	s_cbranch_vccz .LBB55_83
; %bb.78:
	s_cmp_eq_u32 s15, 44
	s_cbranch_scc0 .LBB55_82
; %bb.79:
	global_load_u8 v2, v[0:1], off
	s_mov_b32 s18, 0
	s_mov_b32 s17, -1
	s_wait_loadcnt 0x0
	v_lshlrev_b32_e32 v3, 23, v2
	v_cmp_ne_u32_e32 vcc_lo, 0xff, v2
	s_delay_alu instid0(VALU_DEP_2) | instskip(NEXT) | instid1(VALU_DEP_1)
	v_cvt_f16_f32_e32 v3, v3
	v_cndmask_b32_e32 v3, 0x7e00, v3, vcc_lo
	v_cmp_ne_u32_e32 vcc_lo, 0, v2
	s_delay_alu instid0(VALU_DEP_2)
	v_cndmask_b32_e32 v2, 0, v3, vcc_lo
	s_branch .LBB55_83
.LBB55_80:
	s_mov_b32 s22, -1
	s_mov_b32 s17, 0
	s_branch .LBB55_192
.LBB55_81:
	s_mov_b32 s23, -1
	s_branch .LBB55_203
.LBB55_82:
	s_mov_b32 s18, -1
                                        ; implicit-def: $vgpr2
.LBB55_83:
	s_mov_b32 s21, 0
.LBB55_84:
	s_delay_alu instid0(SALU_CYCLE_1)
	s_and_b32 vcc_lo, exec_lo, s21
	s_cbranch_vccz .LBB55_88
; %bb.85:
	s_cmp_eq_u32 s15, 29
	s_cbranch_scc0 .LBB55_87
; %bb.86:
	global_load_b64 v[2:3], v[0:1], off
	s_mov_b32 s17, -1
	s_mov_b32 s18, 0
	s_mov_b32 s21, 0
	s_wait_loadcnt 0x0
	v_clz_i32_u32_e32 v4, v3
	s_delay_alu instid0(VALU_DEP_1) | instskip(NEXT) | instid1(VALU_DEP_1)
	v_min_u32_e32 v4, 32, v4
	v_lshlrev_b64_e32 v[2:3], v4, v[2:3]
	s_delay_alu instid0(VALU_DEP_1) | instskip(NEXT) | instid1(VALU_DEP_1)
	v_min_u32_e32 v2, 1, v2
	v_dual_sub_nc_u32 v3, 32, v4 :: v_dual_bitop2_b32 v2, v3, v2 bitop3:0x54
	s_delay_alu instid0(VALU_DEP_1) | instskip(NEXT) | instid1(VALU_DEP_1)
	v_cvt_f32_u32_e32 v2, v2
	v_ldexp_f32 v2, v2, v3
	s_delay_alu instid0(VALU_DEP_1)
	v_cvt_f16_f32_e32 v2, v2
	s_branch .LBB55_89
.LBB55_87:
	s_mov_b32 s18, -1
                                        ; implicit-def: $vgpr2
.LBB55_88:
	s_mov_b32 s21, 0
.LBB55_89:
	s_delay_alu instid0(SALU_CYCLE_1)
	s_and_b32 vcc_lo, exec_lo, s21
	s_cbranch_vccz .LBB55_107
; %bb.90:
	s_cmp_lt_i32 s15, 27
	s_cbranch_scc1 .LBB55_93
; %bb.91:
	s_cmp_gt_i32 s15, 27
	s_cbranch_scc0 .LBB55_94
; %bb.92:
	global_load_b32 v2, v[0:1], off
	s_mov_b32 s17, 0
	s_wait_loadcnt 0x0
	v_cvt_f32_u32_e32 v2, v2
	s_delay_alu instid0(VALU_DEP_1)
	v_cvt_f16_f32_e32 v2, v2
	s_branch .LBB55_95
.LBB55_93:
	s_mov_b32 s17, -1
                                        ; implicit-def: $vgpr2
	s_branch .LBB55_98
.LBB55_94:
	s_mov_b32 s17, -1
                                        ; implicit-def: $vgpr2
.LBB55_95:
	s_delay_alu instid0(SALU_CYCLE_1)
	s_and_not1_b32 vcc_lo, exec_lo, s17
	s_cbranch_vccnz .LBB55_97
; %bb.96:
	global_load_u16 v2, v[0:1], off
	s_wait_loadcnt 0x0
	v_cvt_f16_u16_e32 v2, v2
.LBB55_97:
	s_mov_b32 s17, 0
.LBB55_98:
	s_delay_alu instid0(SALU_CYCLE_1)
	s_and_not1_b32 vcc_lo, exec_lo, s17
	s_cbranch_vccnz .LBB55_106
; %bb.99:
	global_load_u8 v3, v[0:1], off
	s_mov_b32 s17, 0
	s_mov_b32 s21, exec_lo
	s_wait_loadcnt 0x0
	v_cmpx_lt_i16_e32 0x7f, v3
	s_xor_b32 s21, exec_lo, s21
	s_cbranch_execz .LBB55_119
; %bb.100:
	s_mov_b32 s17, -1
	s_mov_b32 s22, exec_lo
	v_cmpx_eq_u16_e32 0x80, v3
; %bb.101:
	s_xor_b32 s17, exec_lo, -1
; %bb.102:
	s_or_b32 exec_lo, exec_lo, s22
	s_delay_alu instid0(SALU_CYCLE_1)
	s_and_b32 s17, s17, exec_lo
	s_or_saveexec_b32 s21, s21
	v_mov_b32_e32 v2, 0x7e00
	s_xor_b32 exec_lo, exec_lo, s21
	s_cbranch_execnz .LBB55_120
.LBB55_103:
	s_or_b32 exec_lo, exec_lo, s21
	s_and_saveexec_b32 s21, s17
	s_cbranch_execz .LBB55_105
.LBB55_104:
	v_and_b32_e32 v2, 0xffff, v3
	s_delay_alu instid0(VALU_DEP_1) | instskip(SKIP_1) | instid1(VALU_DEP_2)
	v_and_b32_e32 v4, 7, v2
	v_bfe_u32 v8, v2, 3, 4
	v_clz_i32_u32_e32 v5, v4
	s_delay_alu instid0(VALU_DEP_2) | instskip(NEXT) | instid1(VALU_DEP_2)
	v_cmp_eq_u32_e32 vcc_lo, 0, v8
	v_min_u32_e32 v5, 32, v5
	s_delay_alu instid0(VALU_DEP_1) | instskip(NEXT) | instid1(VALU_DEP_1)
	v_subrev_nc_u32_e32 v7, 28, v5
	v_dual_lshlrev_b32 v2, v7, v2 :: v_dual_sub_nc_u32 v5, 29, v5
	s_delay_alu instid0(VALU_DEP_1) | instskip(NEXT) | instid1(VALU_DEP_2)
	v_dual_lshlrev_b32 v3, 24, v3 :: v_dual_bitop2_b32 v2, 7, v2 bitop3:0x40
	v_cndmask_b32_e32 v5, v8, v5, vcc_lo
	s_delay_alu instid0(VALU_DEP_2) | instskip(NEXT) | instid1(VALU_DEP_3)
	v_cndmask_b32_e32 v2, v4, v2, vcc_lo
	v_and_b32_e32 v3, 0x80000000, v3
	s_delay_alu instid0(VALU_DEP_3) | instskip(NEXT) | instid1(VALU_DEP_3)
	v_lshl_add_u32 v4, v5, 23, 0x3b800000
	v_lshlrev_b32_e32 v2, 20, v2
	s_delay_alu instid0(VALU_DEP_1) | instskip(NEXT) | instid1(VALU_DEP_1)
	v_or3_b32 v2, v3, v4, v2
	v_cvt_f16_f32_e32 v2, v2
.LBB55_105:
	s_or_b32 exec_lo, exec_lo, s21
.LBB55_106:
	s_mov_b32 s17, -1
.LBB55_107:
	s_branch .LBB55_142
.LBB55_108:
	s_cmp_gt_i32 s15, 22
	s_cbranch_scc0 .LBB55_118
; %bb.109:
	s_cmp_lt_i32 s15, 24
	s_cbranch_scc1 .LBB55_121
; %bb.110:
	s_cmp_gt_i32 s15, 24
	s_cbranch_scc0 .LBB55_122
; %bb.111:
	global_load_u8 v3, v[0:1], off
	s_mov_b32 s17, 0
	s_mov_b32 s21, exec_lo
	s_wait_loadcnt 0x0
	v_cmpx_lt_i16_e32 0x7f, v3
	s_xor_b32 s21, exec_lo, s21
	s_cbranch_execz .LBB55_134
; %bb.112:
	s_mov_b32 s17, -1
	s_mov_b32 s22, exec_lo
	v_cmpx_eq_u16_e32 0x80, v3
; %bb.113:
	s_xor_b32 s17, exec_lo, -1
; %bb.114:
	s_or_b32 exec_lo, exec_lo, s22
	s_delay_alu instid0(SALU_CYCLE_1)
	s_and_b32 s17, s17, exec_lo
	s_or_saveexec_b32 s21, s21
	v_mov_b32_e32 v2, 0x7e00
	s_xor_b32 exec_lo, exec_lo, s21
	s_cbranch_execnz .LBB55_135
.LBB55_115:
	s_or_b32 exec_lo, exec_lo, s21
	s_and_saveexec_b32 s21, s17
	s_cbranch_execz .LBB55_117
.LBB55_116:
	v_and_b32_e32 v2, 0xffff, v3
	s_delay_alu instid0(VALU_DEP_1) | instskip(SKIP_1) | instid1(VALU_DEP_2)
	v_and_b32_e32 v4, 3, v2
	v_bfe_u32 v8, v2, 2, 5
	v_clz_i32_u32_e32 v5, v4
	s_delay_alu instid0(VALU_DEP_2) | instskip(NEXT) | instid1(VALU_DEP_2)
	v_cmp_eq_u32_e32 vcc_lo, 0, v8
	v_min_u32_e32 v5, 32, v5
	s_delay_alu instid0(VALU_DEP_1) | instskip(NEXT) | instid1(VALU_DEP_1)
	v_subrev_nc_u32_e32 v7, 29, v5
	v_dual_lshlrev_b32 v2, v7, v2 :: v_dual_sub_nc_u32 v5, 30, v5
	s_delay_alu instid0(VALU_DEP_1) | instskip(NEXT) | instid1(VALU_DEP_2)
	v_dual_lshlrev_b32 v3, 24, v3 :: v_dual_bitop2_b32 v2, 3, v2 bitop3:0x40
	v_cndmask_b32_e32 v5, v8, v5, vcc_lo
	s_delay_alu instid0(VALU_DEP_2) | instskip(NEXT) | instid1(VALU_DEP_3)
	v_cndmask_b32_e32 v2, v4, v2, vcc_lo
	v_and_b32_e32 v3, 0x80000000, v3
	s_delay_alu instid0(VALU_DEP_3) | instskip(NEXT) | instid1(VALU_DEP_3)
	v_lshl_add_u32 v4, v5, 23, 0x37800000
	v_lshlrev_b32_e32 v2, 21, v2
	s_delay_alu instid0(VALU_DEP_1) | instskip(NEXT) | instid1(VALU_DEP_1)
	v_or3_b32 v2, v3, v4, v2
	v_cvt_f16_f32_e32 v2, v2
.LBB55_117:
	s_or_b32 exec_lo, exec_lo, s21
	s_mov_b32 s17, 0
	s_branch .LBB55_123
.LBB55_118:
	s_mov_b32 s21, -1
                                        ; implicit-def: $vgpr2
	s_branch .LBB55_129
.LBB55_119:
	s_or_saveexec_b32 s21, s21
	v_mov_b32_e32 v2, 0x7e00
	s_xor_b32 exec_lo, exec_lo, s21
	s_cbranch_execz .LBB55_103
.LBB55_120:
	v_cmp_ne_u16_e32 vcc_lo, 0, v3
	v_mov_b32_e32 v2, v3
	s_and_not1_b32 s17, s17, exec_lo
	s_and_b32 s22, vcc_lo, exec_lo
	s_delay_alu instid0(SALU_CYCLE_1)
	s_or_b32 s17, s17, s22
	s_or_b32 exec_lo, exec_lo, s21
	s_and_saveexec_b32 s21, s17
	s_cbranch_execnz .LBB55_104
	s_branch .LBB55_105
.LBB55_121:
	s_mov_b32 s17, -1
                                        ; implicit-def: $vgpr2
	s_branch .LBB55_126
.LBB55_122:
	s_mov_b32 s17, -1
                                        ; implicit-def: $vgpr2
.LBB55_123:
	s_delay_alu instid0(SALU_CYCLE_1)
	s_and_b32 vcc_lo, exec_lo, s17
	s_cbranch_vccz .LBB55_125
; %bb.124:
	global_load_u8 v2, v[0:1], off
	s_wait_loadcnt 0x0
	v_lshlrev_b32_e32 v2, 24, v2
	s_delay_alu instid0(VALU_DEP_1) | instskip(NEXT) | instid1(VALU_DEP_1)
	v_and_b32_e32 v3, 0x7f000000, v2
	v_clz_i32_u32_e32 v4, v3
	v_add_nc_u32_e32 v7, 0x1000000, v3
	v_cmp_ne_u32_e32 vcc_lo, 0, v3
	s_delay_alu instid0(VALU_DEP_3) | instskip(NEXT) | instid1(VALU_DEP_1)
	v_min_u32_e32 v4, 32, v4
	v_sub_nc_u32_e64 v4, v4, 4 clamp
	s_delay_alu instid0(VALU_DEP_1) | instskip(NEXT) | instid1(VALU_DEP_1)
	v_dual_lshlrev_b32 v5, v4, v3 :: v_dual_lshlrev_b32 v4, 23, v4
	v_lshrrev_b32_e32 v5, 4, v5
	s_delay_alu instid0(VALU_DEP_1) | instskip(NEXT) | instid1(VALU_DEP_1)
	v_dual_sub_nc_u32 v4, v5, v4 :: v_dual_ashrrev_i32 v5, 8, v7
	v_add_nc_u32_e32 v4, 0x3c000000, v4
	s_delay_alu instid0(VALU_DEP_1) | instskip(NEXT) | instid1(VALU_DEP_1)
	v_and_or_b32 v4, 0x7f800000, v5, v4
	v_cndmask_b32_e32 v3, 0, v4, vcc_lo
	s_delay_alu instid0(VALU_DEP_1) | instskip(NEXT) | instid1(VALU_DEP_1)
	v_and_or_b32 v2, 0x80000000, v2, v3
	v_cvt_f16_f32_e32 v2, v2
.LBB55_125:
	s_mov_b32 s17, 0
.LBB55_126:
	s_delay_alu instid0(SALU_CYCLE_1)
	s_and_not1_b32 vcc_lo, exec_lo, s17
	s_cbranch_vccnz .LBB55_128
; %bb.127:
	global_load_u8 v2, v[0:1], off
	s_wait_loadcnt 0x0
	v_lshlrev_b32_e32 v3, 25, v2
	v_lshlrev_b16 v2, 8, v2
	s_delay_alu instid0(VALU_DEP_1) | instskip(SKIP_1) | instid1(VALU_DEP_2)
	v_and_or_b32 v5, 0x7f00, v2, 0.5
	v_bfe_i32 v2, v2, 0, 16
	v_dual_add_f32 v5, -0.5, v5 :: v_dual_lshrrev_b32 v4, 4, v3
	v_cmp_gt_u32_e32 vcc_lo, 0x8000000, v3
	s_delay_alu instid0(VALU_DEP_2) | instskip(NEXT) | instid1(VALU_DEP_1)
	v_or_b32_e32 v4, 0x70000000, v4
	v_mul_f32_e32 v4, 0x7800000, v4
	s_delay_alu instid0(VALU_DEP_1) | instskip(NEXT) | instid1(VALU_DEP_1)
	v_cndmask_b32_e32 v3, v4, v5, vcc_lo
	v_and_or_b32 v2, 0x80000000, v2, v3
	s_delay_alu instid0(VALU_DEP_1)
	v_cvt_f16_f32_e32 v2, v2
.LBB55_128:
	s_mov_b32 s21, 0
	s_mov_b32 s17, -1
.LBB55_129:
	s_and_not1_b32 vcc_lo, exec_lo, s21
	s_cbranch_vccnz .LBB55_142
; %bb.130:
	s_cmp_gt_i32 s15, 14
	s_cbranch_scc0 .LBB55_133
; %bb.131:
	s_cmp_eq_u32 s15, 15
	s_cbranch_scc0 .LBB55_136
; %bb.132:
	global_load_u16 v2, v[0:1], off
	s_mov_b32 s17, -1
	s_mov_b32 s18, 0
	s_wait_loadcnt 0x0
	v_lshlrev_b32_e32 v2, 16, v2
	s_delay_alu instid0(VALU_DEP_1)
	v_cvt_f16_f32_e32 v2, v2
	s_branch .LBB55_137
.LBB55_133:
	s_mov_b32 s21, -1
                                        ; implicit-def: $vgpr2
	s_branch .LBB55_138
.LBB55_134:
	s_or_saveexec_b32 s21, s21
	v_mov_b32_e32 v2, 0x7e00
	s_xor_b32 exec_lo, exec_lo, s21
	s_cbranch_execz .LBB55_115
.LBB55_135:
	v_cmp_ne_u16_e32 vcc_lo, 0, v3
	v_mov_b32_e32 v2, v3
	s_and_not1_b32 s17, s17, exec_lo
	s_and_b32 s22, vcc_lo, exec_lo
	s_delay_alu instid0(SALU_CYCLE_1)
	s_or_b32 s17, s17, s22
	s_or_b32 exec_lo, exec_lo, s21
	s_and_saveexec_b32 s21, s17
	s_cbranch_execnz .LBB55_116
	s_branch .LBB55_117
.LBB55_136:
	s_mov_b32 s18, -1
                                        ; implicit-def: $vgpr2
.LBB55_137:
	s_mov_b32 s21, 0
.LBB55_138:
	s_delay_alu instid0(SALU_CYCLE_1)
	s_and_b32 vcc_lo, exec_lo, s21
	s_cbranch_vccz .LBB55_142
; %bb.139:
	s_cmp_eq_u32 s15, 11
	s_cbranch_scc0 .LBB55_141
; %bb.140:
	global_load_u8 v2, v[0:1], off
	s_mov_b32 s18, 0
	s_mov_b32 s17, -1
	s_wait_loadcnt 0x0
	v_cmp_ne_u16_e32 vcc_lo, 0, v2
	v_cndmask_b32_e64 v2, 0, 0x3c00, vcc_lo
	s_branch .LBB55_142
.LBB55_141:
	s_mov_b32 s18, -1
                                        ; implicit-def: $vgpr2
.LBB55_142:
	s_branch .LBB55_10
.LBB55_143:
	s_and_b32 s0, 0xffff, s0
	s_delay_alu instid0(SALU_CYCLE_1)
	s_cmp_lt_i32 s0, 5
	s_cbranch_scc1 .LBB55_148
; %bb.144:
	s_cmp_lt_i32 s0, 8
	s_cbranch_scc1 .LBB55_149
; %bb.145:
	;; [unrolled: 3-line block ×3, first 2 shown]
	s_cmp_gt_i32 s0, 9
	s_cbranch_scc0 .LBB55_151
; %bb.147:
	global_load_b64 v[2:3], v[0:1], off
	s_mov_b32 s15, 0
	s_wait_loadcnt 0x0
	v_and_or_b32 v2, 0x1ff, v3, v2
	v_lshrrev_b32_e32 v4, 8, v3
	v_bfe_u32 v5, v3, 20, 11
	v_lshrrev_b32_e32 v3, 16, v3
	s_delay_alu instid0(VALU_DEP_4) | instskip(NEXT) | instid1(VALU_DEP_3)
	v_cmp_ne_u32_e32 vcc_lo, 0, v2
	v_sub_nc_u32_e32 v7, 0x3f1, v5
	v_add_nc_u32_e32 v5, 0xfffffc10, v5
	v_cndmask_b32_e64 v2, 0, 1, vcc_lo
	s_delay_alu instid0(VALU_DEP_1) | instskip(NEXT) | instid1(VALU_DEP_4)
	v_and_or_b32 v2, 0xffe, v4, v2
	v_med3_i32 v4, v7, 0, 13
	s_delay_alu instid0(VALU_DEP_2) | instskip(NEXT) | instid1(VALU_DEP_1)
	v_or_b32_e32 v7, 0x1000, v2
	v_lshrrev_b32_e32 v8, v4, v7
	s_delay_alu instid0(VALU_DEP_1) | instskip(NEXT) | instid1(VALU_DEP_1)
	v_lshlrev_b32_e32 v4, v4, v8
	v_cmp_ne_u32_e32 vcc_lo, v4, v7
	v_lshl_or_b32 v7, v5, 12, v2
	v_cndmask_b32_e64 v4, 0, 1, vcc_lo
	v_cmp_gt_i32_e32 vcc_lo, 1, v5
	s_delay_alu instid0(VALU_DEP_2) | instskip(NEXT) | instid1(VALU_DEP_1)
	v_or_b32_e32 v4, v8, v4
	v_cndmask_b32_e32 v4, v7, v4, vcc_lo
	s_delay_alu instid0(VALU_DEP_1) | instskip(NEXT) | instid1(VALU_DEP_1)
	v_dual_lshrrev_b32 v4, 2, v4 :: v_dual_bitop2_b32 v7, 7, v4 bitop3:0x40
	v_cmp_lt_i32_e32 vcc_lo, 5, v7
	v_cndmask_b32_e64 v8, 0, 1, vcc_lo
	v_cmp_eq_u32_e32 vcc_lo, 3, v7
	v_cndmask_b32_e64 v7, 0, 1, vcc_lo
	v_cmp_ne_u32_e32 vcc_lo, 0, v2
	s_delay_alu instid0(VALU_DEP_2) | instskip(SKIP_1) | instid1(VALU_DEP_2)
	v_or_b32_e32 v7, v7, v8
	v_mov_b32_e32 v8, 0x7e00
	v_add_nc_u32_e32 v4, v4, v7
	s_delay_alu instid0(VALU_DEP_2) | instskip(SKIP_1) | instid1(VALU_DEP_3)
	v_cndmask_b32_e32 v2, 0x7c00, v8, vcc_lo
	v_cmp_gt_i32_e32 vcc_lo, 31, v5
	v_cndmask_b32_e32 v4, 0x7c00, v4, vcc_lo
	v_cmp_eq_u32_e32 vcc_lo, 0x40f, v5
	s_delay_alu instid0(VALU_DEP_2) | instskip(NEXT) | instid1(VALU_DEP_1)
	v_cndmask_b32_e32 v2, v4, v2, vcc_lo
	v_and_or_b32 v2, 0x8000, v3, v2
	s_branch .LBB55_152
.LBB55_148:
                                        ; implicit-def: $vgpr2
	s_branch .LBB55_170
.LBB55_149:
	s_mov_b32 s15, -1
                                        ; implicit-def: $vgpr2
	s_branch .LBB55_158
.LBB55_150:
	s_mov_b32 s15, -1
                                        ; implicit-def: $vgpr2
	s_branch .LBB55_155
.LBB55_151:
	s_mov_b32 s15, -1
                                        ; implicit-def: $vgpr2
.LBB55_152:
	s_delay_alu instid0(SALU_CYCLE_1)
	s_and_not1_b32 vcc_lo, exec_lo, s15
	s_cbranch_vccnz .LBB55_154
; %bb.153:
	global_load_b32 v2, v[0:1], off
	s_wait_loadcnt 0x0
	v_cvt_f16_f32_e32 v2, v2
.LBB55_154:
	s_mov_b32 s15, 0
.LBB55_155:
	s_delay_alu instid0(SALU_CYCLE_1)
	s_and_not1_b32 vcc_lo, exec_lo, s15
	s_cbranch_vccnz .LBB55_157
; %bb.156:
	global_load_b32 v2, v[0:1], off
.LBB55_157:
	s_mov_b32 s15, 0
.LBB55_158:
	s_delay_alu instid0(SALU_CYCLE_1)
	s_and_not1_b32 vcc_lo, exec_lo, s15
	s_cbranch_vccnz .LBB55_169
; %bb.159:
	s_cmp_lt_i32 s0, 6
	s_cbranch_scc1 .LBB55_162
; %bb.160:
	s_cmp_gt_i32 s0, 6
	s_cbranch_scc0 .LBB55_163
; %bb.161:
	s_wait_loadcnt 0x0
	global_load_b64 v[2:3], v[0:1], off
	s_mov_b32 s15, 0
	s_wait_loadcnt 0x0
	v_and_or_b32 v2, 0x1ff, v3, v2
	v_lshrrev_b32_e32 v4, 8, v3
	v_bfe_u32 v5, v3, 20, 11
	v_lshrrev_b32_e32 v3, 16, v3
	s_delay_alu instid0(VALU_DEP_4) | instskip(NEXT) | instid1(VALU_DEP_3)
	v_cmp_ne_u32_e32 vcc_lo, 0, v2
	v_sub_nc_u32_e32 v7, 0x3f1, v5
	v_add_nc_u32_e32 v5, 0xfffffc10, v5
	v_cndmask_b32_e64 v2, 0, 1, vcc_lo
	s_delay_alu instid0(VALU_DEP_1) | instskip(NEXT) | instid1(VALU_DEP_4)
	v_and_or_b32 v2, 0xffe, v4, v2
	v_med3_i32 v4, v7, 0, 13
	s_delay_alu instid0(VALU_DEP_2) | instskip(NEXT) | instid1(VALU_DEP_1)
	v_or_b32_e32 v7, 0x1000, v2
	v_lshrrev_b32_e32 v8, v4, v7
	s_delay_alu instid0(VALU_DEP_1) | instskip(NEXT) | instid1(VALU_DEP_1)
	v_lshlrev_b32_e32 v4, v4, v8
	v_cmp_ne_u32_e32 vcc_lo, v4, v7
	v_lshl_or_b32 v7, v5, 12, v2
	v_cndmask_b32_e64 v4, 0, 1, vcc_lo
	v_cmp_gt_i32_e32 vcc_lo, 1, v5
	s_delay_alu instid0(VALU_DEP_2) | instskip(NEXT) | instid1(VALU_DEP_1)
	v_or_b32_e32 v4, v8, v4
	v_cndmask_b32_e32 v4, v7, v4, vcc_lo
	s_delay_alu instid0(VALU_DEP_1) | instskip(NEXT) | instid1(VALU_DEP_1)
	v_dual_lshrrev_b32 v4, 2, v4 :: v_dual_bitop2_b32 v7, 7, v4 bitop3:0x40
	v_cmp_lt_i32_e32 vcc_lo, 5, v7
	v_cndmask_b32_e64 v8, 0, 1, vcc_lo
	v_cmp_eq_u32_e32 vcc_lo, 3, v7
	v_cndmask_b32_e64 v7, 0, 1, vcc_lo
	v_cmp_ne_u32_e32 vcc_lo, 0, v2
	s_delay_alu instid0(VALU_DEP_2) | instskip(SKIP_1) | instid1(VALU_DEP_2)
	v_or_b32_e32 v7, v7, v8
	v_mov_b32_e32 v8, 0x7e00
	v_add_nc_u32_e32 v4, v4, v7
	s_delay_alu instid0(VALU_DEP_2) | instskip(SKIP_1) | instid1(VALU_DEP_3)
	v_cndmask_b32_e32 v2, 0x7c00, v8, vcc_lo
	v_cmp_gt_i32_e32 vcc_lo, 31, v5
	v_cndmask_b32_e32 v4, 0x7c00, v4, vcc_lo
	v_cmp_eq_u32_e32 vcc_lo, 0x40f, v5
	s_delay_alu instid0(VALU_DEP_2) | instskip(NEXT) | instid1(VALU_DEP_1)
	v_cndmask_b32_e32 v2, v4, v2, vcc_lo
	v_and_or_b32 v2, 0x8000, v3, v2
	s_branch .LBB55_164
.LBB55_162:
	s_mov_b32 s15, -1
                                        ; implicit-def: $vgpr2
	s_branch .LBB55_167
.LBB55_163:
	s_mov_b32 s15, -1
                                        ; implicit-def: $vgpr2
.LBB55_164:
	s_delay_alu instid0(SALU_CYCLE_1)
	s_and_not1_b32 vcc_lo, exec_lo, s15
	s_cbranch_vccnz .LBB55_166
; %bb.165:
	s_wait_loadcnt 0x0
	global_load_b32 v2, v[0:1], off
	s_wait_loadcnt 0x0
	v_cvt_f16_f32_e32 v2, v2
.LBB55_166:
	s_mov_b32 s15, 0
.LBB55_167:
	s_delay_alu instid0(SALU_CYCLE_1)
	s_and_not1_b32 vcc_lo, exec_lo, s15
	s_cbranch_vccnz .LBB55_169
; %bb.168:
	s_wait_loadcnt 0x0
	global_load_u16 v2, v[0:1], off
.LBB55_169:
	s_cbranch_execnz .LBB55_189
.LBB55_170:
	s_cmp_lt_i32 s0, 2
	s_cbranch_scc1 .LBB55_174
; %bb.171:
	s_cmp_lt_i32 s0, 3
	s_cbranch_scc1 .LBB55_175
; %bb.172:
	s_cmp_gt_i32 s0, 3
	s_cbranch_scc0 .LBB55_176
; %bb.173:
	s_wait_loadcnt 0x0
	global_load_b64 v[2:3], v[0:1], off
	s_mov_b32 s15, 0
	s_wait_loadcnt 0x0
	v_xor_b32_e32 v4, v2, v3
	v_cls_i32_e32 v5, v3
	s_delay_alu instid0(VALU_DEP_2) | instskip(NEXT) | instid1(VALU_DEP_1)
	v_ashrrev_i32_e32 v4, 31, v4
	v_add_nc_u32_e32 v4, 32, v4
	s_delay_alu instid0(VALU_DEP_1) | instskip(NEXT) | instid1(VALU_DEP_1)
	v_add_min_u32_e64 v4, v5, -1, v4
	v_lshlrev_b64_e32 v[2:3], v4, v[2:3]
	s_delay_alu instid0(VALU_DEP_1) | instskip(NEXT) | instid1(VALU_DEP_1)
	v_min_u32_e32 v2, 1, v2
	v_dual_sub_nc_u32 v3, 32, v4 :: v_dual_bitop2_b32 v2, v3, v2 bitop3:0x54
	s_delay_alu instid0(VALU_DEP_1) | instskip(NEXT) | instid1(VALU_DEP_1)
	v_cvt_f32_i32_e32 v2, v2
	v_ldexp_f32 v2, v2, v3
	s_delay_alu instid0(VALU_DEP_1)
	v_cvt_f16_f32_e32 v2, v2
	s_branch .LBB55_177
.LBB55_174:
	s_mov_b32 s15, -1
                                        ; implicit-def: $vgpr2
	s_branch .LBB55_183
.LBB55_175:
	s_mov_b32 s15, -1
                                        ; implicit-def: $vgpr2
	s_branch .LBB55_180
.LBB55_176:
	s_mov_b32 s15, -1
                                        ; implicit-def: $vgpr2
.LBB55_177:
	s_delay_alu instid0(SALU_CYCLE_1)
	s_and_not1_b32 vcc_lo, exec_lo, s15
	s_cbranch_vccnz .LBB55_179
; %bb.178:
	s_wait_loadcnt 0x0
	global_load_b32 v2, v[0:1], off
	s_wait_loadcnt 0x0
	v_cvt_f32_i32_e32 v2, v2
	s_delay_alu instid0(VALU_DEP_1)
	v_cvt_f16_f32_e32 v2, v2
.LBB55_179:
	s_mov_b32 s15, 0
.LBB55_180:
	s_delay_alu instid0(SALU_CYCLE_1)
	s_and_not1_b32 vcc_lo, exec_lo, s15
	s_cbranch_vccnz .LBB55_182
; %bb.181:
	s_wait_loadcnt 0x0
	global_load_u16 v2, v[0:1], off
	s_wait_loadcnt 0x0
	v_cvt_f16_i16_e32 v2, v2
.LBB55_182:
	s_mov_b32 s15, 0
.LBB55_183:
	s_delay_alu instid0(SALU_CYCLE_1)
	s_and_not1_b32 vcc_lo, exec_lo, s15
	s_cbranch_vccnz .LBB55_189
; %bb.184:
	s_cmp_gt_i32 s0, 0
	s_mov_b32 s0, 0
	s_cbranch_scc0 .LBB55_186
; %bb.185:
	s_wait_loadcnt 0x0
	global_load_i8 v2, v[0:1], off
	s_wait_loadcnt 0x0
	v_cvt_f16_i16_e32 v2, v2
	s_branch .LBB55_187
.LBB55_186:
	s_mov_b32 s0, -1
                                        ; implicit-def: $vgpr2
.LBB55_187:
	s_delay_alu instid0(SALU_CYCLE_1)
	s_and_not1_b32 vcc_lo, exec_lo, s0
	s_cbranch_vccnz .LBB55_189
; %bb.188:
	global_load_u8 v0, v[0:1], off
	s_wait_loadcnt 0x0
	v_cvt_f16_u16_e32 v2, v0
.LBB55_189:
	s_branch .LBB55_11
.LBB55_190:
	s_mov_b32 s0, 0
	s_mov_b32 s17, 0
	s_branch .LBB55_379
.LBB55_191:
	s_mov_b32 s17, -1
.LBB55_192:
	s_mov_b32 s21, 0
                                        ; implicit-def: $vgpr3
.LBB55_193:
	s_and_b32 vcc_lo, exec_lo, s22
	s_cbranch_vccz .LBB55_269
; %bb.194:
	s_cmp_eq_u32 s15, 44
	s_cbranch_scc0 .LBB55_268
; %bb.195:
	global_load_u8 v3, v[0:1], off
	s_mov_b32 s17, 0
	s_mov_b32 s21, -1
	s_wait_loadcnt 0x0
	v_lshlrev_b32_e32 v4, 23, v3
	v_cmp_ne_u32_e32 vcc_lo, 0xff, v3
	s_delay_alu instid0(VALU_DEP_2) | instskip(NEXT) | instid1(VALU_DEP_1)
	v_cvt_f16_f32_e32 v4, v4
	v_cndmask_b32_e32 v4, 0x7e00, v4, vcc_lo
	v_cmp_ne_u32_e32 vcc_lo, 0, v3
	s_delay_alu instid0(VALU_DEP_2)
	v_cndmask_b32_e32 v3, 0, v4, vcc_lo
	s_branch .LBB55_269
.LBB55_196:
	s_mov_b32 s23, -1
.LBB55_197:
	s_delay_alu instid0(SALU_CYCLE_1)
	s_and_b32 vcc_lo, exec_lo, s23
	s_cbranch_vccz .LBB55_202
; %bb.198:
	s_cmp_eq_u32 s21, 44
	s_mov_b32 s0, -1
	s_cbranch_scc0 .LBB55_202
; %bb.199:
	s_wait_xcnt 0x0
	v_cvt_f32_f16_e32 v3, v2
	v_mov_b32_e32 v4, 0xff
	s_mov_b32 s22, exec_lo
	s_delay_alu instid0(VALU_DEP_2) | instskip(NEXT) | instid1(VALU_DEP_1)
	v_bfe_u32 v5, v3, 23, 8
	v_cmpx_ne_u32_e32 0xff, v5
	s_cbranch_execz .LBB55_201
; %bb.200:
	v_and_b32_e32 v4, 0x400000, v3
	v_and_or_b32 v5, 0x3fffff, v3, v5
	v_lshrrev_b32_e32 v3, 23, v3
	s_delay_alu instid0(VALU_DEP_3) | instskip(NEXT) | instid1(VALU_DEP_3)
	v_cmp_ne_u32_e32 vcc_lo, 0, v4
	v_cmp_ne_u32_e64 s0, 0, v5
	s_and_b32 s0, vcc_lo, s0
	s_delay_alu instid0(SALU_CYCLE_1) | instskip(NEXT) | instid1(VALU_DEP_1)
	v_cndmask_b32_e64 v4, 0, 1, s0
	v_add_nc_u32_e32 v4, v3, v4
.LBB55_201:
	s_or_b32 exec_lo, exec_lo, s22
	s_mov_b32 s22, -1
	s_mov_b32 s0, 0
	global_store_b8 v[0:1], v4, off
.LBB55_202:
	s_mov_b32 s23, 0
.LBB55_203:
	s_delay_alu instid0(SALU_CYCLE_1)
	s_and_b32 vcc_lo, exec_lo, s23
	s_cbranch_vccz .LBB55_206
; %bb.204:
	s_cmp_eq_u32 s21, 29
	s_mov_b32 s0, -1
	s_cbranch_scc0 .LBB55_206
; %bb.205:
	s_wait_xcnt 0x0
	v_cvt_f32_f16_e32 v3, v2
	v_mov_b32_e32 v5, 0
	s_mov_b32 s22, -1
	s_mov_b32 s0, 0
	s_mov_b32 s23, 0
	v_cvt_u32_f32_e32 v4, v3
	global_store_b64 v[0:1], v[4:5], off
	s_branch .LBB55_207
.LBB55_206:
	s_mov_b32 s23, 0
.LBB55_207:
	s_delay_alu instid0(SALU_CYCLE_1)
	s_and_b32 vcc_lo, exec_lo, s23
	s_cbranch_vccz .LBB55_223
; %bb.208:
	s_cmp_lt_i32 s21, 27
	s_mov_b32 s22, -1
	s_cbranch_scc1 .LBB55_214
; %bb.209:
	s_cmp_gt_i32 s21, 27
	s_cbranch_scc0 .LBB55_211
; %bb.210:
	s_wait_xcnt 0x0
	v_cvt_f32_f16_e32 v3, v2
	s_mov_b32 s22, 0
	s_delay_alu instid0(VALU_DEP_1)
	v_cvt_u32_f32_e32 v3, v3
	global_store_b32 v[0:1], v3, off
.LBB55_211:
	s_and_not1_b32 vcc_lo, exec_lo, s22
	s_cbranch_vccnz .LBB55_213
; %bb.212:
	s_wait_xcnt 0x0
	v_cvt_u16_f16_e32 v3, v2
	global_store_b16 v[0:1], v3, off
.LBB55_213:
	s_mov_b32 s22, 0
.LBB55_214:
	s_delay_alu instid0(SALU_CYCLE_1)
	s_and_not1_b32 vcc_lo, exec_lo, s22
	s_cbranch_vccnz .LBB55_222
; %bb.215:
	s_wait_xcnt 0x0
	v_cvt_f32_f16_e32 v3, v2
	v_mov_b32_e32 v5, 0x80
	s_mov_b32 s22, exec_lo
	s_delay_alu instid0(VALU_DEP_2) | instskip(NEXT) | instid1(VALU_DEP_1)
	v_and_b32_e32 v4, 0x7fffffff, v3
	v_cmpx_gt_u32_e32 0x43800000, v4
	s_cbranch_execz .LBB55_221
; %bb.216:
	v_cmp_lt_u32_e32 vcc_lo, 0x3bffffff, v4
	s_mov_b32 s23, 0
                                        ; implicit-def: $vgpr4
	s_and_saveexec_b32 s24, vcc_lo
	s_delay_alu instid0(SALU_CYCLE_1)
	s_xor_b32 s24, exec_lo, s24
	s_cbranch_execz .LBB55_410
; %bb.217:
	v_bfe_u32 v4, v3, 20, 1
	s_mov_b32 s23, exec_lo
	s_delay_alu instid0(VALU_DEP_1) | instskip(NEXT) | instid1(VALU_DEP_1)
	v_add3_u32 v4, v3, v4, 0x487ffff
	v_lshrrev_b32_e32 v4, 20, v4
	s_and_not1_saveexec_b32 s24, s24
	s_cbranch_execnz .LBB55_411
.LBB55_218:
	s_or_b32 exec_lo, exec_lo, s24
	v_mov_b32_e32 v5, 0
	s_and_saveexec_b32 s24, s23
.LBB55_219:
	v_lshrrev_b32_e32 v3, 24, v3
	s_delay_alu instid0(VALU_DEP_1)
	v_and_or_b32 v5, 0x80, v3, v4
.LBB55_220:
	s_or_b32 exec_lo, exec_lo, s24
.LBB55_221:
	s_delay_alu instid0(SALU_CYCLE_1)
	s_or_b32 exec_lo, exec_lo, s22
	global_store_b8 v[0:1], v5, off
.LBB55_222:
	s_mov_b32 s22, -1
.LBB55_223:
	s_mov_b32 s23, 0
.LBB55_224:
	s_delay_alu instid0(SALU_CYCLE_1)
	s_and_b32 vcc_lo, exec_lo, s23
	s_cbranch_vccz .LBB55_265
; %bb.225:
	s_cmp_gt_i32 s21, 22
	s_mov_b32 s23, -1
	s_cbranch_scc0 .LBB55_257
; %bb.226:
	s_cmp_lt_i32 s21, 24
	s_mov_b32 s22, -1
	s_cbranch_scc1 .LBB55_246
; %bb.227:
	s_cmp_gt_i32 s21, 24
	s_cbranch_scc0 .LBB55_235
; %bb.228:
	s_wait_xcnt 0x0
	v_cvt_f32_f16_e32 v3, v2
	v_mov_b32_e32 v5, 0x80
	s_mov_b32 s22, exec_lo
	s_delay_alu instid0(VALU_DEP_2) | instskip(NEXT) | instid1(VALU_DEP_1)
	v_and_b32_e32 v4, 0x7fffffff, v3
	v_cmpx_gt_u32_e32 0x47800000, v4
	s_cbranch_execz .LBB55_234
; %bb.229:
	v_cmp_lt_u32_e32 vcc_lo, 0x37ffffff, v4
	s_mov_b32 s23, 0
                                        ; implicit-def: $vgpr4
	s_and_saveexec_b32 s24, vcc_lo
	s_delay_alu instid0(SALU_CYCLE_1)
	s_xor_b32 s24, exec_lo, s24
	s_cbranch_execz .LBB55_529
; %bb.230:
	v_bfe_u32 v4, v3, 21, 1
	s_mov_b32 s23, exec_lo
	s_delay_alu instid0(VALU_DEP_1) | instskip(NEXT) | instid1(VALU_DEP_1)
	v_add3_u32 v4, v3, v4, 0x88fffff
	v_lshrrev_b32_e32 v4, 21, v4
	s_and_not1_saveexec_b32 s24, s24
	s_cbranch_execnz .LBB55_530
.LBB55_231:
	s_or_b32 exec_lo, exec_lo, s24
	v_mov_b32_e32 v5, 0
	s_and_saveexec_b32 s24, s23
.LBB55_232:
	v_lshrrev_b32_e32 v3, 24, v3
	s_delay_alu instid0(VALU_DEP_1)
	v_and_or_b32 v5, 0x80, v3, v4
.LBB55_233:
	s_or_b32 exec_lo, exec_lo, s24
.LBB55_234:
	s_delay_alu instid0(SALU_CYCLE_1)
	s_or_b32 exec_lo, exec_lo, s22
	s_mov_b32 s22, 0
	global_store_b8 v[0:1], v5, off
.LBB55_235:
	s_and_b32 vcc_lo, exec_lo, s22
	s_cbranch_vccz .LBB55_245
; %bb.236:
	s_wait_xcnt 0x0
	v_cvt_f32_f16_e32 v3, v2
	s_mov_b32 s22, exec_lo
                                        ; implicit-def: $vgpr4
	s_delay_alu instid0(VALU_DEP_1) | instskip(NEXT) | instid1(VALU_DEP_1)
	v_and_b32_e32 v5, 0x7fffffff, v3
	v_cmpx_gt_u32_e32 0x43f00000, v5
	s_xor_b32 s22, exec_lo, s22
	s_cbranch_execz .LBB55_242
; %bb.237:
	s_mov_b32 s23, exec_lo
                                        ; implicit-def: $vgpr4
	v_cmpx_lt_u32_e32 0x3c7fffff, v5
	s_xor_b32 s23, exec_lo, s23
; %bb.238:
	v_bfe_u32 v4, v3, 20, 1
	s_delay_alu instid0(VALU_DEP_1) | instskip(NEXT) | instid1(VALU_DEP_1)
	v_add3_u32 v4, v3, v4, 0x407ffff
	v_and_b32_e32 v5, 0xff00000, v4
	v_lshrrev_b32_e32 v4, 20, v4
	s_delay_alu instid0(VALU_DEP_2) | instskip(NEXT) | instid1(VALU_DEP_2)
	v_cmp_ne_u32_e32 vcc_lo, 0x7f00000, v5
	v_cndmask_b32_e32 v4, 0x7e, v4, vcc_lo
; %bb.239:
	s_and_not1_saveexec_b32 s23, s23
; %bb.240:
	v_add_f32_e64 v4, 0x46800000, |v3|
; %bb.241:
	s_or_b32 exec_lo, exec_lo, s23
                                        ; implicit-def: $vgpr5
.LBB55_242:
	s_and_not1_saveexec_b32 s22, s22
; %bb.243:
	v_mov_b32_e32 v4, 0x7f
	v_cmp_lt_u32_e32 vcc_lo, 0x7f800000, v5
	s_delay_alu instid0(VALU_DEP_2)
	v_cndmask_b32_e32 v4, 0x7e, v4, vcc_lo
; %bb.244:
	s_or_b32 exec_lo, exec_lo, s22
	v_lshrrev_b32_e32 v3, 24, v3
	s_delay_alu instid0(VALU_DEP_1)
	v_and_or_b32 v3, 0x80, v3, v4
	global_store_b8 v[0:1], v3, off
.LBB55_245:
	s_mov_b32 s22, 0
.LBB55_246:
	s_delay_alu instid0(SALU_CYCLE_1)
	s_and_not1_b32 vcc_lo, exec_lo, s22
	s_cbranch_vccnz .LBB55_256
; %bb.247:
	s_wait_xcnt 0x0
	v_cvt_f32_f16_e32 v3, v2
	s_mov_b32 s22, exec_lo
                                        ; implicit-def: $vgpr4
	s_delay_alu instid0(VALU_DEP_1) | instskip(NEXT) | instid1(VALU_DEP_1)
	v_and_b32_e32 v5, 0x7fffffff, v3
	v_cmpx_gt_u32_e32 0x47800000, v5
	s_xor_b32 s22, exec_lo, s22
	s_cbranch_execz .LBB55_253
; %bb.248:
	s_mov_b32 s23, exec_lo
                                        ; implicit-def: $vgpr4
	v_cmpx_lt_u32_e32 0x387fffff, v5
	s_xor_b32 s23, exec_lo, s23
; %bb.249:
	v_bfe_u32 v4, v3, 21, 1
	s_delay_alu instid0(VALU_DEP_1) | instskip(NEXT) | instid1(VALU_DEP_1)
	v_add3_u32 v4, v3, v4, 0x80fffff
	v_lshrrev_b32_e32 v4, 21, v4
; %bb.250:
	s_and_not1_saveexec_b32 s23, s23
; %bb.251:
	v_add_f32_e64 v4, 0x43000000, |v3|
; %bb.252:
	s_or_b32 exec_lo, exec_lo, s23
                                        ; implicit-def: $vgpr5
.LBB55_253:
	s_and_not1_saveexec_b32 s22, s22
; %bb.254:
	v_mov_b32_e32 v4, 0x7f
	v_cmp_lt_u32_e32 vcc_lo, 0x7f800000, v5
	s_delay_alu instid0(VALU_DEP_2)
	v_cndmask_b32_e32 v4, 0x7c, v4, vcc_lo
; %bb.255:
	s_or_b32 exec_lo, exec_lo, s22
	v_lshrrev_b32_e32 v3, 24, v3
	s_delay_alu instid0(VALU_DEP_1)
	v_and_or_b32 v3, 0x80, v3, v4
	global_store_b8 v[0:1], v3, off
.LBB55_256:
	s_mov_b32 s23, 0
	s_mov_b32 s22, -1
.LBB55_257:
	s_and_not1_b32 vcc_lo, exec_lo, s23
	s_cbranch_vccnz .LBB55_265
; %bb.258:
	s_cmp_gt_i32 s21, 14
	s_mov_b32 s23, -1
	s_cbranch_scc0 .LBB55_262
; %bb.259:
	s_cmp_eq_u32 s21, 15
	s_mov_b32 s0, -1
	s_cbranch_scc0 .LBB55_261
; %bb.260:
	s_wait_xcnt 0x0
	v_cvt_f32_f16_e32 v3, v2
	v_cmp_o_f16_e32 vcc_lo, v2, v2
	s_mov_b32 s22, -1
	s_mov_b32 s0, 0
	s_delay_alu instid0(VALU_DEP_2) | instskip(NEXT) | instid1(VALU_DEP_1)
	v_bfe_u32 v4, v3, 16, 1
	v_add3_u32 v3, v3, v4, 0x7fff
	s_delay_alu instid0(VALU_DEP_1) | instskip(NEXT) | instid1(VALU_DEP_1)
	v_lshrrev_b32_e32 v3, 16, v3
	v_cndmask_b32_e32 v3, 0x7fc0, v3, vcc_lo
	global_store_b16 v[0:1], v3, off
.LBB55_261:
	s_mov_b32 s23, 0
.LBB55_262:
	s_delay_alu instid0(SALU_CYCLE_1)
	s_and_b32 vcc_lo, exec_lo, s23
	s_cbranch_vccz .LBB55_265
; %bb.263:
	s_cmp_eq_u32 s21, 11
	s_mov_b32 s0, -1
	s_cbranch_scc0 .LBB55_265
; %bb.264:
	s_wait_xcnt 0x0
	v_and_b32_e32 v3, 0x7fff, v2
	s_mov_b32 s0, 0
	s_mov_b32 s22, -1
	s_delay_alu instid0(VALU_DEP_1)
	v_cmp_ne_u16_e32 vcc_lo, 0, v3
	v_cndmask_b32_e64 v3, 0, 1, vcc_lo
	global_store_b8 v[0:1], v3, off
.LBB55_265:
.LBB55_266:
	s_and_not1_b32 vcc_lo, exec_lo, s22
	s_cbranch_vccnz .LBB55_379
.LBB55_267:
	v_add_nc_u32_e32 v6, 0x80, v6
	s_mov_b32 s21, -1
	s_branch .LBB55_380
.LBB55_268:
	s_mov_b32 s17, -1
                                        ; implicit-def: $vgpr3
.LBB55_269:
	s_mov_b32 s22, 0
.LBB55_270:
	s_delay_alu instid0(SALU_CYCLE_1)
	s_and_b32 vcc_lo, exec_lo, s22
	s_cbranch_vccz .LBB55_274
; %bb.271:
	s_cmp_eq_u32 s15, 29
	s_cbranch_scc0 .LBB55_273
; %bb.272:
	global_load_b64 v[4:5], v[0:1], off
	s_mov_b32 s21, -1
	s_mov_b32 s17, 0
	s_mov_b32 s22, 0
	s_wait_loadcnt 0x0
	v_clz_i32_u32_e32 v3, v5
	s_delay_alu instid0(VALU_DEP_1) | instskip(NEXT) | instid1(VALU_DEP_1)
	v_min_u32_e32 v3, 32, v3
	v_lshlrev_b64_e32 v[4:5], v3, v[4:5]
	v_sub_nc_u32_e32 v3, 32, v3
	s_delay_alu instid0(VALU_DEP_2) | instskip(NEXT) | instid1(VALU_DEP_1)
	v_min_u32_e32 v4, 1, v4
	v_or_b32_e32 v4, v5, v4
	s_delay_alu instid0(VALU_DEP_1) | instskip(NEXT) | instid1(VALU_DEP_1)
	v_cvt_f32_u32_e32 v4, v4
	v_ldexp_f32 v3, v4, v3
	s_delay_alu instid0(VALU_DEP_1)
	v_cvt_f16_f32_e32 v3, v3
	s_branch .LBB55_275
.LBB55_273:
	s_mov_b32 s17, -1
                                        ; implicit-def: $vgpr3
.LBB55_274:
	s_mov_b32 s22, 0
.LBB55_275:
	s_delay_alu instid0(SALU_CYCLE_1)
	s_and_b32 vcc_lo, exec_lo, s22
	s_cbranch_vccz .LBB55_293
; %bb.276:
	s_cmp_lt_i32 s15, 27
	s_cbranch_scc1 .LBB55_279
; %bb.277:
	s_cmp_gt_i32 s15, 27
	s_cbranch_scc0 .LBB55_280
; %bb.278:
	global_load_b32 v3, v[0:1], off
	s_mov_b32 s21, 0
	s_wait_loadcnt 0x0
	v_cvt_f32_u32_e32 v3, v3
	s_delay_alu instid0(VALU_DEP_1)
	v_cvt_f16_f32_e32 v3, v3
	s_branch .LBB55_281
.LBB55_279:
	s_mov_b32 s21, -1
                                        ; implicit-def: $vgpr3
	s_branch .LBB55_284
.LBB55_280:
	s_mov_b32 s21, -1
                                        ; implicit-def: $vgpr3
.LBB55_281:
	s_delay_alu instid0(SALU_CYCLE_1)
	s_and_not1_b32 vcc_lo, exec_lo, s21
	s_cbranch_vccnz .LBB55_283
; %bb.282:
	global_load_u16 v3, v[0:1], off
	s_wait_loadcnt 0x0
	v_cvt_f16_u16_e32 v3, v3
.LBB55_283:
	s_mov_b32 s21, 0
.LBB55_284:
	s_delay_alu instid0(SALU_CYCLE_1)
	s_and_not1_b32 vcc_lo, exec_lo, s21
	s_cbranch_vccnz .LBB55_292
; %bb.285:
	global_load_u8 v4, v[0:1], off
	s_mov_b32 s21, 0
	s_mov_b32 s22, exec_lo
	s_wait_loadcnt 0x0
	v_cmpx_lt_i16_e32 0x7f, v4
	s_xor_b32 s22, exec_lo, s22
	s_cbranch_execz .LBB55_306
; %bb.286:
	s_mov_b32 s21, -1
	s_mov_b32 s23, exec_lo
	v_cmpx_eq_u16_e32 0x80, v4
; %bb.287:
	s_xor_b32 s21, exec_lo, -1
; %bb.288:
	s_or_b32 exec_lo, exec_lo, s23
	s_delay_alu instid0(SALU_CYCLE_1)
	s_and_b32 s21, s21, exec_lo
	s_or_saveexec_b32 s22, s22
	v_mov_b32_e32 v3, 0x7e00
	s_xor_b32 exec_lo, exec_lo, s22
	s_cbranch_execnz .LBB55_307
.LBB55_289:
	s_or_b32 exec_lo, exec_lo, s22
	s_and_saveexec_b32 s22, s21
	s_cbranch_execz .LBB55_291
.LBB55_290:
	v_and_b32_e32 v3, 0xffff, v4
	s_delay_alu instid0(VALU_DEP_1) | instskip(SKIP_1) | instid1(VALU_DEP_2)
	v_dual_lshlrev_b32 v4, 24, v4 :: v_dual_bitop2_b32 v5, 7, v3 bitop3:0x40
	v_bfe_u32 v9, v3, 3, 4
	v_and_b32_e32 v4, 0x80000000, v4
	s_delay_alu instid0(VALU_DEP_3) | instskip(NEXT) | instid1(VALU_DEP_3)
	v_clz_i32_u32_e32 v7, v5
	v_cmp_eq_u32_e32 vcc_lo, 0, v9
	s_delay_alu instid0(VALU_DEP_2) | instskip(NEXT) | instid1(VALU_DEP_1)
	v_min_u32_e32 v7, 32, v7
	v_subrev_nc_u32_e32 v8, 28, v7
	v_sub_nc_u32_e32 v7, 29, v7
	s_delay_alu instid0(VALU_DEP_2) | instskip(NEXT) | instid1(VALU_DEP_2)
	v_lshlrev_b32_e32 v3, v8, v3
	v_cndmask_b32_e32 v7, v9, v7, vcc_lo
	s_delay_alu instid0(VALU_DEP_2) | instskip(NEXT) | instid1(VALU_DEP_1)
	v_and_b32_e32 v3, 7, v3
	v_cndmask_b32_e32 v3, v5, v3, vcc_lo
	s_delay_alu instid0(VALU_DEP_3) | instskip(NEXT) | instid1(VALU_DEP_2)
	v_lshl_add_u32 v5, v7, 23, 0x3b800000
	v_lshlrev_b32_e32 v3, 20, v3
	s_delay_alu instid0(VALU_DEP_1) | instskip(NEXT) | instid1(VALU_DEP_1)
	v_or3_b32 v3, v4, v5, v3
	v_cvt_f16_f32_e32 v3, v3
.LBB55_291:
	s_or_b32 exec_lo, exec_lo, s22
.LBB55_292:
	s_mov_b32 s21, -1
.LBB55_293:
	s_mov_b32 s22, 0
.LBB55_294:
	s_delay_alu instid0(SALU_CYCLE_1)
	s_and_b32 vcc_lo, exec_lo, s22
	s_cbranch_vccz .LBB55_329
; %bb.295:
	s_cmp_gt_i32 s15, 22
	s_cbranch_scc0 .LBB55_305
; %bb.296:
	s_cmp_lt_i32 s15, 24
	s_cbranch_scc1 .LBB55_308
; %bb.297:
	s_cmp_gt_i32 s15, 24
	s_cbranch_scc0 .LBB55_309
; %bb.298:
	global_load_u8 v4, v[0:1], off
	s_mov_b32 s21, 0
	s_mov_b32 s22, exec_lo
	s_wait_loadcnt 0x0
	v_cmpx_lt_i16_e32 0x7f, v4
	s_xor_b32 s22, exec_lo, s22
	s_cbranch_execz .LBB55_321
; %bb.299:
	s_mov_b32 s21, -1
	s_mov_b32 s23, exec_lo
	v_cmpx_eq_u16_e32 0x80, v4
; %bb.300:
	s_xor_b32 s21, exec_lo, -1
; %bb.301:
	s_or_b32 exec_lo, exec_lo, s23
	s_delay_alu instid0(SALU_CYCLE_1)
	s_and_b32 s21, s21, exec_lo
	s_or_saveexec_b32 s22, s22
	v_mov_b32_e32 v3, 0x7e00
	s_xor_b32 exec_lo, exec_lo, s22
	s_cbranch_execnz .LBB55_322
.LBB55_302:
	s_or_b32 exec_lo, exec_lo, s22
	s_and_saveexec_b32 s22, s21
	s_cbranch_execz .LBB55_304
.LBB55_303:
	v_and_b32_e32 v3, 0xffff, v4
	s_delay_alu instid0(VALU_DEP_1) | instskip(SKIP_1) | instid1(VALU_DEP_2)
	v_dual_lshlrev_b32 v4, 24, v4 :: v_dual_bitop2_b32 v5, 3, v3 bitop3:0x40
	v_bfe_u32 v9, v3, 2, 5
	v_and_b32_e32 v4, 0x80000000, v4
	s_delay_alu instid0(VALU_DEP_3) | instskip(NEXT) | instid1(VALU_DEP_3)
	v_clz_i32_u32_e32 v7, v5
	v_cmp_eq_u32_e32 vcc_lo, 0, v9
	s_delay_alu instid0(VALU_DEP_2) | instskip(NEXT) | instid1(VALU_DEP_1)
	v_min_u32_e32 v7, 32, v7
	v_subrev_nc_u32_e32 v8, 29, v7
	v_sub_nc_u32_e32 v7, 30, v7
	s_delay_alu instid0(VALU_DEP_2) | instskip(NEXT) | instid1(VALU_DEP_2)
	v_lshlrev_b32_e32 v3, v8, v3
	v_cndmask_b32_e32 v7, v9, v7, vcc_lo
	s_delay_alu instid0(VALU_DEP_2) | instskip(NEXT) | instid1(VALU_DEP_1)
	v_and_b32_e32 v3, 3, v3
	v_cndmask_b32_e32 v3, v5, v3, vcc_lo
	s_delay_alu instid0(VALU_DEP_3) | instskip(NEXT) | instid1(VALU_DEP_2)
	v_lshl_add_u32 v5, v7, 23, 0x37800000
	v_lshlrev_b32_e32 v3, 21, v3
	s_delay_alu instid0(VALU_DEP_1) | instskip(NEXT) | instid1(VALU_DEP_1)
	v_or3_b32 v3, v4, v5, v3
	v_cvt_f16_f32_e32 v3, v3
.LBB55_304:
	s_or_b32 exec_lo, exec_lo, s22
	s_mov_b32 s21, 0
	s_branch .LBB55_310
.LBB55_305:
	s_mov_b32 s22, -1
                                        ; implicit-def: $vgpr3
	s_branch .LBB55_316
.LBB55_306:
	s_or_saveexec_b32 s22, s22
	v_mov_b32_e32 v3, 0x7e00
	s_xor_b32 exec_lo, exec_lo, s22
	s_cbranch_execz .LBB55_289
.LBB55_307:
	v_cmp_ne_u16_e32 vcc_lo, 0, v4
	v_mov_b32_e32 v3, v4
	s_and_not1_b32 s21, s21, exec_lo
	s_and_b32 s23, vcc_lo, exec_lo
	s_delay_alu instid0(SALU_CYCLE_1)
	s_or_b32 s21, s21, s23
	s_or_b32 exec_lo, exec_lo, s22
	s_and_saveexec_b32 s22, s21
	s_cbranch_execnz .LBB55_290
	s_branch .LBB55_291
.LBB55_308:
	s_mov_b32 s21, -1
                                        ; implicit-def: $vgpr3
	s_branch .LBB55_313
.LBB55_309:
	s_mov_b32 s21, -1
                                        ; implicit-def: $vgpr3
.LBB55_310:
	s_delay_alu instid0(SALU_CYCLE_1)
	s_and_b32 vcc_lo, exec_lo, s21
	s_cbranch_vccz .LBB55_312
; %bb.311:
	global_load_u8 v3, v[0:1], off
	s_wait_loadcnt 0x0
	v_lshlrev_b32_e32 v3, 24, v3
	s_delay_alu instid0(VALU_DEP_1) | instskip(NEXT) | instid1(VALU_DEP_1)
	v_and_b32_e32 v4, 0x7f000000, v3
	v_clz_i32_u32_e32 v5, v4
	v_add_nc_u32_e32 v8, 0x1000000, v4
	v_cmp_ne_u32_e32 vcc_lo, 0, v4
	s_delay_alu instid0(VALU_DEP_3) | instskip(NEXT) | instid1(VALU_DEP_1)
	v_min_u32_e32 v5, 32, v5
	v_sub_nc_u32_e64 v5, v5, 4 clamp
	s_delay_alu instid0(VALU_DEP_1) | instskip(NEXT) | instid1(VALU_DEP_1)
	v_dual_lshlrev_b32 v7, v5, v4 :: v_dual_lshlrev_b32 v5, 23, v5
	v_lshrrev_b32_e32 v7, 4, v7
	s_delay_alu instid0(VALU_DEP_1) | instskip(NEXT) | instid1(VALU_DEP_1)
	v_dual_sub_nc_u32 v5, v7, v5 :: v_dual_ashrrev_i32 v7, 8, v8
	v_add_nc_u32_e32 v5, 0x3c000000, v5
	s_delay_alu instid0(VALU_DEP_1) | instskip(NEXT) | instid1(VALU_DEP_1)
	v_and_or_b32 v5, 0x7f800000, v7, v5
	v_cndmask_b32_e32 v4, 0, v5, vcc_lo
	s_delay_alu instid0(VALU_DEP_1) | instskip(NEXT) | instid1(VALU_DEP_1)
	v_and_or_b32 v3, 0x80000000, v3, v4
	v_cvt_f16_f32_e32 v3, v3
.LBB55_312:
	s_mov_b32 s21, 0
.LBB55_313:
	s_delay_alu instid0(SALU_CYCLE_1)
	s_and_not1_b32 vcc_lo, exec_lo, s21
	s_cbranch_vccnz .LBB55_315
; %bb.314:
	global_load_u8 v3, v[0:1], off
	s_wait_loadcnt 0x0
	v_lshlrev_b32_e32 v4, 25, v3
	v_lshlrev_b16 v3, 8, v3
	s_delay_alu instid0(VALU_DEP_1) | instskip(NEXT) | instid1(VALU_DEP_3)
	v_and_or_b32 v7, 0x7f00, v3, 0.5
	v_lshrrev_b32_e32 v5, 4, v4
	v_bfe_i32 v3, v3, 0, 16
	s_delay_alu instid0(VALU_DEP_3) | instskip(NEXT) | instid1(VALU_DEP_3)
	v_add_f32_e32 v7, -0.5, v7
	v_or_b32_e32 v5, 0x70000000, v5
	s_delay_alu instid0(VALU_DEP_1) | instskip(SKIP_1) | instid1(VALU_DEP_2)
	v_mul_f32_e32 v5, 0x7800000, v5
	v_cmp_gt_u32_e32 vcc_lo, 0x8000000, v4
	v_cndmask_b32_e32 v4, v5, v7, vcc_lo
	s_delay_alu instid0(VALU_DEP_1) | instskip(NEXT) | instid1(VALU_DEP_1)
	v_and_or_b32 v3, 0x80000000, v3, v4
	v_cvt_f16_f32_e32 v3, v3
.LBB55_315:
	s_mov_b32 s22, 0
	s_mov_b32 s21, -1
.LBB55_316:
	s_and_not1_b32 vcc_lo, exec_lo, s22
	s_cbranch_vccnz .LBB55_329
; %bb.317:
	s_cmp_gt_i32 s15, 14
	s_cbranch_scc0 .LBB55_320
; %bb.318:
	s_cmp_eq_u32 s15, 15
	s_cbranch_scc0 .LBB55_323
; %bb.319:
	global_load_u16 v3, v[0:1], off
	s_mov_b32 s21, -1
	s_mov_b32 s17, 0
	s_wait_loadcnt 0x0
	v_lshlrev_b32_e32 v3, 16, v3
	s_delay_alu instid0(VALU_DEP_1)
	v_cvt_f16_f32_e32 v3, v3
	s_branch .LBB55_324
.LBB55_320:
	s_mov_b32 s22, -1
                                        ; implicit-def: $vgpr3
	s_branch .LBB55_325
.LBB55_321:
	s_or_saveexec_b32 s22, s22
	v_mov_b32_e32 v3, 0x7e00
	s_xor_b32 exec_lo, exec_lo, s22
	s_cbranch_execz .LBB55_302
.LBB55_322:
	v_cmp_ne_u16_e32 vcc_lo, 0, v4
	v_mov_b32_e32 v3, v4
	s_and_not1_b32 s21, s21, exec_lo
	s_and_b32 s23, vcc_lo, exec_lo
	s_delay_alu instid0(SALU_CYCLE_1)
	s_or_b32 s21, s21, s23
	s_or_b32 exec_lo, exec_lo, s22
	s_and_saveexec_b32 s22, s21
	s_cbranch_execnz .LBB55_303
	s_branch .LBB55_304
.LBB55_323:
	s_mov_b32 s17, -1
                                        ; implicit-def: $vgpr3
.LBB55_324:
	s_mov_b32 s22, 0
.LBB55_325:
	s_delay_alu instid0(SALU_CYCLE_1)
	s_and_b32 vcc_lo, exec_lo, s22
	s_cbranch_vccz .LBB55_329
; %bb.326:
	s_cmp_eq_u32 s15, 11
	s_cbranch_scc0 .LBB55_328
; %bb.327:
	global_load_u8 v3, v[0:1], off
	s_mov_b32 s17, 0
	s_mov_b32 s21, -1
	s_wait_loadcnt 0x0
	v_cmp_ne_u16_e32 vcc_lo, 0, v3
	v_cndmask_b32_e64 v3, 0, 0x3c00, vcc_lo
	s_branch .LBB55_329
.LBB55_328:
	s_mov_b32 s17, -1
                                        ; implicit-def: $vgpr3
.LBB55_329:
	s_branch .LBB55_20
.LBB55_330:
	s_and_b32 s0, 0xffff, s0
	s_delay_alu instid0(SALU_CYCLE_1)
	s_cmp_lt_i32 s0, 5
	s_cbranch_scc1 .LBB55_335
; %bb.331:
	s_cmp_lt_i32 s0, 8
	s_cbranch_scc1 .LBB55_336
; %bb.332:
	;; [unrolled: 3-line block ×3, first 2 shown]
	s_cmp_gt_i32 s0, 9
	s_cbranch_scc0 .LBB55_338
; %bb.334:
	global_load_b64 v[4:5], v[0:1], off
	s_mov_b32 s15, 0
	s_wait_loadcnt 0x0
	v_and_or_b32 v3, 0x1ff, v5, v4
	v_lshrrev_b32_e32 v4, 8, v5
	v_bfe_u32 v7, v5, 20, 11
	s_delay_alu instid0(VALU_DEP_3) | instskip(NEXT) | instid1(VALU_DEP_2)
	v_cmp_ne_u32_e32 vcc_lo, 0, v3
	v_sub_nc_u32_e32 v8, 0x3f1, v7
	v_cndmask_b32_e64 v3, 0, 1, vcc_lo
	s_delay_alu instid0(VALU_DEP_1) | instskip(NEXT) | instid1(VALU_DEP_3)
	v_and_or_b32 v3, 0xffe, v4, v3
	v_med3_i32 v4, v8, 0, 13
	s_delay_alu instid0(VALU_DEP_2) | instskip(NEXT) | instid1(VALU_DEP_1)
	v_or_b32_e32 v8, 0x1000, v3
	v_lshrrev_b32_e32 v9, v4, v8
	s_delay_alu instid0(VALU_DEP_1) | instskip(NEXT) | instid1(VALU_DEP_1)
	v_lshlrev_b32_e32 v4, v4, v9
	v_cmp_ne_u32_e32 vcc_lo, v4, v8
	v_cndmask_b32_e64 v4, 0, 1, vcc_lo
	s_delay_alu instid0(VALU_DEP_1) | instskip(SKIP_1) | instid1(VALU_DEP_1)
	v_or_b32_e32 v4, v9, v4
	v_add_nc_u32_e32 v7, 0xfffffc10, v7
	v_lshl_or_b32 v8, v7, 12, v3
	v_cmp_gt_i32_e32 vcc_lo, 1, v7
	s_delay_alu instid0(VALU_DEP_2) | instskip(NEXT) | instid1(VALU_DEP_1)
	v_cndmask_b32_e32 v4, v8, v4, vcc_lo
	v_dual_lshrrev_b32 v4, 2, v4 :: v_dual_bitop2_b32 v8, 7, v4 bitop3:0x40
	s_delay_alu instid0(VALU_DEP_1) | instskip(SKIP_4) | instid1(VALU_DEP_2)
	v_cmp_lt_i32_e32 vcc_lo, 5, v8
	v_cndmask_b32_e64 v9, 0, 1, vcc_lo
	v_cmp_eq_u32_e32 vcc_lo, 3, v8
	v_cndmask_b32_e64 v8, 0, 1, vcc_lo
	v_cmp_ne_u32_e32 vcc_lo, 0, v3
	v_or_b32_e32 v8, v8, v9
	s_delay_alu instid0(VALU_DEP_1) | instskip(NEXT) | instid1(VALU_DEP_1)
	v_dual_mov_b32 v9, 0x7e00 :: v_dual_add_nc_u32 v4, v4, v8
	v_cndmask_b32_e32 v3, 0x7c00, v9, vcc_lo
	v_cmp_gt_i32_e32 vcc_lo, 31, v7
	s_delay_alu instid0(VALU_DEP_3) | instskip(SKIP_1) | instid1(VALU_DEP_2)
	v_cndmask_b32_e32 v4, 0x7c00, v4, vcc_lo
	v_cmp_eq_u32_e32 vcc_lo, 0x40f, v7
	v_dual_cndmask_b32 v3, v4, v3 :: v_dual_lshrrev_b32 v4, 16, v5
	s_delay_alu instid0(VALU_DEP_1)
	v_and_or_b32 v3, 0x8000, v4, v3
	s_branch .LBB55_339
.LBB55_335:
	s_mov_b32 s15, -1
                                        ; implicit-def: $vgpr3
	s_branch .LBB55_357
.LBB55_336:
	s_mov_b32 s15, -1
                                        ; implicit-def: $vgpr3
	s_branch .LBB55_345
.LBB55_337:
	s_mov_b32 s15, -1
                                        ; implicit-def: $vgpr3
	s_branch .LBB55_342
.LBB55_338:
	s_mov_b32 s15, -1
                                        ; implicit-def: $vgpr3
.LBB55_339:
	s_delay_alu instid0(SALU_CYCLE_1)
	s_and_not1_b32 vcc_lo, exec_lo, s15
	s_cbranch_vccnz .LBB55_341
; %bb.340:
	global_load_b32 v3, v[0:1], off
	s_wait_loadcnt 0x0
	v_cvt_f16_f32_e32 v3, v3
.LBB55_341:
	s_mov_b32 s15, 0
.LBB55_342:
	s_delay_alu instid0(SALU_CYCLE_1)
	s_and_not1_b32 vcc_lo, exec_lo, s15
	s_cbranch_vccnz .LBB55_344
; %bb.343:
	global_load_b32 v3, v[0:1], off
.LBB55_344:
	s_mov_b32 s15, 0
.LBB55_345:
	s_delay_alu instid0(SALU_CYCLE_1)
	s_and_not1_b32 vcc_lo, exec_lo, s15
	s_cbranch_vccnz .LBB55_356
; %bb.346:
	s_cmp_lt_i32 s0, 6
	s_cbranch_scc1 .LBB55_349
; %bb.347:
	s_cmp_gt_i32 s0, 6
	s_cbranch_scc0 .LBB55_350
; %bb.348:
	global_load_b64 v[4:5], v[0:1], off
	s_mov_b32 s15, 0
	s_wait_loadcnt 0x0
	v_and_or_b32 v3, 0x1ff, v5, v4
	v_lshrrev_b32_e32 v4, 8, v5
	v_bfe_u32 v7, v5, 20, 11
	s_delay_alu instid0(VALU_DEP_3) | instskip(NEXT) | instid1(VALU_DEP_2)
	v_cmp_ne_u32_e32 vcc_lo, 0, v3
	v_sub_nc_u32_e32 v8, 0x3f1, v7
	v_cndmask_b32_e64 v3, 0, 1, vcc_lo
	s_delay_alu instid0(VALU_DEP_1) | instskip(NEXT) | instid1(VALU_DEP_3)
	v_and_or_b32 v3, 0xffe, v4, v3
	v_med3_i32 v4, v8, 0, 13
	s_delay_alu instid0(VALU_DEP_2) | instskip(NEXT) | instid1(VALU_DEP_1)
	v_or_b32_e32 v8, 0x1000, v3
	v_lshrrev_b32_e32 v9, v4, v8
	s_delay_alu instid0(VALU_DEP_1) | instskip(NEXT) | instid1(VALU_DEP_1)
	v_lshlrev_b32_e32 v4, v4, v9
	v_cmp_ne_u32_e32 vcc_lo, v4, v8
	v_cndmask_b32_e64 v4, 0, 1, vcc_lo
	s_delay_alu instid0(VALU_DEP_1) | instskip(SKIP_1) | instid1(VALU_DEP_1)
	v_or_b32_e32 v4, v9, v4
	v_add_nc_u32_e32 v7, 0xfffffc10, v7
	v_lshl_or_b32 v8, v7, 12, v3
	v_cmp_gt_i32_e32 vcc_lo, 1, v7
	s_delay_alu instid0(VALU_DEP_2) | instskip(NEXT) | instid1(VALU_DEP_1)
	v_cndmask_b32_e32 v4, v8, v4, vcc_lo
	v_dual_lshrrev_b32 v4, 2, v4 :: v_dual_bitop2_b32 v8, 7, v4 bitop3:0x40
	s_delay_alu instid0(VALU_DEP_1) | instskip(SKIP_4) | instid1(VALU_DEP_2)
	v_cmp_lt_i32_e32 vcc_lo, 5, v8
	v_cndmask_b32_e64 v9, 0, 1, vcc_lo
	v_cmp_eq_u32_e32 vcc_lo, 3, v8
	v_cndmask_b32_e64 v8, 0, 1, vcc_lo
	v_cmp_ne_u32_e32 vcc_lo, 0, v3
	v_or_b32_e32 v8, v8, v9
	s_delay_alu instid0(VALU_DEP_1) | instskip(NEXT) | instid1(VALU_DEP_1)
	v_dual_mov_b32 v9, 0x7e00 :: v_dual_add_nc_u32 v4, v4, v8
	v_cndmask_b32_e32 v3, 0x7c00, v9, vcc_lo
	v_cmp_gt_i32_e32 vcc_lo, 31, v7
	s_delay_alu instid0(VALU_DEP_3) | instskip(SKIP_1) | instid1(VALU_DEP_2)
	v_cndmask_b32_e32 v4, 0x7c00, v4, vcc_lo
	v_cmp_eq_u32_e32 vcc_lo, 0x40f, v7
	v_dual_cndmask_b32 v3, v4, v3 :: v_dual_lshrrev_b32 v4, 16, v5
	s_delay_alu instid0(VALU_DEP_1)
	v_and_or_b32 v3, 0x8000, v4, v3
	s_branch .LBB55_351
.LBB55_349:
	s_mov_b32 s15, -1
                                        ; implicit-def: $vgpr3
	s_branch .LBB55_354
.LBB55_350:
	s_mov_b32 s15, -1
                                        ; implicit-def: $vgpr3
.LBB55_351:
	s_delay_alu instid0(SALU_CYCLE_1)
	s_and_not1_b32 vcc_lo, exec_lo, s15
	s_cbranch_vccnz .LBB55_353
; %bb.352:
	s_wait_loadcnt 0x0
	global_load_b32 v3, v[0:1], off
	s_wait_loadcnt 0x0
	v_cvt_f16_f32_e32 v3, v3
.LBB55_353:
	s_mov_b32 s15, 0
.LBB55_354:
	s_delay_alu instid0(SALU_CYCLE_1)
	s_and_not1_b32 vcc_lo, exec_lo, s15
	s_cbranch_vccnz .LBB55_356
; %bb.355:
	s_wait_loadcnt 0x0
	global_load_u16 v3, v[0:1], off
.LBB55_356:
	s_mov_b32 s15, 0
.LBB55_357:
	s_delay_alu instid0(SALU_CYCLE_1)
	s_and_not1_b32 vcc_lo, exec_lo, s15
	s_cbranch_vccnz .LBB55_377
; %bb.358:
	s_cmp_lt_i32 s0, 2
	s_cbranch_scc1 .LBB55_362
; %bb.359:
	s_cmp_lt_i32 s0, 3
	s_cbranch_scc1 .LBB55_363
; %bb.360:
	s_cmp_gt_i32 s0, 3
	s_cbranch_scc0 .LBB55_364
; %bb.361:
	global_load_b64 v[4:5], v[0:1], off
	s_mov_b32 s15, 0
	s_wait_loadcnt 0x0
	v_xor_b32_e32 v3, v4, v5
	v_cls_i32_e32 v7, v5
	s_delay_alu instid0(VALU_DEP_2) | instskip(NEXT) | instid1(VALU_DEP_1)
	v_ashrrev_i32_e32 v3, 31, v3
	v_add_nc_u32_e32 v3, 32, v3
	s_delay_alu instid0(VALU_DEP_1) | instskip(NEXT) | instid1(VALU_DEP_1)
	v_add_min_u32_e64 v3, v7, -1, v3
	v_lshlrev_b64_e32 v[4:5], v3, v[4:5]
	v_sub_nc_u32_e32 v3, 32, v3
	s_delay_alu instid0(VALU_DEP_2) | instskip(NEXT) | instid1(VALU_DEP_1)
	v_min_u32_e32 v4, 1, v4
	v_or_b32_e32 v4, v5, v4
	s_delay_alu instid0(VALU_DEP_1) | instskip(NEXT) | instid1(VALU_DEP_1)
	v_cvt_f32_i32_e32 v4, v4
	v_ldexp_f32 v3, v4, v3
	s_delay_alu instid0(VALU_DEP_1)
	v_cvt_f16_f32_e32 v3, v3
	s_branch .LBB55_365
.LBB55_362:
	s_mov_b32 s15, -1
                                        ; implicit-def: $vgpr3
	s_branch .LBB55_371
.LBB55_363:
	s_mov_b32 s15, -1
                                        ; implicit-def: $vgpr3
	s_branch .LBB55_368
.LBB55_364:
	s_mov_b32 s15, -1
                                        ; implicit-def: $vgpr3
.LBB55_365:
	s_delay_alu instid0(SALU_CYCLE_1)
	s_and_not1_b32 vcc_lo, exec_lo, s15
	s_cbranch_vccnz .LBB55_367
; %bb.366:
	s_wait_loadcnt 0x0
	global_load_b32 v3, v[0:1], off
	s_wait_loadcnt 0x0
	v_cvt_f32_i32_e32 v3, v3
	s_delay_alu instid0(VALU_DEP_1)
	v_cvt_f16_f32_e32 v3, v3
.LBB55_367:
	s_mov_b32 s15, 0
.LBB55_368:
	s_delay_alu instid0(SALU_CYCLE_1)
	s_and_not1_b32 vcc_lo, exec_lo, s15
	s_cbranch_vccnz .LBB55_370
; %bb.369:
	s_wait_loadcnt 0x0
	global_load_u16 v3, v[0:1], off
	s_wait_loadcnt 0x0
	v_cvt_f16_i16_e32 v3, v3
.LBB55_370:
	s_mov_b32 s15, 0
.LBB55_371:
	s_delay_alu instid0(SALU_CYCLE_1)
	s_and_not1_b32 vcc_lo, exec_lo, s15
	s_cbranch_vccnz .LBB55_377
; %bb.372:
	s_cmp_gt_i32 s0, 0
	s_mov_b32 s0, 0
	s_cbranch_scc0 .LBB55_374
; %bb.373:
	s_wait_loadcnt 0x0
	global_load_i8 v3, v[0:1], off
	s_wait_loadcnt 0x0
	v_cvt_f16_i16_e32 v3, v3
	s_branch .LBB55_375
.LBB55_374:
	s_mov_b32 s0, -1
                                        ; implicit-def: $vgpr3
.LBB55_375:
	s_delay_alu instid0(SALU_CYCLE_1)
	s_and_not1_b32 vcc_lo, exec_lo, s0
	s_cbranch_vccnz .LBB55_377
; %bb.376:
	global_load_u8 v0, v[0:1], off
	s_wait_loadcnt 0x0
	v_cvt_f16_u16_e32 v3, v0
.LBB55_377:
	s_branch .LBB55_21
.LBB55_378:
	s_mov_b32 s0, 0
.LBB55_379:
	s_mov_b32 s21, 0
                                        ; implicit-def: $vgpr6
.LBB55_380:
	s_and_b32 s15, s0, exec_lo
	s_and_b32 s17, s17, exec_lo
	;; [unrolled: 1-line block ×3, first 2 shown]
	s_or_not1_b32 s23, s21, exec_lo
.LBB55_381:
	s_wait_xcnt 0x0
	s_or_b32 exec_lo, exec_lo, s19
	s_mov_b32 s22, 0
	s_mov_b32 s21, 0
                                        ; implicit-def: $sgpr0
                                        ; implicit-def: $vgpr0_vgpr1
                                        ; implicit-def: $vgpr2
	s_and_saveexec_b32 s19, s23
	s_cbranch_execz .LBB55_390
; %bb.382:
	s_mov_b32 s25, -1
	s_mov_b32 s20, s18
	s_mov_b32 s22, s17
	;; [unrolled: 1-line block ×3, first 2 shown]
	s_mov_b32 s23, exec_lo
	v_cmpx_gt_i32_e64 s16, v6
	s_cbranch_execz .LBB55_698
; %bb.383:
	v_mul_lo_u32 v0, v6, s9
	s_and_b32 s0, s13, 0xff
	s_delay_alu instid0(SALU_CYCLE_1) | instskip(NEXT) | instid1(VALU_DEP_1)
	s_cmp_lt_i32 s0, 11
	v_ashrrev_i32_e32 v1, 31, v0
	s_delay_alu instid0(VALU_DEP_1)
	v_add_nc_u64_e32 v[0:1], s[6:7], v[0:1]
	s_cbranch_scc1 .LBB55_393
; %bb.384:
	s_and_b32 s21, 0xffff, s0
	s_delay_alu instid0(SALU_CYCLE_1)
	s_cmp_gt_i32 s21, 25
	s_cbranch_scc0 .LBB55_402
; %bb.385:
	s_cmp_gt_i32 s21, 28
	s_cbranch_scc0 .LBB55_404
; %bb.386:
	;; [unrolled: 3-line block ×4, first 2 shown]
	s_cmp_eq_u32 s21, 46
	s_mov_b32 s24, 0
	s_cbranch_scc0 .LBB55_412
; %bb.389:
	s_wait_loadcnt 0x0
	global_load_b32 v2, v[0:1], off
	s_mov_b32 s22, -1
	s_mov_b32 s20, 0
	s_wait_loadcnt 0x0
	v_lshlrev_b32_e32 v2, 16, v2
	s_delay_alu instid0(VALU_DEP_1)
	v_cvt_f16_f32_e32 v2, v2
	s_branch .LBB55_414
.LBB55_390:
	s_or_b32 exec_lo, exec_lo, s19
	s_mov_b32 s16, 0
	s_and_saveexec_b32 s19, s18
	s_cbranch_execnz .LBB55_1248
.LBB55_391:
	s_or_b32 exec_lo, exec_lo, s19
	s_and_saveexec_b32 s18, s20
	s_delay_alu instid0(SALU_CYCLE_1)
	s_xor_b32 s18, exec_lo, s18
	s_cbranch_execz .LBB55_1249
.LBB55_392:
	s_wait_loadcnt 0x0
	global_load_u8 v2, v[0:1], off
	s_or_b32 s21, s21, exec_lo
	s_wait_loadcnt 0x0
	v_cmp_ne_u16_e32 vcc_lo, 0, v2
	v_cndmask_b32_e64 v2, 0, 0x3c00, vcc_lo
	s_wait_xcnt 0x0
	s_or_b32 exec_lo, exec_lo, s18
	s_and_saveexec_b32 s18, s22
	s_cbranch_execz .LBB55_1295
	s_branch .LBB55_1250
.LBB55_393:
	s_mov_b32 s22, 0
	s_mov_b32 s20, s18
                                        ; implicit-def: $vgpr2
	s_cbranch_execnz .LBB55_480
.LBB55_394:
	s_and_not1_b32 vcc_lo, exec_lo, s22
	s_cbranch_vccnz .LBB55_528
.LBB55_395:
	s_wait_xcnt 0x0
	v_mul_lo_u32 v0, v6, s10
	s_and_b32 s0, s1, 0xff
	s_delay_alu instid0(SALU_CYCLE_1) | instskip(NEXT) | instid1(VALU_DEP_1)
	s_cmp_lt_i32 s0, 11
	v_ashrrev_i32_e32 v1, 31, v0
	s_delay_alu instid0(VALU_DEP_1)
	v_add_nc_u64_e32 v[0:1], s[2:3], v[0:1]
	s_cbranch_scc1 .LBB55_403
; %bb.396:
	s_and_b32 s21, 0xffff, s0
	s_delay_alu instid0(SALU_CYCLE_1)
	s_cmp_gt_i32 s21, 25
	s_cbranch_scc0 .LBB55_405
; %bb.397:
	s_cmp_gt_i32 s21, 28
	s_cbranch_scc0 .LBB55_407
; %bb.398:
	;; [unrolled: 3-line block ×4, first 2 shown]
	s_cmp_eq_u32 s21, 46
	s_mov_b32 s25, 0
	s_cbranch_scc0 .LBB55_531
; %bb.401:
	s_wait_loadcnt 0x0
	global_load_b32 v3, v[0:1], off
	s_mov_b32 s24, -1
	s_mov_b32 s22, 0
	s_wait_loadcnt 0x0
	v_lshlrev_b32_e32 v3, 16, v3
	s_delay_alu instid0(VALU_DEP_1)
	v_cvt_f16_f32_e32 v3, v3
	s_branch .LBB55_533
.LBB55_402:
	s_mov_b32 s24, -1
	s_mov_b32 s22, 0
	s_mov_b32 s20, s18
                                        ; implicit-def: $vgpr2
	s_branch .LBB55_444
.LBB55_403:
	s_mov_b32 s21, -1
	s_mov_b32 s24, 0
	s_mov_b32 s22, s17
                                        ; implicit-def: $vgpr3
	s_branch .LBB55_598
.LBB55_404:
	s_mov_b32 s24, -1
	s_mov_b32 s22, 0
	s_mov_b32 s20, s18
                                        ; implicit-def: $vgpr2
	s_branch .LBB55_425
.LBB55_405:
	s_mov_b32 s25, -1
	s_mov_b32 s24, 0
	s_mov_b32 s22, s17
                                        ; implicit-def: $vgpr3
	s_branch .LBB55_562
.LBB55_406:
	s_mov_b32 s24, -1
	s_mov_b32 s22, 0
	s_mov_b32 s20, s18
                                        ; implicit-def: $vgpr2
	s_branch .LBB55_420
.LBB55_407:
	s_mov_b32 s25, -1
	s_mov_b32 s24, 0
	s_mov_b32 s22, s17
                                        ; implicit-def: $vgpr3
	s_branch .LBB55_543
.LBB55_408:
	s_mov_b32 s24, -1
	s_mov_b32 s22, 0
	s_mov_b32 s20, s18
	s_branch .LBB55_413
.LBB55_409:
	s_mov_b32 s25, -1
	s_mov_b32 s24, 0
	s_mov_b32 s22, s17
                                        ; implicit-def: $vgpr3
	s_branch .LBB55_538
.LBB55_410:
	s_and_not1_saveexec_b32 s24, s24
	s_cbranch_execz .LBB55_218
.LBB55_411:
	v_add_f32_e64 v4, 0x46000000, |v3|
	s_and_not1_b32 s23, s23, exec_lo
	s_delay_alu instid0(VALU_DEP_1) | instskip(NEXT) | instid1(VALU_DEP_1)
	v_and_b32_e32 v4, 0xff, v4
	v_cmp_ne_u32_e32 vcc_lo, 0, v4
	s_and_b32 s25, vcc_lo, exec_lo
	s_delay_alu instid0(SALU_CYCLE_1)
	s_or_b32 s23, s23, s25
	s_or_b32 exec_lo, exec_lo, s24
	v_mov_b32_e32 v5, 0
	s_and_saveexec_b32 s24, s23
	s_cbranch_execnz .LBB55_219
	s_branch .LBB55_220
.LBB55_412:
	s_mov_b32 s20, -1
	s_mov_b32 s22, 0
.LBB55_413:
                                        ; implicit-def: $vgpr2
.LBB55_414:
	s_and_b32 vcc_lo, exec_lo, s24
	s_cbranch_vccz .LBB55_419
; %bb.415:
	s_cmp_eq_u32 s21, 44
	s_cbranch_scc0 .LBB55_418
; %bb.416:
	s_wait_loadcnt 0x0
	global_load_u8 v2, v[0:1], off
	s_mov_b32 s20, 0
	s_mov_b32 s22, -1
	s_wait_loadcnt 0x0
	v_lshlrev_b32_e32 v3, 23, v2
	v_cmp_ne_u32_e32 vcc_lo, 0xff, v2
	s_delay_alu instid0(VALU_DEP_2) | instskip(NEXT) | instid1(VALU_DEP_1)
	v_cvt_f16_f32_e32 v3, v3
	v_cndmask_b32_e32 v3, 0x7e00, v3, vcc_lo
	v_cmp_ne_u32_e32 vcc_lo, 0, v2
	s_delay_alu instid0(VALU_DEP_2)
	v_cndmask_b32_e32 v2, 0, v3, vcc_lo
	s_branch .LBB55_419
.LBB55_417:
	s_mov_b32 s25, -1
	s_mov_b32 s24, 0
	s_mov_b32 s22, s17
	s_branch .LBB55_532
.LBB55_418:
	s_mov_b32 s20, -1
                                        ; implicit-def: $vgpr2
.LBB55_419:
	s_mov_b32 s24, 0
.LBB55_420:
	s_delay_alu instid0(SALU_CYCLE_1)
	s_and_b32 vcc_lo, exec_lo, s24
	s_cbranch_vccz .LBB55_424
; %bb.421:
	s_cmp_eq_u32 s21, 29
	s_cbranch_scc0 .LBB55_423
; %bb.422:
	s_wait_loadcnt 0x0
	global_load_b64 v[2:3], v[0:1], off
	s_mov_b32 s22, -1
	s_mov_b32 s20, 0
	s_mov_b32 s24, 0
	s_wait_loadcnt 0x0
	v_clz_i32_u32_e32 v4, v3
	s_delay_alu instid0(VALU_DEP_1) | instskip(NEXT) | instid1(VALU_DEP_1)
	v_min_u32_e32 v4, 32, v4
	v_lshlrev_b64_e32 v[2:3], v4, v[2:3]
	s_delay_alu instid0(VALU_DEP_1) | instskip(NEXT) | instid1(VALU_DEP_1)
	v_min_u32_e32 v2, 1, v2
	v_dual_sub_nc_u32 v3, 32, v4 :: v_dual_bitop2_b32 v2, v3, v2 bitop3:0x54
	s_delay_alu instid0(VALU_DEP_1) | instskip(NEXT) | instid1(VALU_DEP_1)
	v_cvt_f32_u32_e32 v2, v2
	v_ldexp_f32 v2, v2, v3
	s_delay_alu instid0(VALU_DEP_1)
	v_cvt_f16_f32_e32 v2, v2
	s_branch .LBB55_425
.LBB55_423:
	s_mov_b32 s20, -1
                                        ; implicit-def: $vgpr2
.LBB55_424:
	s_mov_b32 s24, 0
.LBB55_425:
	s_delay_alu instid0(SALU_CYCLE_1)
	s_and_b32 vcc_lo, exec_lo, s24
	s_cbranch_vccz .LBB55_443
; %bb.426:
	s_cmp_lt_i32 s21, 27
	s_cbranch_scc1 .LBB55_429
; %bb.427:
	s_cmp_gt_i32 s21, 27
	s_cbranch_scc0 .LBB55_430
; %bb.428:
	s_wait_loadcnt 0x0
	global_load_b32 v2, v[0:1], off
	s_mov_b32 s22, 0
	s_wait_loadcnt 0x0
	v_cvt_f32_u32_e32 v2, v2
	s_delay_alu instid0(VALU_DEP_1)
	v_cvt_f16_f32_e32 v2, v2
	s_branch .LBB55_431
.LBB55_429:
	s_mov_b32 s22, -1
                                        ; implicit-def: $vgpr2
	s_branch .LBB55_434
.LBB55_430:
	s_mov_b32 s22, -1
                                        ; implicit-def: $vgpr2
.LBB55_431:
	s_delay_alu instid0(SALU_CYCLE_1)
	s_and_not1_b32 vcc_lo, exec_lo, s22
	s_cbranch_vccnz .LBB55_433
; %bb.432:
	s_wait_loadcnt 0x0
	global_load_u16 v2, v[0:1], off
	s_wait_loadcnt 0x0
	v_cvt_f16_u16_e32 v2, v2
.LBB55_433:
	s_mov_b32 s22, 0
.LBB55_434:
	s_delay_alu instid0(SALU_CYCLE_1)
	s_and_not1_b32 vcc_lo, exec_lo, s22
	s_cbranch_vccnz .LBB55_442
; %bb.435:
	s_wait_loadcnt 0x0
	global_load_u8 v3, v[0:1], off
	s_mov_b32 s22, 0
	s_mov_b32 s24, exec_lo
	s_wait_loadcnt 0x0
	v_cmpx_lt_i16_e32 0x7f, v3
	s_xor_b32 s24, exec_lo, s24
	s_cbranch_execz .LBB55_456
; %bb.436:
	s_mov_b32 s22, -1
	s_mov_b32 s25, exec_lo
	v_cmpx_eq_u16_e32 0x80, v3
; %bb.437:
	s_xor_b32 s22, exec_lo, -1
; %bb.438:
	s_or_b32 exec_lo, exec_lo, s25
	s_delay_alu instid0(SALU_CYCLE_1)
	s_and_b32 s22, s22, exec_lo
	s_or_saveexec_b32 s24, s24
	v_mov_b32_e32 v2, 0x7e00
	s_xor_b32 exec_lo, exec_lo, s24
	s_cbranch_execnz .LBB55_457
.LBB55_439:
	s_or_b32 exec_lo, exec_lo, s24
	s_and_saveexec_b32 s24, s22
	s_cbranch_execz .LBB55_441
.LBB55_440:
	v_and_b32_e32 v2, 0xffff, v3
	s_delay_alu instid0(VALU_DEP_1) | instskip(SKIP_1) | instid1(VALU_DEP_2)
	v_and_b32_e32 v4, 7, v2
	v_bfe_u32 v8, v2, 3, 4
	v_clz_i32_u32_e32 v5, v4
	s_delay_alu instid0(VALU_DEP_2) | instskip(NEXT) | instid1(VALU_DEP_2)
	v_cmp_eq_u32_e32 vcc_lo, 0, v8
	v_min_u32_e32 v5, 32, v5
	s_delay_alu instid0(VALU_DEP_1) | instskip(NEXT) | instid1(VALU_DEP_1)
	v_subrev_nc_u32_e32 v7, 28, v5
	v_dual_lshlrev_b32 v2, v7, v2 :: v_dual_sub_nc_u32 v5, 29, v5
	s_delay_alu instid0(VALU_DEP_1) | instskip(NEXT) | instid1(VALU_DEP_2)
	v_dual_lshlrev_b32 v3, 24, v3 :: v_dual_bitop2_b32 v2, 7, v2 bitop3:0x40
	v_cndmask_b32_e32 v5, v8, v5, vcc_lo
	s_delay_alu instid0(VALU_DEP_2) | instskip(NEXT) | instid1(VALU_DEP_3)
	v_cndmask_b32_e32 v2, v4, v2, vcc_lo
	v_and_b32_e32 v3, 0x80000000, v3
	s_delay_alu instid0(VALU_DEP_3) | instskip(NEXT) | instid1(VALU_DEP_3)
	v_lshl_add_u32 v4, v5, 23, 0x3b800000
	v_lshlrev_b32_e32 v2, 20, v2
	s_delay_alu instid0(VALU_DEP_1) | instskip(NEXT) | instid1(VALU_DEP_1)
	v_or3_b32 v2, v3, v4, v2
	v_cvt_f16_f32_e32 v2, v2
.LBB55_441:
	s_or_b32 exec_lo, exec_lo, s24
.LBB55_442:
	s_mov_b32 s22, -1
.LBB55_443:
	s_mov_b32 s24, 0
.LBB55_444:
	s_delay_alu instid0(SALU_CYCLE_1)
	s_and_b32 vcc_lo, exec_lo, s24
	s_cbranch_vccz .LBB55_479
; %bb.445:
	s_cmp_gt_i32 s21, 22
	s_cbranch_scc0 .LBB55_455
; %bb.446:
	s_cmp_lt_i32 s21, 24
	s_cbranch_scc1 .LBB55_458
; %bb.447:
	s_cmp_gt_i32 s21, 24
	s_cbranch_scc0 .LBB55_459
; %bb.448:
	s_wait_loadcnt 0x0
	global_load_u8 v3, v[0:1], off
	s_mov_b32 s22, 0
	s_mov_b32 s24, exec_lo
	s_wait_loadcnt 0x0
	v_cmpx_lt_i16_e32 0x7f, v3
	s_xor_b32 s24, exec_lo, s24
	s_cbranch_execz .LBB55_471
; %bb.449:
	s_mov_b32 s22, -1
	s_mov_b32 s25, exec_lo
	v_cmpx_eq_u16_e32 0x80, v3
; %bb.450:
	s_xor_b32 s22, exec_lo, -1
; %bb.451:
	s_or_b32 exec_lo, exec_lo, s25
	s_delay_alu instid0(SALU_CYCLE_1)
	s_and_b32 s22, s22, exec_lo
	s_or_saveexec_b32 s24, s24
	v_mov_b32_e32 v2, 0x7e00
	s_xor_b32 exec_lo, exec_lo, s24
	s_cbranch_execnz .LBB55_472
.LBB55_452:
	s_or_b32 exec_lo, exec_lo, s24
	s_and_saveexec_b32 s24, s22
	s_cbranch_execz .LBB55_454
.LBB55_453:
	v_and_b32_e32 v2, 0xffff, v3
	s_delay_alu instid0(VALU_DEP_1) | instskip(SKIP_1) | instid1(VALU_DEP_2)
	v_and_b32_e32 v4, 3, v2
	v_bfe_u32 v8, v2, 2, 5
	v_clz_i32_u32_e32 v5, v4
	s_delay_alu instid0(VALU_DEP_2) | instskip(NEXT) | instid1(VALU_DEP_2)
	v_cmp_eq_u32_e32 vcc_lo, 0, v8
	v_min_u32_e32 v5, 32, v5
	s_delay_alu instid0(VALU_DEP_1) | instskip(NEXT) | instid1(VALU_DEP_1)
	v_subrev_nc_u32_e32 v7, 29, v5
	v_dual_lshlrev_b32 v2, v7, v2 :: v_dual_sub_nc_u32 v5, 30, v5
	s_delay_alu instid0(VALU_DEP_1) | instskip(NEXT) | instid1(VALU_DEP_2)
	v_dual_lshlrev_b32 v3, 24, v3 :: v_dual_bitop2_b32 v2, 3, v2 bitop3:0x40
	v_cndmask_b32_e32 v5, v8, v5, vcc_lo
	s_delay_alu instid0(VALU_DEP_2) | instskip(NEXT) | instid1(VALU_DEP_3)
	v_cndmask_b32_e32 v2, v4, v2, vcc_lo
	v_and_b32_e32 v3, 0x80000000, v3
	s_delay_alu instid0(VALU_DEP_3) | instskip(NEXT) | instid1(VALU_DEP_3)
	v_lshl_add_u32 v4, v5, 23, 0x37800000
	v_lshlrev_b32_e32 v2, 21, v2
	s_delay_alu instid0(VALU_DEP_1) | instskip(NEXT) | instid1(VALU_DEP_1)
	v_or3_b32 v2, v3, v4, v2
	v_cvt_f16_f32_e32 v2, v2
.LBB55_454:
	s_or_b32 exec_lo, exec_lo, s24
	s_mov_b32 s22, 0
	s_branch .LBB55_460
.LBB55_455:
	s_mov_b32 s24, -1
                                        ; implicit-def: $vgpr2
	s_branch .LBB55_466
.LBB55_456:
	s_or_saveexec_b32 s24, s24
	v_mov_b32_e32 v2, 0x7e00
	s_xor_b32 exec_lo, exec_lo, s24
	s_cbranch_execz .LBB55_439
.LBB55_457:
	v_cmp_ne_u16_e32 vcc_lo, 0, v3
	v_mov_b32_e32 v2, v3
	s_and_not1_b32 s22, s22, exec_lo
	s_and_b32 s25, vcc_lo, exec_lo
	s_delay_alu instid0(SALU_CYCLE_1)
	s_or_b32 s22, s22, s25
	s_or_b32 exec_lo, exec_lo, s24
	s_and_saveexec_b32 s24, s22
	s_cbranch_execnz .LBB55_440
	s_branch .LBB55_441
.LBB55_458:
	s_mov_b32 s22, -1
                                        ; implicit-def: $vgpr2
	s_branch .LBB55_463
.LBB55_459:
	s_mov_b32 s22, -1
                                        ; implicit-def: $vgpr2
.LBB55_460:
	s_delay_alu instid0(SALU_CYCLE_1)
	s_and_b32 vcc_lo, exec_lo, s22
	s_cbranch_vccz .LBB55_462
; %bb.461:
	s_wait_loadcnt 0x0
	global_load_u8 v2, v[0:1], off
	s_wait_loadcnt 0x0
	v_lshlrev_b32_e32 v2, 24, v2
	s_delay_alu instid0(VALU_DEP_1) | instskip(NEXT) | instid1(VALU_DEP_1)
	v_and_b32_e32 v3, 0x7f000000, v2
	v_clz_i32_u32_e32 v4, v3
	v_add_nc_u32_e32 v7, 0x1000000, v3
	v_cmp_ne_u32_e32 vcc_lo, 0, v3
	s_delay_alu instid0(VALU_DEP_3) | instskip(NEXT) | instid1(VALU_DEP_1)
	v_min_u32_e32 v4, 32, v4
	v_sub_nc_u32_e64 v4, v4, 4 clamp
	s_delay_alu instid0(VALU_DEP_1) | instskip(NEXT) | instid1(VALU_DEP_1)
	v_dual_lshlrev_b32 v5, v4, v3 :: v_dual_lshlrev_b32 v4, 23, v4
	v_lshrrev_b32_e32 v5, 4, v5
	s_delay_alu instid0(VALU_DEP_1) | instskip(NEXT) | instid1(VALU_DEP_1)
	v_dual_sub_nc_u32 v4, v5, v4 :: v_dual_ashrrev_i32 v5, 8, v7
	v_add_nc_u32_e32 v4, 0x3c000000, v4
	s_delay_alu instid0(VALU_DEP_1) | instskip(NEXT) | instid1(VALU_DEP_1)
	v_and_or_b32 v4, 0x7f800000, v5, v4
	v_cndmask_b32_e32 v3, 0, v4, vcc_lo
	s_delay_alu instid0(VALU_DEP_1) | instskip(NEXT) | instid1(VALU_DEP_1)
	v_and_or_b32 v2, 0x80000000, v2, v3
	v_cvt_f16_f32_e32 v2, v2
.LBB55_462:
	s_mov_b32 s22, 0
.LBB55_463:
	s_delay_alu instid0(SALU_CYCLE_1)
	s_and_not1_b32 vcc_lo, exec_lo, s22
	s_cbranch_vccnz .LBB55_465
; %bb.464:
	s_wait_loadcnt 0x0
	global_load_u8 v2, v[0:1], off
	s_wait_loadcnt 0x0
	v_lshlrev_b32_e32 v3, 25, v2
	v_lshlrev_b16 v2, 8, v2
	s_delay_alu instid0(VALU_DEP_1) | instskip(SKIP_1) | instid1(VALU_DEP_2)
	v_and_or_b32 v5, 0x7f00, v2, 0.5
	v_bfe_i32 v2, v2, 0, 16
	v_dual_add_f32 v5, -0.5, v5 :: v_dual_lshrrev_b32 v4, 4, v3
	v_cmp_gt_u32_e32 vcc_lo, 0x8000000, v3
	s_delay_alu instid0(VALU_DEP_2) | instskip(NEXT) | instid1(VALU_DEP_1)
	v_or_b32_e32 v4, 0x70000000, v4
	v_mul_f32_e32 v4, 0x7800000, v4
	s_delay_alu instid0(VALU_DEP_1) | instskip(NEXT) | instid1(VALU_DEP_1)
	v_cndmask_b32_e32 v3, v4, v5, vcc_lo
	v_and_or_b32 v2, 0x80000000, v2, v3
	s_delay_alu instid0(VALU_DEP_1)
	v_cvt_f16_f32_e32 v2, v2
.LBB55_465:
	s_mov_b32 s24, 0
	s_mov_b32 s22, -1
.LBB55_466:
	s_and_not1_b32 vcc_lo, exec_lo, s24
	s_cbranch_vccnz .LBB55_479
; %bb.467:
	s_cmp_gt_i32 s21, 14
	s_cbranch_scc0 .LBB55_470
; %bb.468:
	s_cmp_eq_u32 s21, 15
	s_cbranch_scc0 .LBB55_473
; %bb.469:
	s_wait_loadcnt 0x0
	global_load_u16 v2, v[0:1], off
	s_mov_b32 s22, -1
	s_mov_b32 s20, 0
	s_wait_loadcnt 0x0
	v_lshlrev_b32_e32 v2, 16, v2
	s_delay_alu instid0(VALU_DEP_1)
	v_cvt_f16_f32_e32 v2, v2
	s_branch .LBB55_474
.LBB55_470:
	s_mov_b32 s24, -1
                                        ; implicit-def: $vgpr2
	s_branch .LBB55_475
.LBB55_471:
	s_or_saveexec_b32 s24, s24
	v_mov_b32_e32 v2, 0x7e00
	s_xor_b32 exec_lo, exec_lo, s24
	s_cbranch_execz .LBB55_452
.LBB55_472:
	v_cmp_ne_u16_e32 vcc_lo, 0, v3
	v_mov_b32_e32 v2, v3
	s_and_not1_b32 s22, s22, exec_lo
	s_and_b32 s25, vcc_lo, exec_lo
	s_delay_alu instid0(SALU_CYCLE_1)
	s_or_b32 s22, s22, s25
	s_or_b32 exec_lo, exec_lo, s24
	s_and_saveexec_b32 s24, s22
	s_cbranch_execnz .LBB55_453
	s_branch .LBB55_454
.LBB55_473:
	s_mov_b32 s20, -1
                                        ; implicit-def: $vgpr2
.LBB55_474:
	s_mov_b32 s24, 0
.LBB55_475:
	s_delay_alu instid0(SALU_CYCLE_1)
	s_and_b32 vcc_lo, exec_lo, s24
	s_cbranch_vccz .LBB55_479
; %bb.476:
	s_cmp_eq_u32 s21, 11
	s_cbranch_scc0 .LBB55_478
; %bb.477:
	s_wait_loadcnt 0x0
	global_load_u8 v2, v[0:1], off
	s_mov_b32 s20, 0
	s_mov_b32 s22, -1
	s_wait_loadcnt 0x0
	v_cmp_ne_u16_e32 vcc_lo, 0, v2
	v_cndmask_b32_e64 v2, 0, 0x3c00, vcc_lo
	s_branch .LBB55_479
.LBB55_478:
	s_mov_b32 s20, -1
                                        ; implicit-def: $vgpr2
.LBB55_479:
	s_branch .LBB55_394
.LBB55_480:
	s_and_b32 s0, 0xffff, s0
	s_delay_alu instid0(SALU_CYCLE_1)
	s_cmp_lt_i32 s0, 5
	s_cbranch_scc1 .LBB55_485
; %bb.481:
	s_cmp_lt_i32 s0, 8
	s_cbranch_scc1 .LBB55_486
; %bb.482:
	;; [unrolled: 3-line block ×3, first 2 shown]
	s_cmp_gt_i32 s0, 9
	s_cbranch_scc0 .LBB55_488
; %bb.484:
	s_wait_loadcnt 0x0
	global_load_b64 v[2:3], v[0:1], off
	s_mov_b32 s21, 0
	s_wait_loadcnt 0x0
	v_and_or_b32 v2, 0x1ff, v3, v2
	v_lshrrev_b32_e32 v4, 8, v3
	v_bfe_u32 v5, v3, 20, 11
	v_lshrrev_b32_e32 v3, 16, v3
	s_delay_alu instid0(VALU_DEP_4) | instskip(NEXT) | instid1(VALU_DEP_3)
	v_cmp_ne_u32_e32 vcc_lo, 0, v2
	v_sub_nc_u32_e32 v7, 0x3f1, v5
	v_add_nc_u32_e32 v5, 0xfffffc10, v5
	v_cndmask_b32_e64 v2, 0, 1, vcc_lo
	s_delay_alu instid0(VALU_DEP_1) | instskip(NEXT) | instid1(VALU_DEP_4)
	v_and_or_b32 v2, 0xffe, v4, v2
	v_med3_i32 v4, v7, 0, 13
	s_delay_alu instid0(VALU_DEP_2) | instskip(NEXT) | instid1(VALU_DEP_1)
	v_or_b32_e32 v7, 0x1000, v2
	v_lshrrev_b32_e32 v8, v4, v7
	s_delay_alu instid0(VALU_DEP_1) | instskip(NEXT) | instid1(VALU_DEP_1)
	v_lshlrev_b32_e32 v4, v4, v8
	v_cmp_ne_u32_e32 vcc_lo, v4, v7
	v_lshl_or_b32 v7, v5, 12, v2
	v_cndmask_b32_e64 v4, 0, 1, vcc_lo
	v_cmp_gt_i32_e32 vcc_lo, 1, v5
	s_delay_alu instid0(VALU_DEP_2) | instskip(NEXT) | instid1(VALU_DEP_1)
	v_or_b32_e32 v4, v8, v4
	v_cndmask_b32_e32 v4, v7, v4, vcc_lo
	s_delay_alu instid0(VALU_DEP_1) | instskip(NEXT) | instid1(VALU_DEP_1)
	v_dual_lshrrev_b32 v4, 2, v4 :: v_dual_bitop2_b32 v7, 7, v4 bitop3:0x40
	v_cmp_lt_i32_e32 vcc_lo, 5, v7
	v_cndmask_b32_e64 v8, 0, 1, vcc_lo
	v_cmp_eq_u32_e32 vcc_lo, 3, v7
	v_cndmask_b32_e64 v7, 0, 1, vcc_lo
	v_cmp_ne_u32_e32 vcc_lo, 0, v2
	s_delay_alu instid0(VALU_DEP_2) | instskip(SKIP_1) | instid1(VALU_DEP_2)
	v_or_b32_e32 v7, v7, v8
	v_mov_b32_e32 v8, 0x7e00
	v_add_nc_u32_e32 v4, v4, v7
	s_delay_alu instid0(VALU_DEP_2) | instskip(SKIP_1) | instid1(VALU_DEP_3)
	v_cndmask_b32_e32 v2, 0x7c00, v8, vcc_lo
	v_cmp_gt_i32_e32 vcc_lo, 31, v5
	v_cndmask_b32_e32 v4, 0x7c00, v4, vcc_lo
	v_cmp_eq_u32_e32 vcc_lo, 0x40f, v5
	s_delay_alu instid0(VALU_DEP_2) | instskip(NEXT) | instid1(VALU_DEP_1)
	v_cndmask_b32_e32 v2, v4, v2, vcc_lo
	v_and_or_b32 v2, 0x8000, v3, v2
	s_branch .LBB55_489
.LBB55_485:
	s_mov_b32 s21, -1
                                        ; implicit-def: $vgpr2
	s_branch .LBB55_507
.LBB55_486:
	s_mov_b32 s21, -1
                                        ; implicit-def: $vgpr2
	s_branch .LBB55_495
.LBB55_487:
	s_mov_b32 s21, -1
                                        ; implicit-def: $vgpr2
	s_branch .LBB55_492
.LBB55_488:
	s_mov_b32 s21, -1
                                        ; implicit-def: $vgpr2
.LBB55_489:
	s_delay_alu instid0(SALU_CYCLE_1)
	s_and_not1_b32 vcc_lo, exec_lo, s21
	s_cbranch_vccnz .LBB55_491
; %bb.490:
	s_wait_loadcnt 0x0
	global_load_b32 v2, v[0:1], off
	s_wait_loadcnt 0x0
	v_cvt_f16_f32_e32 v2, v2
.LBB55_491:
	s_mov_b32 s21, 0
.LBB55_492:
	s_delay_alu instid0(SALU_CYCLE_1)
	s_and_not1_b32 vcc_lo, exec_lo, s21
	s_cbranch_vccnz .LBB55_494
; %bb.493:
	s_wait_loadcnt 0x0
	global_load_b32 v2, v[0:1], off
.LBB55_494:
	s_mov_b32 s21, 0
.LBB55_495:
	s_delay_alu instid0(SALU_CYCLE_1)
	s_and_not1_b32 vcc_lo, exec_lo, s21
	s_cbranch_vccnz .LBB55_506
; %bb.496:
	s_cmp_lt_i32 s0, 6
	s_cbranch_scc1 .LBB55_499
; %bb.497:
	s_cmp_gt_i32 s0, 6
	s_cbranch_scc0 .LBB55_500
; %bb.498:
	s_wait_loadcnt 0x0
	global_load_b64 v[2:3], v[0:1], off
	s_mov_b32 s21, 0
	s_wait_loadcnt 0x0
	v_and_or_b32 v2, 0x1ff, v3, v2
	v_lshrrev_b32_e32 v4, 8, v3
	v_bfe_u32 v5, v3, 20, 11
	v_lshrrev_b32_e32 v3, 16, v3
	s_delay_alu instid0(VALU_DEP_4) | instskip(NEXT) | instid1(VALU_DEP_3)
	v_cmp_ne_u32_e32 vcc_lo, 0, v2
	v_sub_nc_u32_e32 v7, 0x3f1, v5
	v_add_nc_u32_e32 v5, 0xfffffc10, v5
	v_cndmask_b32_e64 v2, 0, 1, vcc_lo
	s_delay_alu instid0(VALU_DEP_1) | instskip(NEXT) | instid1(VALU_DEP_4)
	v_and_or_b32 v2, 0xffe, v4, v2
	v_med3_i32 v4, v7, 0, 13
	s_delay_alu instid0(VALU_DEP_2) | instskip(NEXT) | instid1(VALU_DEP_1)
	v_or_b32_e32 v7, 0x1000, v2
	v_lshrrev_b32_e32 v8, v4, v7
	s_delay_alu instid0(VALU_DEP_1) | instskip(NEXT) | instid1(VALU_DEP_1)
	v_lshlrev_b32_e32 v4, v4, v8
	v_cmp_ne_u32_e32 vcc_lo, v4, v7
	v_lshl_or_b32 v7, v5, 12, v2
	v_cndmask_b32_e64 v4, 0, 1, vcc_lo
	v_cmp_gt_i32_e32 vcc_lo, 1, v5
	s_delay_alu instid0(VALU_DEP_2) | instskip(NEXT) | instid1(VALU_DEP_1)
	v_or_b32_e32 v4, v8, v4
	v_cndmask_b32_e32 v4, v7, v4, vcc_lo
	s_delay_alu instid0(VALU_DEP_1) | instskip(NEXT) | instid1(VALU_DEP_1)
	v_dual_lshrrev_b32 v4, 2, v4 :: v_dual_bitop2_b32 v7, 7, v4 bitop3:0x40
	v_cmp_lt_i32_e32 vcc_lo, 5, v7
	v_cndmask_b32_e64 v8, 0, 1, vcc_lo
	v_cmp_eq_u32_e32 vcc_lo, 3, v7
	v_cndmask_b32_e64 v7, 0, 1, vcc_lo
	v_cmp_ne_u32_e32 vcc_lo, 0, v2
	s_delay_alu instid0(VALU_DEP_2) | instskip(SKIP_1) | instid1(VALU_DEP_2)
	v_or_b32_e32 v7, v7, v8
	v_mov_b32_e32 v8, 0x7e00
	v_add_nc_u32_e32 v4, v4, v7
	s_delay_alu instid0(VALU_DEP_2) | instskip(SKIP_1) | instid1(VALU_DEP_3)
	v_cndmask_b32_e32 v2, 0x7c00, v8, vcc_lo
	v_cmp_gt_i32_e32 vcc_lo, 31, v5
	v_cndmask_b32_e32 v4, 0x7c00, v4, vcc_lo
	v_cmp_eq_u32_e32 vcc_lo, 0x40f, v5
	s_delay_alu instid0(VALU_DEP_2) | instskip(NEXT) | instid1(VALU_DEP_1)
	v_cndmask_b32_e32 v2, v4, v2, vcc_lo
	v_and_or_b32 v2, 0x8000, v3, v2
	s_branch .LBB55_501
.LBB55_499:
	s_mov_b32 s21, -1
                                        ; implicit-def: $vgpr2
	s_branch .LBB55_504
.LBB55_500:
	s_mov_b32 s21, -1
                                        ; implicit-def: $vgpr2
.LBB55_501:
	s_delay_alu instid0(SALU_CYCLE_1)
	s_and_not1_b32 vcc_lo, exec_lo, s21
	s_cbranch_vccnz .LBB55_503
; %bb.502:
	s_wait_loadcnt 0x0
	global_load_b32 v2, v[0:1], off
	s_wait_loadcnt 0x0
	v_cvt_f16_f32_e32 v2, v2
.LBB55_503:
	s_mov_b32 s21, 0
.LBB55_504:
	s_delay_alu instid0(SALU_CYCLE_1)
	s_and_not1_b32 vcc_lo, exec_lo, s21
	s_cbranch_vccnz .LBB55_506
; %bb.505:
	s_wait_loadcnt 0x0
	global_load_u16 v2, v[0:1], off
.LBB55_506:
	s_mov_b32 s21, 0
.LBB55_507:
	s_delay_alu instid0(SALU_CYCLE_1)
	s_and_not1_b32 vcc_lo, exec_lo, s21
	s_cbranch_vccnz .LBB55_527
; %bb.508:
	s_cmp_lt_i32 s0, 2
	s_cbranch_scc1 .LBB55_512
; %bb.509:
	s_cmp_lt_i32 s0, 3
	s_cbranch_scc1 .LBB55_513
; %bb.510:
	s_cmp_gt_i32 s0, 3
	s_cbranch_scc0 .LBB55_514
; %bb.511:
	s_wait_loadcnt 0x0
	global_load_b64 v[2:3], v[0:1], off
	s_mov_b32 s21, 0
	s_wait_loadcnt 0x0
	v_xor_b32_e32 v4, v2, v3
	v_cls_i32_e32 v5, v3
	s_delay_alu instid0(VALU_DEP_2) | instskip(NEXT) | instid1(VALU_DEP_1)
	v_ashrrev_i32_e32 v4, 31, v4
	v_add_nc_u32_e32 v4, 32, v4
	s_delay_alu instid0(VALU_DEP_1) | instskip(NEXT) | instid1(VALU_DEP_1)
	v_add_min_u32_e64 v4, v5, -1, v4
	v_lshlrev_b64_e32 v[2:3], v4, v[2:3]
	s_delay_alu instid0(VALU_DEP_1) | instskip(NEXT) | instid1(VALU_DEP_1)
	v_min_u32_e32 v2, 1, v2
	v_dual_sub_nc_u32 v3, 32, v4 :: v_dual_bitop2_b32 v2, v3, v2 bitop3:0x54
	s_delay_alu instid0(VALU_DEP_1) | instskip(NEXT) | instid1(VALU_DEP_1)
	v_cvt_f32_i32_e32 v2, v2
	v_ldexp_f32 v2, v2, v3
	s_delay_alu instid0(VALU_DEP_1)
	v_cvt_f16_f32_e32 v2, v2
	s_branch .LBB55_515
.LBB55_512:
	s_mov_b32 s21, -1
                                        ; implicit-def: $vgpr2
	s_branch .LBB55_521
.LBB55_513:
	s_mov_b32 s21, -1
                                        ; implicit-def: $vgpr2
	s_branch .LBB55_518
.LBB55_514:
	s_mov_b32 s21, -1
                                        ; implicit-def: $vgpr2
.LBB55_515:
	s_delay_alu instid0(SALU_CYCLE_1)
	s_and_not1_b32 vcc_lo, exec_lo, s21
	s_cbranch_vccnz .LBB55_517
; %bb.516:
	s_wait_loadcnt 0x0
	global_load_b32 v2, v[0:1], off
	s_wait_loadcnt 0x0
	v_cvt_f32_i32_e32 v2, v2
	s_delay_alu instid0(VALU_DEP_1)
	v_cvt_f16_f32_e32 v2, v2
.LBB55_517:
	s_mov_b32 s21, 0
.LBB55_518:
	s_delay_alu instid0(SALU_CYCLE_1)
	s_and_not1_b32 vcc_lo, exec_lo, s21
	s_cbranch_vccnz .LBB55_520
; %bb.519:
	s_wait_loadcnt 0x0
	global_load_u16 v2, v[0:1], off
	s_wait_loadcnt 0x0
	v_cvt_f16_i16_e32 v2, v2
.LBB55_520:
	s_mov_b32 s21, 0
.LBB55_521:
	s_delay_alu instid0(SALU_CYCLE_1)
	s_and_not1_b32 vcc_lo, exec_lo, s21
	s_cbranch_vccnz .LBB55_527
; %bb.522:
	s_cmp_gt_i32 s0, 0
	s_mov_b32 s0, 0
	s_cbranch_scc0 .LBB55_524
; %bb.523:
	s_wait_loadcnt 0x0
	global_load_i8 v2, v[0:1], off
	s_wait_loadcnt 0x0
	v_cvt_f16_i16_e32 v2, v2
	s_branch .LBB55_525
.LBB55_524:
	s_mov_b32 s0, -1
                                        ; implicit-def: $vgpr2
.LBB55_525:
	s_delay_alu instid0(SALU_CYCLE_1)
	s_and_not1_b32 vcc_lo, exec_lo, s0
	s_cbranch_vccnz .LBB55_527
; %bb.526:
	global_load_u8 v0, v[0:1], off
	s_wait_loadcnt 0x0
	v_cvt_f16_u16_e32 v2, v0
.LBB55_527:
	s_branch .LBB55_395
.LBB55_528:
	s_mov_b32 s24, 0
	s_mov_b32 s0, s15
	;; [unrolled: 1-line block ×3, first 2 shown]
	s_branch .LBB55_696
.LBB55_529:
	s_and_not1_saveexec_b32 s24, s24
	s_cbranch_execz .LBB55_231
.LBB55_530:
	v_add_f32_e64 v4, 0x42800000, |v3|
	s_and_not1_b32 s23, s23, exec_lo
	s_delay_alu instid0(VALU_DEP_1) | instskip(NEXT) | instid1(VALU_DEP_1)
	v_and_b32_e32 v4, 0xff, v4
	v_cmp_ne_u32_e32 vcc_lo, 0, v4
	s_and_b32 s25, vcc_lo, exec_lo
	s_delay_alu instid0(SALU_CYCLE_1)
	s_or_b32 s23, s23, s25
	s_or_b32 exec_lo, exec_lo, s24
	v_mov_b32_e32 v5, 0
	s_and_saveexec_b32 s24, s23
	s_cbranch_execnz .LBB55_232
	s_branch .LBB55_233
.LBB55_531:
	s_mov_b32 s22, -1
	s_mov_b32 s24, 0
.LBB55_532:
                                        ; implicit-def: $vgpr3
.LBB55_533:
	s_and_b32 vcc_lo, exec_lo, s25
	s_cbranch_vccz .LBB55_537
; %bb.534:
	s_cmp_eq_u32 s21, 44
	s_cbranch_scc0 .LBB55_536
; %bb.535:
	s_wait_loadcnt 0x0
	global_load_u8 v3, v[0:1], off
	s_mov_b32 s22, 0
	s_mov_b32 s24, -1
	s_wait_loadcnt 0x0
	v_lshlrev_b32_e32 v4, 23, v3
	v_cmp_ne_u32_e32 vcc_lo, 0xff, v3
	s_delay_alu instid0(VALU_DEP_2) | instskip(NEXT) | instid1(VALU_DEP_1)
	v_cvt_f16_f32_e32 v4, v4
	v_cndmask_b32_e32 v4, 0x7e00, v4, vcc_lo
	v_cmp_ne_u32_e32 vcc_lo, 0, v3
	s_delay_alu instid0(VALU_DEP_2)
	v_cndmask_b32_e32 v3, 0, v4, vcc_lo
	s_branch .LBB55_537
.LBB55_536:
	s_mov_b32 s22, -1
                                        ; implicit-def: $vgpr3
.LBB55_537:
	s_mov_b32 s25, 0
.LBB55_538:
	s_delay_alu instid0(SALU_CYCLE_1)
	s_and_b32 vcc_lo, exec_lo, s25
	s_cbranch_vccz .LBB55_542
; %bb.539:
	s_cmp_eq_u32 s21, 29
	s_cbranch_scc0 .LBB55_541
; %bb.540:
	global_load_b64 v[4:5], v[0:1], off
	s_mov_b32 s24, -1
	s_mov_b32 s22, 0
	s_mov_b32 s25, 0
	s_wait_loadcnt 0x0
	v_clz_i32_u32_e32 v3, v5
	s_delay_alu instid0(VALU_DEP_1) | instskip(NEXT) | instid1(VALU_DEP_1)
	v_min_u32_e32 v3, 32, v3
	v_lshlrev_b64_e32 v[4:5], v3, v[4:5]
	v_sub_nc_u32_e32 v3, 32, v3
	s_delay_alu instid0(VALU_DEP_2) | instskip(NEXT) | instid1(VALU_DEP_1)
	v_min_u32_e32 v4, 1, v4
	v_or_b32_e32 v4, v5, v4
	s_delay_alu instid0(VALU_DEP_1) | instskip(NEXT) | instid1(VALU_DEP_1)
	v_cvt_f32_u32_e32 v4, v4
	v_ldexp_f32 v3, v4, v3
	s_delay_alu instid0(VALU_DEP_1)
	v_cvt_f16_f32_e32 v3, v3
	s_branch .LBB55_543
.LBB55_541:
	s_mov_b32 s22, -1
                                        ; implicit-def: $vgpr3
.LBB55_542:
	s_mov_b32 s25, 0
.LBB55_543:
	s_delay_alu instid0(SALU_CYCLE_1)
	s_and_b32 vcc_lo, exec_lo, s25
	s_cbranch_vccz .LBB55_561
; %bb.544:
	s_cmp_lt_i32 s21, 27
	s_cbranch_scc1 .LBB55_547
; %bb.545:
	s_cmp_gt_i32 s21, 27
	s_cbranch_scc0 .LBB55_548
; %bb.546:
	s_wait_loadcnt 0x0
	global_load_b32 v3, v[0:1], off
	s_mov_b32 s24, 0
	s_wait_loadcnt 0x0
	v_cvt_f32_u32_e32 v3, v3
	s_delay_alu instid0(VALU_DEP_1)
	v_cvt_f16_f32_e32 v3, v3
	s_branch .LBB55_549
.LBB55_547:
	s_mov_b32 s24, -1
                                        ; implicit-def: $vgpr3
	s_branch .LBB55_552
.LBB55_548:
	s_mov_b32 s24, -1
                                        ; implicit-def: $vgpr3
.LBB55_549:
	s_delay_alu instid0(SALU_CYCLE_1)
	s_and_not1_b32 vcc_lo, exec_lo, s24
	s_cbranch_vccnz .LBB55_551
; %bb.550:
	s_wait_loadcnt 0x0
	global_load_u16 v3, v[0:1], off
	s_wait_loadcnt 0x0
	v_cvt_f16_u16_e32 v3, v3
.LBB55_551:
	s_mov_b32 s24, 0
.LBB55_552:
	s_delay_alu instid0(SALU_CYCLE_1)
	s_and_not1_b32 vcc_lo, exec_lo, s24
	s_cbranch_vccnz .LBB55_560
; %bb.553:
	global_load_u8 v4, v[0:1], off
	s_mov_b32 s24, 0
	s_mov_b32 s25, exec_lo
	s_wait_loadcnt 0x0
	v_cmpx_lt_i16_e32 0x7f, v4
	s_xor_b32 s25, exec_lo, s25
	s_cbranch_execz .LBB55_574
; %bb.554:
	s_mov_b32 s24, -1
	s_mov_b32 s26, exec_lo
	v_cmpx_eq_u16_e32 0x80, v4
; %bb.555:
	s_xor_b32 s24, exec_lo, -1
; %bb.556:
	s_or_b32 exec_lo, exec_lo, s26
	s_delay_alu instid0(SALU_CYCLE_1)
	s_and_b32 s24, s24, exec_lo
	s_or_saveexec_b32 s25, s25
	v_mov_b32_e32 v3, 0x7e00
	s_xor_b32 exec_lo, exec_lo, s25
	s_cbranch_execnz .LBB55_575
.LBB55_557:
	s_or_b32 exec_lo, exec_lo, s25
	s_and_saveexec_b32 s25, s24
	s_cbranch_execz .LBB55_559
.LBB55_558:
	v_and_b32_e32 v3, 0xffff, v4
	s_delay_alu instid0(VALU_DEP_1) | instskip(SKIP_1) | instid1(VALU_DEP_2)
	v_dual_lshlrev_b32 v4, 24, v4 :: v_dual_bitop2_b32 v5, 7, v3 bitop3:0x40
	v_bfe_u32 v9, v3, 3, 4
	v_and_b32_e32 v4, 0x80000000, v4
	s_delay_alu instid0(VALU_DEP_3) | instskip(NEXT) | instid1(VALU_DEP_3)
	v_clz_i32_u32_e32 v7, v5
	v_cmp_eq_u32_e32 vcc_lo, 0, v9
	s_delay_alu instid0(VALU_DEP_2) | instskip(NEXT) | instid1(VALU_DEP_1)
	v_min_u32_e32 v7, 32, v7
	v_subrev_nc_u32_e32 v8, 28, v7
	v_sub_nc_u32_e32 v7, 29, v7
	s_delay_alu instid0(VALU_DEP_2) | instskip(NEXT) | instid1(VALU_DEP_2)
	v_lshlrev_b32_e32 v3, v8, v3
	v_cndmask_b32_e32 v7, v9, v7, vcc_lo
	s_delay_alu instid0(VALU_DEP_2) | instskip(NEXT) | instid1(VALU_DEP_1)
	v_and_b32_e32 v3, 7, v3
	v_cndmask_b32_e32 v3, v5, v3, vcc_lo
	s_delay_alu instid0(VALU_DEP_3) | instskip(NEXT) | instid1(VALU_DEP_2)
	v_lshl_add_u32 v5, v7, 23, 0x3b800000
	v_lshlrev_b32_e32 v3, 20, v3
	s_delay_alu instid0(VALU_DEP_1) | instskip(NEXT) | instid1(VALU_DEP_1)
	v_or3_b32 v3, v4, v5, v3
	v_cvt_f16_f32_e32 v3, v3
.LBB55_559:
	s_or_b32 exec_lo, exec_lo, s25
.LBB55_560:
	s_mov_b32 s24, -1
.LBB55_561:
	s_mov_b32 s25, 0
.LBB55_562:
	s_delay_alu instid0(SALU_CYCLE_1)
	s_and_b32 vcc_lo, exec_lo, s25
	s_cbranch_vccz .LBB55_597
; %bb.563:
	s_cmp_gt_i32 s21, 22
	s_cbranch_scc0 .LBB55_573
; %bb.564:
	s_cmp_lt_i32 s21, 24
	s_cbranch_scc1 .LBB55_576
; %bb.565:
	s_cmp_gt_i32 s21, 24
	s_cbranch_scc0 .LBB55_577
; %bb.566:
	global_load_u8 v4, v[0:1], off
	s_mov_b32 s24, 0
	s_mov_b32 s25, exec_lo
	s_wait_loadcnt 0x0
	v_cmpx_lt_i16_e32 0x7f, v4
	s_xor_b32 s25, exec_lo, s25
	s_cbranch_execz .LBB55_589
; %bb.567:
	s_mov_b32 s24, -1
	s_mov_b32 s26, exec_lo
	v_cmpx_eq_u16_e32 0x80, v4
; %bb.568:
	s_xor_b32 s24, exec_lo, -1
; %bb.569:
	s_or_b32 exec_lo, exec_lo, s26
	s_delay_alu instid0(SALU_CYCLE_1)
	s_and_b32 s24, s24, exec_lo
	s_or_saveexec_b32 s25, s25
	v_mov_b32_e32 v3, 0x7e00
	s_xor_b32 exec_lo, exec_lo, s25
	s_cbranch_execnz .LBB55_590
.LBB55_570:
	s_or_b32 exec_lo, exec_lo, s25
	s_and_saveexec_b32 s25, s24
	s_cbranch_execz .LBB55_572
.LBB55_571:
	v_and_b32_e32 v3, 0xffff, v4
	s_delay_alu instid0(VALU_DEP_1) | instskip(SKIP_1) | instid1(VALU_DEP_2)
	v_dual_lshlrev_b32 v4, 24, v4 :: v_dual_bitop2_b32 v5, 3, v3 bitop3:0x40
	v_bfe_u32 v9, v3, 2, 5
	v_and_b32_e32 v4, 0x80000000, v4
	s_delay_alu instid0(VALU_DEP_3) | instskip(NEXT) | instid1(VALU_DEP_3)
	v_clz_i32_u32_e32 v7, v5
	v_cmp_eq_u32_e32 vcc_lo, 0, v9
	s_delay_alu instid0(VALU_DEP_2) | instskip(NEXT) | instid1(VALU_DEP_1)
	v_min_u32_e32 v7, 32, v7
	v_subrev_nc_u32_e32 v8, 29, v7
	v_sub_nc_u32_e32 v7, 30, v7
	s_delay_alu instid0(VALU_DEP_2) | instskip(NEXT) | instid1(VALU_DEP_2)
	v_lshlrev_b32_e32 v3, v8, v3
	v_cndmask_b32_e32 v7, v9, v7, vcc_lo
	s_delay_alu instid0(VALU_DEP_2) | instskip(NEXT) | instid1(VALU_DEP_1)
	v_and_b32_e32 v3, 3, v3
	v_cndmask_b32_e32 v3, v5, v3, vcc_lo
	s_delay_alu instid0(VALU_DEP_3) | instskip(NEXT) | instid1(VALU_DEP_2)
	v_lshl_add_u32 v5, v7, 23, 0x37800000
	v_lshlrev_b32_e32 v3, 21, v3
	s_delay_alu instid0(VALU_DEP_1) | instskip(NEXT) | instid1(VALU_DEP_1)
	v_or3_b32 v3, v4, v5, v3
	v_cvt_f16_f32_e32 v3, v3
.LBB55_572:
	s_or_b32 exec_lo, exec_lo, s25
	s_mov_b32 s24, 0
	s_branch .LBB55_578
.LBB55_573:
	s_mov_b32 s25, -1
                                        ; implicit-def: $vgpr3
	s_branch .LBB55_584
.LBB55_574:
	s_or_saveexec_b32 s25, s25
	v_mov_b32_e32 v3, 0x7e00
	s_xor_b32 exec_lo, exec_lo, s25
	s_cbranch_execz .LBB55_557
.LBB55_575:
	v_cmp_ne_u16_e32 vcc_lo, 0, v4
	v_mov_b32_e32 v3, v4
	s_and_not1_b32 s24, s24, exec_lo
	s_and_b32 s26, vcc_lo, exec_lo
	s_delay_alu instid0(SALU_CYCLE_1)
	s_or_b32 s24, s24, s26
	s_or_b32 exec_lo, exec_lo, s25
	s_and_saveexec_b32 s25, s24
	s_cbranch_execnz .LBB55_558
	s_branch .LBB55_559
.LBB55_576:
	s_mov_b32 s24, -1
                                        ; implicit-def: $vgpr3
	s_branch .LBB55_581
.LBB55_577:
	s_mov_b32 s24, -1
                                        ; implicit-def: $vgpr3
.LBB55_578:
	s_delay_alu instid0(SALU_CYCLE_1)
	s_and_b32 vcc_lo, exec_lo, s24
	s_cbranch_vccz .LBB55_580
; %bb.579:
	s_wait_loadcnt 0x0
	global_load_u8 v3, v[0:1], off
	s_wait_loadcnt 0x0
	v_lshlrev_b32_e32 v3, 24, v3
	s_delay_alu instid0(VALU_DEP_1) | instskip(NEXT) | instid1(VALU_DEP_1)
	v_and_b32_e32 v4, 0x7f000000, v3
	v_clz_i32_u32_e32 v5, v4
	v_add_nc_u32_e32 v8, 0x1000000, v4
	v_cmp_ne_u32_e32 vcc_lo, 0, v4
	s_delay_alu instid0(VALU_DEP_3) | instskip(NEXT) | instid1(VALU_DEP_1)
	v_min_u32_e32 v5, 32, v5
	v_sub_nc_u32_e64 v5, v5, 4 clamp
	s_delay_alu instid0(VALU_DEP_1) | instskip(NEXT) | instid1(VALU_DEP_1)
	v_dual_lshlrev_b32 v7, v5, v4 :: v_dual_lshlrev_b32 v5, 23, v5
	v_lshrrev_b32_e32 v7, 4, v7
	s_delay_alu instid0(VALU_DEP_1) | instskip(NEXT) | instid1(VALU_DEP_1)
	v_dual_sub_nc_u32 v5, v7, v5 :: v_dual_ashrrev_i32 v7, 8, v8
	v_add_nc_u32_e32 v5, 0x3c000000, v5
	s_delay_alu instid0(VALU_DEP_1) | instskip(NEXT) | instid1(VALU_DEP_1)
	v_and_or_b32 v5, 0x7f800000, v7, v5
	v_cndmask_b32_e32 v4, 0, v5, vcc_lo
	s_delay_alu instid0(VALU_DEP_1) | instskip(NEXT) | instid1(VALU_DEP_1)
	v_and_or_b32 v3, 0x80000000, v3, v4
	v_cvt_f16_f32_e32 v3, v3
.LBB55_580:
	s_mov_b32 s24, 0
.LBB55_581:
	s_delay_alu instid0(SALU_CYCLE_1)
	s_and_not1_b32 vcc_lo, exec_lo, s24
	s_cbranch_vccnz .LBB55_583
; %bb.582:
	s_wait_loadcnt 0x0
	global_load_u8 v3, v[0:1], off
	s_wait_loadcnt 0x0
	v_lshlrev_b32_e32 v4, 25, v3
	v_lshlrev_b16 v3, 8, v3
	s_delay_alu instid0(VALU_DEP_1) | instskip(NEXT) | instid1(VALU_DEP_3)
	v_and_or_b32 v7, 0x7f00, v3, 0.5
	v_lshrrev_b32_e32 v5, 4, v4
	v_bfe_i32 v3, v3, 0, 16
	s_delay_alu instid0(VALU_DEP_3) | instskip(NEXT) | instid1(VALU_DEP_3)
	v_add_f32_e32 v7, -0.5, v7
	v_or_b32_e32 v5, 0x70000000, v5
	s_delay_alu instid0(VALU_DEP_1) | instskip(SKIP_1) | instid1(VALU_DEP_2)
	v_mul_f32_e32 v5, 0x7800000, v5
	v_cmp_gt_u32_e32 vcc_lo, 0x8000000, v4
	v_cndmask_b32_e32 v4, v5, v7, vcc_lo
	s_delay_alu instid0(VALU_DEP_1) | instskip(NEXT) | instid1(VALU_DEP_1)
	v_and_or_b32 v3, 0x80000000, v3, v4
	v_cvt_f16_f32_e32 v3, v3
.LBB55_583:
	s_mov_b32 s25, 0
	s_mov_b32 s24, -1
.LBB55_584:
	s_and_not1_b32 vcc_lo, exec_lo, s25
	s_cbranch_vccnz .LBB55_597
; %bb.585:
	s_cmp_gt_i32 s21, 14
	s_cbranch_scc0 .LBB55_588
; %bb.586:
	s_cmp_eq_u32 s21, 15
	s_cbranch_scc0 .LBB55_591
; %bb.587:
	s_wait_loadcnt 0x0
	global_load_u16 v3, v[0:1], off
	s_mov_b32 s24, -1
	s_mov_b32 s22, 0
	s_wait_loadcnt 0x0
	v_lshlrev_b32_e32 v3, 16, v3
	s_delay_alu instid0(VALU_DEP_1)
	v_cvt_f16_f32_e32 v3, v3
	s_branch .LBB55_592
.LBB55_588:
	s_mov_b32 s25, -1
                                        ; implicit-def: $vgpr3
	s_branch .LBB55_593
.LBB55_589:
	s_or_saveexec_b32 s25, s25
	v_mov_b32_e32 v3, 0x7e00
	s_xor_b32 exec_lo, exec_lo, s25
	s_cbranch_execz .LBB55_570
.LBB55_590:
	v_cmp_ne_u16_e32 vcc_lo, 0, v4
	v_mov_b32_e32 v3, v4
	s_and_not1_b32 s24, s24, exec_lo
	s_and_b32 s26, vcc_lo, exec_lo
	s_delay_alu instid0(SALU_CYCLE_1)
	s_or_b32 s24, s24, s26
	s_or_b32 exec_lo, exec_lo, s25
	s_and_saveexec_b32 s25, s24
	s_cbranch_execnz .LBB55_571
	s_branch .LBB55_572
.LBB55_591:
	s_mov_b32 s22, -1
                                        ; implicit-def: $vgpr3
.LBB55_592:
	s_mov_b32 s25, 0
.LBB55_593:
	s_delay_alu instid0(SALU_CYCLE_1)
	s_and_b32 vcc_lo, exec_lo, s25
	s_cbranch_vccz .LBB55_597
; %bb.594:
	s_cmp_eq_u32 s21, 11
	s_cbranch_scc0 .LBB55_596
; %bb.595:
	s_wait_loadcnt 0x0
	global_load_u8 v3, v[0:1], off
	s_mov_b32 s22, 0
	s_mov_b32 s24, -1
	s_wait_loadcnt 0x0
	v_cmp_ne_u16_e32 vcc_lo, 0, v3
	v_cndmask_b32_e64 v3, 0, 0x3c00, vcc_lo
	s_branch .LBB55_597
.LBB55_596:
	s_mov_b32 s22, -1
                                        ; implicit-def: $vgpr3
.LBB55_597:
	s_mov_b32 s21, 0
.LBB55_598:
	s_delay_alu instid0(SALU_CYCLE_1)
	s_and_b32 vcc_lo, exec_lo, s21
	s_cbranch_vccz .LBB55_647
; %bb.599:
	s_and_b32 s0, 0xffff, s0
	s_delay_alu instid0(SALU_CYCLE_1)
	s_cmp_lt_i32 s0, 5
	s_cbranch_scc1 .LBB55_604
; %bb.600:
	s_cmp_lt_i32 s0, 8
	s_cbranch_scc1 .LBB55_605
; %bb.601:
	;; [unrolled: 3-line block ×3, first 2 shown]
	s_cmp_gt_i32 s0, 9
	s_cbranch_scc0 .LBB55_607
; %bb.603:
	global_load_b64 v[4:5], v[0:1], off
	s_mov_b32 s21, 0
	s_wait_loadcnt 0x0
	v_and_or_b32 v3, 0x1ff, v5, v4
	v_lshrrev_b32_e32 v4, 8, v5
	v_bfe_u32 v7, v5, 20, 11
	s_delay_alu instid0(VALU_DEP_3) | instskip(NEXT) | instid1(VALU_DEP_2)
	v_cmp_ne_u32_e32 vcc_lo, 0, v3
	v_sub_nc_u32_e32 v8, 0x3f1, v7
	v_cndmask_b32_e64 v3, 0, 1, vcc_lo
	s_delay_alu instid0(VALU_DEP_1) | instskip(NEXT) | instid1(VALU_DEP_3)
	v_and_or_b32 v3, 0xffe, v4, v3
	v_med3_i32 v4, v8, 0, 13
	s_delay_alu instid0(VALU_DEP_2) | instskip(NEXT) | instid1(VALU_DEP_1)
	v_or_b32_e32 v8, 0x1000, v3
	v_lshrrev_b32_e32 v9, v4, v8
	s_delay_alu instid0(VALU_DEP_1) | instskip(NEXT) | instid1(VALU_DEP_1)
	v_lshlrev_b32_e32 v4, v4, v9
	v_cmp_ne_u32_e32 vcc_lo, v4, v8
	v_cndmask_b32_e64 v4, 0, 1, vcc_lo
	s_delay_alu instid0(VALU_DEP_1) | instskip(SKIP_1) | instid1(VALU_DEP_1)
	v_or_b32_e32 v4, v9, v4
	v_add_nc_u32_e32 v7, 0xfffffc10, v7
	v_lshl_or_b32 v8, v7, 12, v3
	v_cmp_gt_i32_e32 vcc_lo, 1, v7
	s_delay_alu instid0(VALU_DEP_2) | instskip(NEXT) | instid1(VALU_DEP_1)
	v_cndmask_b32_e32 v4, v8, v4, vcc_lo
	v_dual_lshrrev_b32 v4, 2, v4 :: v_dual_bitop2_b32 v8, 7, v4 bitop3:0x40
	s_delay_alu instid0(VALU_DEP_1) | instskip(SKIP_4) | instid1(VALU_DEP_2)
	v_cmp_lt_i32_e32 vcc_lo, 5, v8
	v_cndmask_b32_e64 v9, 0, 1, vcc_lo
	v_cmp_eq_u32_e32 vcc_lo, 3, v8
	v_cndmask_b32_e64 v8, 0, 1, vcc_lo
	v_cmp_ne_u32_e32 vcc_lo, 0, v3
	v_or_b32_e32 v8, v8, v9
	s_delay_alu instid0(VALU_DEP_1) | instskip(NEXT) | instid1(VALU_DEP_1)
	v_dual_mov_b32 v9, 0x7e00 :: v_dual_add_nc_u32 v4, v4, v8
	v_cndmask_b32_e32 v3, 0x7c00, v9, vcc_lo
	v_cmp_gt_i32_e32 vcc_lo, 31, v7
	s_delay_alu instid0(VALU_DEP_3) | instskip(SKIP_1) | instid1(VALU_DEP_2)
	v_cndmask_b32_e32 v4, 0x7c00, v4, vcc_lo
	v_cmp_eq_u32_e32 vcc_lo, 0x40f, v7
	v_dual_cndmask_b32 v3, v4, v3 :: v_dual_lshrrev_b32 v4, 16, v5
	s_delay_alu instid0(VALU_DEP_1)
	v_and_or_b32 v3, 0x8000, v4, v3
	s_branch .LBB55_608
.LBB55_604:
	s_mov_b32 s21, -1
                                        ; implicit-def: $vgpr3
	s_branch .LBB55_626
.LBB55_605:
	s_mov_b32 s21, -1
                                        ; implicit-def: $vgpr3
	s_branch .LBB55_614
.LBB55_606:
	s_mov_b32 s21, -1
                                        ; implicit-def: $vgpr3
	s_branch .LBB55_611
.LBB55_607:
	s_mov_b32 s21, -1
                                        ; implicit-def: $vgpr3
.LBB55_608:
	s_delay_alu instid0(SALU_CYCLE_1)
	s_and_not1_b32 vcc_lo, exec_lo, s21
	s_cbranch_vccnz .LBB55_610
; %bb.609:
	s_wait_loadcnt 0x0
	global_load_b32 v3, v[0:1], off
	s_wait_loadcnt 0x0
	v_cvt_f16_f32_e32 v3, v3
.LBB55_610:
	s_mov_b32 s21, 0
.LBB55_611:
	s_delay_alu instid0(SALU_CYCLE_1)
	s_and_not1_b32 vcc_lo, exec_lo, s21
	s_cbranch_vccnz .LBB55_613
; %bb.612:
	s_wait_loadcnt 0x0
	global_load_b32 v3, v[0:1], off
.LBB55_613:
	s_mov_b32 s21, 0
.LBB55_614:
	s_delay_alu instid0(SALU_CYCLE_1)
	s_and_not1_b32 vcc_lo, exec_lo, s21
	s_cbranch_vccnz .LBB55_625
; %bb.615:
	s_cmp_lt_i32 s0, 6
	s_cbranch_scc1 .LBB55_618
; %bb.616:
	s_cmp_gt_i32 s0, 6
	s_cbranch_scc0 .LBB55_619
; %bb.617:
	global_load_b64 v[4:5], v[0:1], off
	s_mov_b32 s21, 0
	s_wait_loadcnt 0x0
	v_and_or_b32 v3, 0x1ff, v5, v4
	v_lshrrev_b32_e32 v4, 8, v5
	v_bfe_u32 v7, v5, 20, 11
	s_delay_alu instid0(VALU_DEP_3) | instskip(NEXT) | instid1(VALU_DEP_2)
	v_cmp_ne_u32_e32 vcc_lo, 0, v3
	v_sub_nc_u32_e32 v8, 0x3f1, v7
	v_cndmask_b32_e64 v3, 0, 1, vcc_lo
	s_delay_alu instid0(VALU_DEP_1) | instskip(NEXT) | instid1(VALU_DEP_3)
	v_and_or_b32 v3, 0xffe, v4, v3
	v_med3_i32 v4, v8, 0, 13
	s_delay_alu instid0(VALU_DEP_2) | instskip(NEXT) | instid1(VALU_DEP_1)
	v_or_b32_e32 v8, 0x1000, v3
	v_lshrrev_b32_e32 v9, v4, v8
	s_delay_alu instid0(VALU_DEP_1) | instskip(NEXT) | instid1(VALU_DEP_1)
	v_lshlrev_b32_e32 v4, v4, v9
	v_cmp_ne_u32_e32 vcc_lo, v4, v8
	v_cndmask_b32_e64 v4, 0, 1, vcc_lo
	s_delay_alu instid0(VALU_DEP_1) | instskip(SKIP_1) | instid1(VALU_DEP_1)
	v_or_b32_e32 v4, v9, v4
	v_add_nc_u32_e32 v7, 0xfffffc10, v7
	v_lshl_or_b32 v8, v7, 12, v3
	v_cmp_gt_i32_e32 vcc_lo, 1, v7
	s_delay_alu instid0(VALU_DEP_2) | instskip(NEXT) | instid1(VALU_DEP_1)
	v_cndmask_b32_e32 v4, v8, v4, vcc_lo
	v_dual_lshrrev_b32 v4, 2, v4 :: v_dual_bitop2_b32 v8, 7, v4 bitop3:0x40
	s_delay_alu instid0(VALU_DEP_1) | instskip(SKIP_4) | instid1(VALU_DEP_2)
	v_cmp_lt_i32_e32 vcc_lo, 5, v8
	v_cndmask_b32_e64 v9, 0, 1, vcc_lo
	v_cmp_eq_u32_e32 vcc_lo, 3, v8
	v_cndmask_b32_e64 v8, 0, 1, vcc_lo
	v_cmp_ne_u32_e32 vcc_lo, 0, v3
	v_or_b32_e32 v8, v8, v9
	s_delay_alu instid0(VALU_DEP_1) | instskip(NEXT) | instid1(VALU_DEP_1)
	v_dual_mov_b32 v9, 0x7e00 :: v_dual_add_nc_u32 v4, v4, v8
	v_cndmask_b32_e32 v3, 0x7c00, v9, vcc_lo
	v_cmp_gt_i32_e32 vcc_lo, 31, v7
	s_delay_alu instid0(VALU_DEP_3) | instskip(SKIP_1) | instid1(VALU_DEP_2)
	v_cndmask_b32_e32 v4, 0x7c00, v4, vcc_lo
	v_cmp_eq_u32_e32 vcc_lo, 0x40f, v7
	v_dual_cndmask_b32 v3, v4, v3 :: v_dual_lshrrev_b32 v4, 16, v5
	s_delay_alu instid0(VALU_DEP_1)
	v_and_or_b32 v3, 0x8000, v4, v3
	s_branch .LBB55_620
.LBB55_618:
	s_mov_b32 s21, -1
                                        ; implicit-def: $vgpr3
	s_branch .LBB55_623
.LBB55_619:
	s_mov_b32 s21, -1
                                        ; implicit-def: $vgpr3
.LBB55_620:
	s_delay_alu instid0(SALU_CYCLE_1)
	s_and_not1_b32 vcc_lo, exec_lo, s21
	s_cbranch_vccnz .LBB55_622
; %bb.621:
	s_wait_loadcnt 0x0
	global_load_b32 v3, v[0:1], off
	s_wait_loadcnt 0x0
	v_cvt_f16_f32_e32 v3, v3
.LBB55_622:
	s_mov_b32 s21, 0
.LBB55_623:
	s_delay_alu instid0(SALU_CYCLE_1)
	s_and_not1_b32 vcc_lo, exec_lo, s21
	s_cbranch_vccnz .LBB55_625
; %bb.624:
	s_wait_loadcnt 0x0
	global_load_u16 v3, v[0:1], off
.LBB55_625:
	s_mov_b32 s21, 0
.LBB55_626:
	s_delay_alu instid0(SALU_CYCLE_1)
	s_and_not1_b32 vcc_lo, exec_lo, s21
	s_cbranch_vccnz .LBB55_646
; %bb.627:
	s_cmp_lt_i32 s0, 2
	s_cbranch_scc1 .LBB55_631
; %bb.628:
	s_cmp_lt_i32 s0, 3
	s_cbranch_scc1 .LBB55_632
; %bb.629:
	s_cmp_gt_i32 s0, 3
	s_cbranch_scc0 .LBB55_633
; %bb.630:
	global_load_b64 v[4:5], v[0:1], off
	s_mov_b32 s21, 0
	s_wait_loadcnt 0x0
	v_xor_b32_e32 v3, v4, v5
	v_cls_i32_e32 v7, v5
	s_delay_alu instid0(VALU_DEP_2) | instskip(NEXT) | instid1(VALU_DEP_1)
	v_ashrrev_i32_e32 v3, 31, v3
	v_add_nc_u32_e32 v3, 32, v3
	s_delay_alu instid0(VALU_DEP_1) | instskip(NEXT) | instid1(VALU_DEP_1)
	v_add_min_u32_e64 v3, v7, -1, v3
	v_lshlrev_b64_e32 v[4:5], v3, v[4:5]
	v_sub_nc_u32_e32 v3, 32, v3
	s_delay_alu instid0(VALU_DEP_2) | instskip(NEXT) | instid1(VALU_DEP_1)
	v_min_u32_e32 v4, 1, v4
	v_or_b32_e32 v4, v5, v4
	s_delay_alu instid0(VALU_DEP_1) | instskip(NEXT) | instid1(VALU_DEP_1)
	v_cvt_f32_i32_e32 v4, v4
	v_ldexp_f32 v3, v4, v3
	s_delay_alu instid0(VALU_DEP_1)
	v_cvt_f16_f32_e32 v3, v3
	s_branch .LBB55_634
.LBB55_631:
	s_mov_b32 s21, -1
                                        ; implicit-def: $vgpr3
	s_branch .LBB55_640
.LBB55_632:
	s_mov_b32 s21, -1
                                        ; implicit-def: $vgpr3
	s_branch .LBB55_637
.LBB55_633:
	s_mov_b32 s21, -1
                                        ; implicit-def: $vgpr3
.LBB55_634:
	s_delay_alu instid0(SALU_CYCLE_1)
	s_and_not1_b32 vcc_lo, exec_lo, s21
	s_cbranch_vccnz .LBB55_636
; %bb.635:
	s_wait_loadcnt 0x0
	global_load_b32 v3, v[0:1], off
	s_wait_loadcnt 0x0
	v_cvt_f32_i32_e32 v3, v3
	s_delay_alu instid0(VALU_DEP_1)
	v_cvt_f16_f32_e32 v3, v3
.LBB55_636:
	s_mov_b32 s21, 0
.LBB55_637:
	s_delay_alu instid0(SALU_CYCLE_1)
	s_and_not1_b32 vcc_lo, exec_lo, s21
	s_cbranch_vccnz .LBB55_639
; %bb.638:
	s_wait_loadcnt 0x0
	global_load_u16 v3, v[0:1], off
	s_wait_loadcnt 0x0
	v_cvt_f16_i16_e32 v3, v3
.LBB55_639:
	s_mov_b32 s21, 0
.LBB55_640:
	s_delay_alu instid0(SALU_CYCLE_1)
	s_and_not1_b32 vcc_lo, exec_lo, s21
	s_cbranch_vccnz .LBB55_646
; %bb.641:
	s_cmp_gt_i32 s0, 0
	s_mov_b32 s0, 0
	s_cbranch_scc0 .LBB55_643
; %bb.642:
	s_wait_loadcnt 0x0
	global_load_i8 v3, v[0:1], off
	s_wait_loadcnt 0x0
	v_cvt_f16_i16_e32 v3, v3
	s_branch .LBB55_644
.LBB55_643:
	s_mov_b32 s0, -1
                                        ; implicit-def: $vgpr3
.LBB55_644:
	s_delay_alu instid0(SALU_CYCLE_1)
	s_and_not1_b32 vcc_lo, exec_lo, s0
	s_cbranch_vccnz .LBB55_646
; %bb.645:
	global_load_u8 v0, v[0:1], off
	s_wait_loadcnt 0x0
	v_cvt_f16_u16_e32 v3, v0
.LBB55_646:
	s_mov_b32 s24, -1
.LBB55_647:
	s_delay_alu instid0(SALU_CYCLE_1)
	s_and_not1_b32 vcc_lo, exec_lo, s24
	s_cbranch_vccnz .LBB55_655
; %bb.648:
	s_wait_xcnt 0x0
	v_mul_lo_u32 v0, v6, s8
	s_wait_loadcnt 0x0
	v_mul_f16_e32 v3, v2, v3
	v_cmp_lt_f16_e32 vcc_lo, 0, v2
	s_and_b32 s21, s11, 0xff
	s_mov_b32 s25, 0
	s_mov_b32 s24, -1
	s_cmp_lt_i32 s21, 11
	s_mov_b32 s0, s15
	s_delay_alu instid0(VALU_DEP_3) | instskip(NEXT) | instid1(VALU_DEP_1)
	v_dual_cndmask_b32 v2, v3, v2 :: v_dual_ashrrev_i32 v1, 31, v0
	v_add_nc_u64_e32 v[0:1], s[4:5], v[0:1]
	s_cbranch_scc1 .LBB55_656
; %bb.649:
	s_and_b32 s24, 0xffff, s21
	s_delay_alu instid0(SALU_CYCLE_1)
	s_cmp_gt_i32 s24, 25
	s_cbranch_scc0 .LBB55_709
; %bb.650:
	s_cmp_gt_i32 s24, 28
	s_cbranch_scc0 .LBB55_711
; %bb.651:
	;; [unrolled: 3-line block ×4, first 2 shown]
	s_mov_b32 s26, 0
	s_mov_b32 s0, -1
	s_cmp_eq_u32 s24, 46
	s_cbranch_scc0 .LBB55_716
; %bb.654:
	v_cvt_f32_f16_e32 v3, v2
	v_cmp_o_f16_e32 vcc_lo, v2, v2
	s_mov_b32 s25, -1
	s_mov_b32 s0, 0
	s_delay_alu instid0(VALU_DEP_2) | instskip(NEXT) | instid1(VALU_DEP_1)
	v_bfe_u32 v4, v3, 16, 1
	v_add3_u32 v3, v3, v4, 0x7fff
	s_delay_alu instid0(VALU_DEP_1) | instskip(NEXT) | instid1(VALU_DEP_1)
	v_lshrrev_b32_e32 v3, 16, v3
	v_cndmask_b32_e32 v3, 0x7fc0, v3, vcc_lo
	global_store_b32 v[0:1], v3, off
	s_branch .LBB55_716
.LBB55_655:
	s_mov_b32 s24, 0
	s_mov_b32 s0, s15
	s_branch .LBB55_696
.LBB55_656:
	s_and_b32 vcc_lo, exec_lo, s24
	s_cbranch_vccz .LBB55_785
; %bb.657:
	s_and_b32 s21, 0xffff, s21
	s_mov_b32 s24, -1
	s_cmp_lt_i32 s21, 5
	s_cbranch_scc1 .LBB55_678
; %bb.658:
	s_cmp_lt_i32 s21, 8
	s_cbranch_scc1 .LBB55_668
; %bb.659:
	;; [unrolled: 3-line block ×3, first 2 shown]
	s_cmp_gt_i32 s21, 9
	s_cbranch_scc0 .LBB55_662
; %bb.661:
	s_wait_xcnt 0x0
	v_cvt_f32_f16_e32 v3, v2
	v_mov_b32_e32 v10, 0
	s_mov_b32 s24, 0
	s_delay_alu instid0(VALU_DEP_2) | instskip(NEXT) | instid1(VALU_DEP_2)
	v_cvt_f64_f32_e32 v[8:9], v3
	v_mov_b32_e32 v11, v10
	global_store_b128 v[0:1], v[8:11], off
.LBB55_662:
	s_and_not1_b32 vcc_lo, exec_lo, s24
	s_cbranch_vccnz .LBB55_664
; %bb.663:
	s_wait_xcnt 0x0
	v_cvt_f32_f16_e32 v4, v2
	v_mov_b32_e32 v5, 0
	global_store_b64 v[0:1], v[4:5], off
.LBB55_664:
	s_mov_b32 s24, 0
.LBB55_665:
	s_delay_alu instid0(SALU_CYCLE_1)
	s_and_not1_b32 vcc_lo, exec_lo, s24
	s_cbranch_vccnz .LBB55_667
; %bb.666:
	s_wait_xcnt 0x0
	v_and_b32_e32 v3, 0xffff, v2
	global_store_b32 v[0:1], v3, off
.LBB55_667:
	s_mov_b32 s24, 0
.LBB55_668:
	s_delay_alu instid0(SALU_CYCLE_1)
	s_and_not1_b32 vcc_lo, exec_lo, s24
	s_cbranch_vccnz .LBB55_677
; %bb.669:
	s_cmp_lt_i32 s21, 6
	s_mov_b32 s24, -1
	s_cbranch_scc1 .LBB55_675
; %bb.670:
	s_cmp_gt_i32 s21, 6
	s_cbranch_scc0 .LBB55_672
; %bb.671:
	s_wait_xcnt 0x0
	v_cvt_f32_f16_e32 v3, v2
	s_mov_b32 s24, 0
	s_delay_alu instid0(VALU_DEP_1)
	v_cvt_f64_f32_e32 v[4:5], v3
	global_store_b64 v[0:1], v[4:5], off
.LBB55_672:
	s_and_not1_b32 vcc_lo, exec_lo, s24
	s_cbranch_vccnz .LBB55_674
; %bb.673:
	s_wait_xcnt 0x0
	v_cvt_f32_f16_e32 v3, v2
	global_store_b32 v[0:1], v3, off
.LBB55_674:
	s_mov_b32 s24, 0
.LBB55_675:
	s_delay_alu instid0(SALU_CYCLE_1)
	s_and_not1_b32 vcc_lo, exec_lo, s24
	s_cbranch_vccnz .LBB55_677
; %bb.676:
	global_store_b16 v[0:1], v2, off
.LBB55_677:
	s_mov_b32 s24, 0
.LBB55_678:
	s_delay_alu instid0(SALU_CYCLE_1)
	s_and_not1_b32 vcc_lo, exec_lo, s24
	s_cbranch_vccnz .LBB55_694
; %bb.679:
	s_cmp_lt_i32 s21, 2
	s_mov_b32 s24, -1
	s_cbranch_scc1 .LBB55_689
; %bb.680:
	s_cmp_lt_i32 s21, 3
	s_cbranch_scc1 .LBB55_686
; %bb.681:
	s_cmp_gt_i32 s21, 3
	s_cbranch_scc0 .LBB55_683
; %bb.682:
	s_wait_xcnt 0x0
	v_cvt_f32_f16_e32 v3, v2
	s_mov_b32 s24, 0
	s_delay_alu instid0(VALU_DEP_1) | instskip(NEXT) | instid1(VALU_DEP_1)
	v_cvt_i32_f32_e32 v4, v3
	v_ashrrev_i32_e32 v5, 31, v4
	global_store_b64 v[0:1], v[4:5], off
.LBB55_683:
	s_and_not1_b32 vcc_lo, exec_lo, s24
	s_cbranch_vccnz .LBB55_685
; %bb.684:
	s_wait_xcnt 0x0
	v_cvt_f32_f16_e32 v3, v2
	s_delay_alu instid0(VALU_DEP_1)
	v_cvt_i32_f32_e32 v3, v3
	global_store_b32 v[0:1], v3, off
.LBB55_685:
	s_mov_b32 s24, 0
.LBB55_686:
	s_delay_alu instid0(SALU_CYCLE_1)
	s_and_not1_b32 vcc_lo, exec_lo, s24
	s_cbranch_vccnz .LBB55_688
; %bb.687:
	s_wait_xcnt 0x0
	v_cvt_i16_f16_e32 v3, v2
	global_store_b16 v[0:1], v3, off
.LBB55_688:
	s_mov_b32 s24, 0
.LBB55_689:
	s_delay_alu instid0(SALU_CYCLE_1)
	s_and_not1_b32 vcc_lo, exec_lo, s24
	s_cbranch_vccnz .LBB55_694
; %bb.690:
	s_cmp_gt_i32 s21, 0
	s_mov_b32 s21, -1
	s_cbranch_scc0 .LBB55_692
; %bb.691:
	s_wait_xcnt 0x0
	v_cvt_i16_f16_e32 v3, v2
	s_mov_b32 s21, 0
	global_store_b8 v[0:1], v3, off
.LBB55_692:
	s_and_not1_b32 vcc_lo, exec_lo, s21
	s_cbranch_vccnz .LBB55_694
; %bb.693:
	s_wait_xcnt 0x0
	v_cvt_f32_f16_e32 v2, v2
	s_delay_alu instid0(VALU_DEP_1)
	v_cvt_i32_f32_e32 v2, v2
	global_store_b8 v[0:1], v2, off
.LBB55_694:
	s_branch .LBB55_786
.LBB55_695:
	s_mov_b32 s24, 0
.LBB55_696:
                                        ; implicit-def: $vgpr6
.LBB55_697:
	s_and_not1_b32 s21, s15, exec_lo
	s_and_b32 s0, s0, exec_lo
	s_and_b32 s22, s22, exec_lo
	s_or_b32 s21, s21, s0
	s_and_not1_b32 s0, s17, exec_lo
	s_and_not1_b32 s25, s18, exec_lo
	s_and_b32 s20, s20, exec_lo
	s_or_b32 s22, s0, s22
	s_or_b32 s20, s25, s20
	s_or_not1_b32 s25, s24, exec_lo
.LBB55_698:
	s_wait_xcnt 0x0
	s_or_b32 exec_lo, exec_lo, s23
	s_mov_b32 s24, 0
	s_mov_b32 s26, 0
	;; [unrolled: 1-line block ×3, first 2 shown]
                                        ; implicit-def: $sgpr0
                                        ; implicit-def: $vgpr0_vgpr1
                                        ; implicit-def: $vgpr2
	s_and_saveexec_b32 s23, s25
	s_cbranch_execz .LBB55_1247
; %bb.699:
	s_mov_b32 s31, -1
	s_mov_b32 s25, s20
	s_mov_b32 s26, s22
	;; [unrolled: 1-line block ×3, first 2 shown]
	s_mov_b32 s24, exec_lo
	v_cmpx_gt_i32_e64 s16, v6
	s_cbranch_execz .LBB55_1088
; %bb.700:
	v_mul_lo_u32 v0, v6, s9
	s_and_b32 s0, s13, 0xff
	s_delay_alu instid0(SALU_CYCLE_1) | instskip(NEXT) | instid1(VALU_DEP_1)
	s_cmp_lt_i32 s0, 11
	v_ashrrev_i32_e32 v1, 31, v0
	s_delay_alu instid0(VALU_DEP_1)
	v_add_nc_u64_e32 v[0:1], s[6:7], v[0:1]
	s_cbranch_scc1 .LBB55_707
; %bb.701:
	s_and_b32 s26, 0xffff, s0
	s_delay_alu instid0(SALU_CYCLE_1)
	s_cmp_gt_i32 s26, 25
	s_cbranch_scc0 .LBB55_708
; %bb.702:
	s_cmp_gt_i32 s26, 28
	s_cbranch_scc0 .LBB55_710
; %bb.703:
	s_cmp_gt_i32 s26, 43
	s_cbranch_scc0 .LBB55_712
; %bb.704:
	s_cmp_gt_i32 s26, 45
	s_cbranch_scc0 .LBB55_714
; %bb.705:
	s_cmp_eq_u32 s26, 46
	s_mov_b32 s28, 0
	s_cbranch_scc0 .LBB55_787
; %bb.706:
	s_wait_loadcnt 0x0
	global_load_b32 v2, v[0:1], off
	s_mov_b32 s27, -1
	s_mov_b32 s25, 0
	s_wait_loadcnt 0x0
	v_lshlrev_b32_e32 v2, 16, v2
	s_delay_alu instid0(VALU_DEP_1)
	v_cvt_f16_f32_e32 v2, v2
	s_branch .LBB55_789
.LBB55_707:
	s_mov_b32 s26, -1
	s_mov_b32 s27, 0
	s_mov_b32 s25, s20
                                        ; implicit-def: $vgpr2
	s_branch .LBB55_856
.LBB55_708:
	s_mov_b32 s28, -1
	s_mov_b32 s27, 0
	s_mov_b32 s25, s20
                                        ; implicit-def: $vgpr2
	s_branch .LBB55_820
.LBB55_709:
	s_mov_b32 s26, -1
	s_mov_b32 s0, s15
	s_branch .LBB55_743
.LBB55_710:
	s_mov_b32 s28, -1
	s_mov_b32 s27, 0
	s_mov_b32 s25, s20
                                        ; implicit-def: $vgpr2
	s_branch .LBB55_801
.LBB55_711:
	s_mov_b32 s26, -1
	s_mov_b32 s0, s15
	s_branch .LBB55_726
.LBB55_712:
	s_mov_b32 s28, -1
	s_mov_b32 s27, 0
	s_mov_b32 s25, s20
                                        ; implicit-def: $vgpr2
	s_branch .LBB55_796
.LBB55_713:
	s_mov_b32 s26, -1
	s_mov_b32 s0, s15
	s_branch .LBB55_722
.LBB55_714:
	s_mov_b32 s28, -1
	s_mov_b32 s27, 0
	s_mov_b32 s25, s20
	s_branch .LBB55_788
.LBB55_715:
	s_mov_b32 s26, -1
	s_mov_b32 s0, s15
.LBB55_716:
	s_and_b32 vcc_lo, exec_lo, s26
	s_cbranch_vccz .LBB55_721
; %bb.717:
	s_cmp_eq_u32 s24, 44
	s_mov_b32 s0, -1
	s_cbranch_scc0 .LBB55_721
; %bb.718:
	s_wait_xcnt 0x0
	v_cvt_f32_f16_e32 v3, v2
	v_mov_b32_e32 v4, 0xff
	s_mov_b32 s25, exec_lo
	s_delay_alu instid0(VALU_DEP_2) | instskip(NEXT) | instid1(VALU_DEP_1)
	v_bfe_u32 v5, v3, 23, 8
	v_cmpx_ne_u32_e32 0xff, v5
	s_cbranch_execz .LBB55_720
; %bb.719:
	v_and_b32_e32 v4, 0x400000, v3
	v_and_or_b32 v5, 0x3fffff, v3, v5
	v_lshrrev_b32_e32 v3, 23, v3
	s_delay_alu instid0(VALU_DEP_3) | instskip(NEXT) | instid1(VALU_DEP_3)
	v_cmp_ne_u32_e32 vcc_lo, 0, v4
	v_cmp_ne_u32_e64 s0, 0, v5
	s_and_b32 s0, vcc_lo, s0
	s_delay_alu instid0(SALU_CYCLE_1) | instskip(NEXT) | instid1(VALU_DEP_1)
	v_cndmask_b32_e64 v4, 0, 1, s0
	v_add_nc_u32_e32 v4, v3, v4
.LBB55_720:
	s_or_b32 exec_lo, exec_lo, s25
	s_mov_b32 s25, -1
	s_mov_b32 s0, 0
	global_store_b8 v[0:1], v4, off
.LBB55_721:
	s_mov_b32 s26, 0
.LBB55_722:
	s_delay_alu instid0(SALU_CYCLE_1)
	s_and_b32 vcc_lo, exec_lo, s26
	s_cbranch_vccz .LBB55_725
; %bb.723:
	s_cmp_eq_u32 s24, 29
	s_mov_b32 s0, -1
	s_cbranch_scc0 .LBB55_725
; %bb.724:
	s_wait_xcnt 0x0
	v_cvt_f32_f16_e32 v3, v2
	v_mov_b32_e32 v5, 0
	s_mov_b32 s25, -1
	s_mov_b32 s0, 0
	s_mov_b32 s26, 0
	v_cvt_u32_f32_e32 v4, v3
	global_store_b64 v[0:1], v[4:5], off
	s_branch .LBB55_726
.LBB55_725:
	s_mov_b32 s26, 0
.LBB55_726:
	s_delay_alu instid0(SALU_CYCLE_1)
	s_and_b32 vcc_lo, exec_lo, s26
	s_cbranch_vccz .LBB55_742
; %bb.727:
	s_cmp_lt_i32 s24, 27
	s_mov_b32 s25, -1
	s_cbranch_scc1 .LBB55_733
; %bb.728:
	s_cmp_gt_i32 s24, 27
	s_cbranch_scc0 .LBB55_730
; %bb.729:
	s_wait_xcnt 0x0
	v_cvt_f32_f16_e32 v3, v2
	s_mov_b32 s25, 0
	s_delay_alu instid0(VALU_DEP_1)
	v_cvt_u32_f32_e32 v3, v3
	global_store_b32 v[0:1], v3, off
.LBB55_730:
	s_and_not1_b32 vcc_lo, exec_lo, s25
	s_cbranch_vccnz .LBB55_732
; %bb.731:
	s_wait_xcnt 0x0
	v_cvt_u16_f16_e32 v3, v2
	global_store_b16 v[0:1], v3, off
.LBB55_732:
	s_mov_b32 s25, 0
.LBB55_733:
	s_delay_alu instid0(SALU_CYCLE_1)
	s_and_not1_b32 vcc_lo, exec_lo, s25
	s_cbranch_vccnz .LBB55_741
; %bb.734:
	s_wait_xcnt 0x0
	v_cvt_f32_f16_e32 v3, v2
	v_mov_b32_e32 v5, 0x80
	s_mov_b32 s25, exec_lo
	s_delay_alu instid0(VALU_DEP_2) | instskip(NEXT) | instid1(VALU_DEP_1)
	v_and_b32_e32 v4, 0x7fffffff, v3
	v_cmpx_gt_u32_e32 0x43800000, v4
	s_cbranch_execz .LBB55_740
; %bb.735:
	v_cmp_lt_u32_e32 vcc_lo, 0x3bffffff, v4
	s_mov_b32 s26, 0
                                        ; implicit-def: $vgpr4
	s_and_saveexec_b32 s27, vcc_lo
	s_delay_alu instid0(SALU_CYCLE_1)
	s_xor_b32 s27, exec_lo, s27
	s_cbranch_execz .LBB55_792
; %bb.736:
	v_bfe_u32 v4, v3, 20, 1
	s_mov_b32 s26, exec_lo
	s_delay_alu instid0(VALU_DEP_1) | instskip(NEXT) | instid1(VALU_DEP_1)
	v_add3_u32 v4, v3, v4, 0x487ffff
	v_lshrrev_b32_e32 v4, 20, v4
	s_and_not1_saveexec_b32 s27, s27
	s_cbranch_execnz .LBB55_793
.LBB55_737:
	s_or_b32 exec_lo, exec_lo, s27
	v_mov_b32_e32 v5, 0
	s_and_saveexec_b32 s27, s26
.LBB55_738:
	v_lshrrev_b32_e32 v3, 24, v3
	s_delay_alu instid0(VALU_DEP_1)
	v_and_or_b32 v5, 0x80, v3, v4
.LBB55_739:
	s_or_b32 exec_lo, exec_lo, s27
.LBB55_740:
	s_delay_alu instid0(SALU_CYCLE_1)
	s_or_b32 exec_lo, exec_lo, s25
	global_store_b8 v[0:1], v5, off
.LBB55_741:
	s_mov_b32 s25, -1
.LBB55_742:
	s_mov_b32 s26, 0
.LBB55_743:
	s_delay_alu instid0(SALU_CYCLE_1)
	s_and_b32 vcc_lo, exec_lo, s26
	s_cbranch_vccz .LBB55_784
; %bb.744:
	s_cmp_gt_i32 s24, 22
	s_mov_b32 s26, -1
	s_cbranch_scc0 .LBB55_776
; %bb.745:
	s_cmp_lt_i32 s24, 24
	s_mov_b32 s25, -1
	s_cbranch_scc1 .LBB55_765
; %bb.746:
	s_cmp_gt_i32 s24, 24
	s_cbranch_scc0 .LBB55_754
; %bb.747:
	s_wait_xcnt 0x0
	v_cvt_f32_f16_e32 v3, v2
	v_mov_b32_e32 v5, 0x80
	s_mov_b32 s25, exec_lo
	s_delay_alu instid0(VALU_DEP_2) | instskip(NEXT) | instid1(VALU_DEP_1)
	v_and_b32_e32 v4, 0x7fffffff, v3
	v_cmpx_gt_u32_e32 0x47800000, v4
	s_cbranch_execz .LBB55_753
; %bb.748:
	v_cmp_lt_u32_e32 vcc_lo, 0x37ffffff, v4
	s_mov_b32 s26, 0
                                        ; implicit-def: $vgpr4
	s_and_saveexec_b32 s27, vcc_lo
	s_delay_alu instid0(SALU_CYCLE_1)
	s_xor_b32 s27, exec_lo, s27
	s_cbranch_execz .LBB55_919
; %bb.749:
	v_bfe_u32 v4, v3, 21, 1
	s_mov_b32 s26, exec_lo
	s_delay_alu instid0(VALU_DEP_1) | instskip(NEXT) | instid1(VALU_DEP_1)
	v_add3_u32 v4, v3, v4, 0x88fffff
	v_lshrrev_b32_e32 v4, 21, v4
	s_and_not1_saveexec_b32 s27, s27
	s_cbranch_execnz .LBB55_920
.LBB55_750:
	s_or_b32 exec_lo, exec_lo, s27
	v_mov_b32_e32 v5, 0
	s_and_saveexec_b32 s27, s26
.LBB55_751:
	v_lshrrev_b32_e32 v3, 24, v3
	s_delay_alu instid0(VALU_DEP_1)
	v_and_or_b32 v5, 0x80, v3, v4
.LBB55_752:
	s_or_b32 exec_lo, exec_lo, s27
.LBB55_753:
	s_delay_alu instid0(SALU_CYCLE_1)
	s_or_b32 exec_lo, exec_lo, s25
	s_mov_b32 s25, 0
	global_store_b8 v[0:1], v5, off
.LBB55_754:
	s_and_b32 vcc_lo, exec_lo, s25
	s_cbranch_vccz .LBB55_764
; %bb.755:
	s_wait_xcnt 0x0
	v_cvt_f32_f16_e32 v3, v2
	s_mov_b32 s25, exec_lo
                                        ; implicit-def: $vgpr4
	s_delay_alu instid0(VALU_DEP_1) | instskip(NEXT) | instid1(VALU_DEP_1)
	v_and_b32_e32 v5, 0x7fffffff, v3
	v_cmpx_gt_u32_e32 0x43f00000, v5
	s_xor_b32 s25, exec_lo, s25
	s_cbranch_execz .LBB55_761
; %bb.756:
	s_mov_b32 s26, exec_lo
                                        ; implicit-def: $vgpr4
	v_cmpx_lt_u32_e32 0x3c7fffff, v5
	s_xor_b32 s26, exec_lo, s26
; %bb.757:
	v_bfe_u32 v4, v3, 20, 1
	s_delay_alu instid0(VALU_DEP_1) | instskip(NEXT) | instid1(VALU_DEP_1)
	v_add3_u32 v4, v3, v4, 0x407ffff
	v_and_b32_e32 v5, 0xff00000, v4
	v_lshrrev_b32_e32 v4, 20, v4
	s_delay_alu instid0(VALU_DEP_2) | instskip(NEXT) | instid1(VALU_DEP_2)
	v_cmp_ne_u32_e32 vcc_lo, 0x7f00000, v5
	v_cndmask_b32_e32 v4, 0x7e, v4, vcc_lo
; %bb.758:
	s_and_not1_saveexec_b32 s26, s26
; %bb.759:
	v_add_f32_e64 v4, 0x46800000, |v3|
; %bb.760:
	s_or_b32 exec_lo, exec_lo, s26
                                        ; implicit-def: $vgpr5
.LBB55_761:
	s_and_not1_saveexec_b32 s25, s25
; %bb.762:
	v_mov_b32_e32 v4, 0x7f
	v_cmp_lt_u32_e32 vcc_lo, 0x7f800000, v5
	s_delay_alu instid0(VALU_DEP_2)
	v_cndmask_b32_e32 v4, 0x7e, v4, vcc_lo
; %bb.763:
	s_or_b32 exec_lo, exec_lo, s25
	v_lshrrev_b32_e32 v3, 24, v3
	s_delay_alu instid0(VALU_DEP_1)
	v_and_or_b32 v3, 0x80, v3, v4
	global_store_b8 v[0:1], v3, off
.LBB55_764:
	s_mov_b32 s25, 0
.LBB55_765:
	s_delay_alu instid0(SALU_CYCLE_1)
	s_and_not1_b32 vcc_lo, exec_lo, s25
	s_cbranch_vccnz .LBB55_775
; %bb.766:
	s_wait_xcnt 0x0
	v_cvt_f32_f16_e32 v3, v2
	s_mov_b32 s25, exec_lo
                                        ; implicit-def: $vgpr4
	s_delay_alu instid0(VALU_DEP_1) | instskip(NEXT) | instid1(VALU_DEP_1)
	v_and_b32_e32 v5, 0x7fffffff, v3
	v_cmpx_gt_u32_e32 0x47800000, v5
	s_xor_b32 s25, exec_lo, s25
	s_cbranch_execz .LBB55_772
; %bb.767:
	s_mov_b32 s26, exec_lo
                                        ; implicit-def: $vgpr4
	v_cmpx_lt_u32_e32 0x387fffff, v5
	s_xor_b32 s26, exec_lo, s26
; %bb.768:
	v_bfe_u32 v4, v3, 21, 1
	s_delay_alu instid0(VALU_DEP_1) | instskip(NEXT) | instid1(VALU_DEP_1)
	v_add3_u32 v4, v3, v4, 0x80fffff
	v_lshrrev_b32_e32 v4, 21, v4
; %bb.769:
	s_and_not1_saveexec_b32 s26, s26
; %bb.770:
	v_add_f32_e64 v4, 0x43000000, |v3|
; %bb.771:
	s_or_b32 exec_lo, exec_lo, s26
                                        ; implicit-def: $vgpr5
.LBB55_772:
	s_and_not1_saveexec_b32 s25, s25
; %bb.773:
	v_mov_b32_e32 v4, 0x7f
	v_cmp_lt_u32_e32 vcc_lo, 0x7f800000, v5
	s_delay_alu instid0(VALU_DEP_2)
	v_cndmask_b32_e32 v4, 0x7c, v4, vcc_lo
; %bb.774:
	s_or_b32 exec_lo, exec_lo, s25
	v_lshrrev_b32_e32 v3, 24, v3
	s_delay_alu instid0(VALU_DEP_1)
	v_and_or_b32 v3, 0x80, v3, v4
	global_store_b8 v[0:1], v3, off
.LBB55_775:
	s_mov_b32 s26, 0
	s_mov_b32 s25, -1
.LBB55_776:
	s_and_not1_b32 vcc_lo, exec_lo, s26
	s_cbranch_vccnz .LBB55_784
; %bb.777:
	s_cmp_gt_i32 s24, 14
	s_mov_b32 s26, -1
	s_cbranch_scc0 .LBB55_781
; %bb.778:
	s_cmp_eq_u32 s24, 15
	s_mov_b32 s0, -1
	s_cbranch_scc0 .LBB55_780
; %bb.779:
	s_wait_xcnt 0x0
	v_cvt_f32_f16_e32 v3, v2
	v_cmp_o_f16_e32 vcc_lo, v2, v2
	s_mov_b32 s25, -1
	s_mov_b32 s0, 0
	s_delay_alu instid0(VALU_DEP_2) | instskip(NEXT) | instid1(VALU_DEP_1)
	v_bfe_u32 v4, v3, 16, 1
	v_add3_u32 v3, v3, v4, 0x7fff
	s_delay_alu instid0(VALU_DEP_1) | instskip(NEXT) | instid1(VALU_DEP_1)
	v_lshrrev_b32_e32 v3, 16, v3
	v_cndmask_b32_e32 v3, 0x7fc0, v3, vcc_lo
	global_store_b16 v[0:1], v3, off
.LBB55_780:
	s_mov_b32 s26, 0
.LBB55_781:
	s_delay_alu instid0(SALU_CYCLE_1)
	s_and_b32 vcc_lo, exec_lo, s26
	s_cbranch_vccz .LBB55_784
; %bb.782:
	s_cmp_eq_u32 s24, 11
	s_mov_b32 s0, -1
	s_cbranch_scc0 .LBB55_784
; %bb.783:
	s_wait_xcnt 0x0
	v_and_b32_e32 v3, 0x7fff, v2
	s_mov_b32 s0, 0
	s_mov_b32 s25, -1
	s_delay_alu instid0(VALU_DEP_1)
	v_cmp_ne_u16_e32 vcc_lo, 0, v3
	v_cndmask_b32_e64 v3, 0, 1, vcc_lo
	global_store_b8 v[0:1], v3, off
.LBB55_784:
.LBB55_785:
	s_and_not1_b32 vcc_lo, exec_lo, s25
	s_cbranch_vccnz .LBB55_695
.LBB55_786:
	v_add_nc_u32_e32 v6, 0x80, v6
	s_mov_b32 s24, -1
	s_branch .LBB55_697
.LBB55_787:
	s_mov_b32 s25, -1
	s_mov_b32 s27, 0
.LBB55_788:
                                        ; implicit-def: $vgpr2
.LBB55_789:
	s_and_b32 vcc_lo, exec_lo, s28
	s_cbranch_vccz .LBB55_795
; %bb.790:
	s_cmp_eq_u32 s26, 44
	s_cbranch_scc0 .LBB55_794
; %bb.791:
	s_wait_loadcnt 0x0
	global_load_u8 v2, v[0:1], off
	s_mov_b32 s25, 0
	s_mov_b32 s27, -1
	s_wait_loadcnt 0x0
	v_lshlrev_b32_e32 v3, 23, v2
	v_cmp_ne_u32_e32 vcc_lo, 0xff, v2
	s_delay_alu instid0(VALU_DEP_2) | instskip(NEXT) | instid1(VALU_DEP_1)
	v_cvt_f16_f32_e32 v3, v3
	v_cndmask_b32_e32 v3, 0x7e00, v3, vcc_lo
	v_cmp_ne_u32_e32 vcc_lo, 0, v2
	s_delay_alu instid0(VALU_DEP_2)
	v_cndmask_b32_e32 v2, 0, v3, vcc_lo
	s_branch .LBB55_795
.LBB55_792:
	s_and_not1_saveexec_b32 s27, s27
	s_cbranch_execz .LBB55_737
.LBB55_793:
	v_add_f32_e64 v4, 0x46000000, |v3|
	s_and_not1_b32 s26, s26, exec_lo
	s_delay_alu instid0(VALU_DEP_1) | instskip(NEXT) | instid1(VALU_DEP_1)
	v_and_b32_e32 v4, 0xff, v4
	v_cmp_ne_u32_e32 vcc_lo, 0, v4
	s_and_b32 s28, vcc_lo, exec_lo
	s_delay_alu instid0(SALU_CYCLE_1)
	s_or_b32 s26, s26, s28
	s_or_b32 exec_lo, exec_lo, s27
	v_mov_b32_e32 v5, 0
	s_and_saveexec_b32 s27, s26
	s_cbranch_execnz .LBB55_738
	s_branch .LBB55_739
.LBB55_794:
	s_mov_b32 s25, -1
                                        ; implicit-def: $vgpr2
.LBB55_795:
	s_mov_b32 s28, 0
.LBB55_796:
	s_delay_alu instid0(SALU_CYCLE_1)
	s_and_b32 vcc_lo, exec_lo, s28
	s_cbranch_vccz .LBB55_800
; %bb.797:
	s_cmp_eq_u32 s26, 29
	s_cbranch_scc0 .LBB55_799
; %bb.798:
	s_wait_loadcnt 0x0
	global_load_b64 v[2:3], v[0:1], off
	s_mov_b32 s27, -1
	s_mov_b32 s25, 0
	s_mov_b32 s28, 0
	s_wait_loadcnt 0x0
	v_clz_i32_u32_e32 v4, v3
	s_delay_alu instid0(VALU_DEP_1) | instskip(NEXT) | instid1(VALU_DEP_1)
	v_min_u32_e32 v4, 32, v4
	v_lshlrev_b64_e32 v[2:3], v4, v[2:3]
	s_delay_alu instid0(VALU_DEP_1) | instskip(NEXT) | instid1(VALU_DEP_1)
	v_min_u32_e32 v2, 1, v2
	v_dual_sub_nc_u32 v3, 32, v4 :: v_dual_bitop2_b32 v2, v3, v2 bitop3:0x54
	s_delay_alu instid0(VALU_DEP_1) | instskip(NEXT) | instid1(VALU_DEP_1)
	v_cvt_f32_u32_e32 v2, v2
	v_ldexp_f32 v2, v2, v3
	s_delay_alu instid0(VALU_DEP_1)
	v_cvt_f16_f32_e32 v2, v2
	s_branch .LBB55_801
.LBB55_799:
	s_mov_b32 s25, -1
                                        ; implicit-def: $vgpr2
.LBB55_800:
	s_mov_b32 s28, 0
.LBB55_801:
	s_delay_alu instid0(SALU_CYCLE_1)
	s_and_b32 vcc_lo, exec_lo, s28
	s_cbranch_vccz .LBB55_819
; %bb.802:
	s_cmp_lt_i32 s26, 27
	s_cbranch_scc1 .LBB55_805
; %bb.803:
	s_cmp_gt_i32 s26, 27
	s_cbranch_scc0 .LBB55_806
; %bb.804:
	s_wait_loadcnt 0x0
	global_load_b32 v2, v[0:1], off
	s_mov_b32 s27, 0
	s_wait_loadcnt 0x0
	v_cvt_f32_u32_e32 v2, v2
	s_delay_alu instid0(VALU_DEP_1)
	v_cvt_f16_f32_e32 v2, v2
	s_branch .LBB55_807
.LBB55_805:
	s_mov_b32 s27, -1
                                        ; implicit-def: $vgpr2
	s_branch .LBB55_810
.LBB55_806:
	s_mov_b32 s27, -1
                                        ; implicit-def: $vgpr2
.LBB55_807:
	s_delay_alu instid0(SALU_CYCLE_1)
	s_and_not1_b32 vcc_lo, exec_lo, s27
	s_cbranch_vccnz .LBB55_809
; %bb.808:
	s_wait_loadcnt 0x0
	global_load_u16 v2, v[0:1], off
	s_wait_loadcnt 0x0
	v_cvt_f16_u16_e32 v2, v2
.LBB55_809:
	s_mov_b32 s27, 0
.LBB55_810:
	s_delay_alu instid0(SALU_CYCLE_1)
	s_and_not1_b32 vcc_lo, exec_lo, s27
	s_cbranch_vccnz .LBB55_818
; %bb.811:
	s_wait_loadcnt 0x0
	global_load_u8 v3, v[0:1], off
	s_mov_b32 s27, 0
	s_mov_b32 s28, exec_lo
	s_wait_loadcnt 0x0
	v_cmpx_lt_i16_e32 0x7f, v3
	s_xor_b32 s28, exec_lo, s28
	s_cbranch_execz .LBB55_832
; %bb.812:
	s_mov_b32 s27, -1
	s_mov_b32 s29, exec_lo
	v_cmpx_eq_u16_e32 0x80, v3
; %bb.813:
	s_xor_b32 s27, exec_lo, -1
; %bb.814:
	s_or_b32 exec_lo, exec_lo, s29
	s_delay_alu instid0(SALU_CYCLE_1)
	s_and_b32 s27, s27, exec_lo
	s_or_saveexec_b32 s28, s28
	v_mov_b32_e32 v2, 0x7e00
	s_xor_b32 exec_lo, exec_lo, s28
	s_cbranch_execnz .LBB55_833
.LBB55_815:
	s_or_b32 exec_lo, exec_lo, s28
	s_and_saveexec_b32 s28, s27
	s_cbranch_execz .LBB55_817
.LBB55_816:
	v_and_b32_e32 v2, 0xffff, v3
	s_delay_alu instid0(VALU_DEP_1) | instskip(SKIP_1) | instid1(VALU_DEP_2)
	v_and_b32_e32 v4, 7, v2
	v_bfe_u32 v8, v2, 3, 4
	v_clz_i32_u32_e32 v5, v4
	s_delay_alu instid0(VALU_DEP_2) | instskip(NEXT) | instid1(VALU_DEP_2)
	v_cmp_eq_u32_e32 vcc_lo, 0, v8
	v_min_u32_e32 v5, 32, v5
	s_delay_alu instid0(VALU_DEP_1) | instskip(NEXT) | instid1(VALU_DEP_1)
	v_subrev_nc_u32_e32 v7, 28, v5
	v_dual_lshlrev_b32 v2, v7, v2 :: v_dual_sub_nc_u32 v5, 29, v5
	s_delay_alu instid0(VALU_DEP_1) | instskip(NEXT) | instid1(VALU_DEP_2)
	v_dual_lshlrev_b32 v3, 24, v3 :: v_dual_bitop2_b32 v2, 7, v2 bitop3:0x40
	v_cndmask_b32_e32 v5, v8, v5, vcc_lo
	s_delay_alu instid0(VALU_DEP_2) | instskip(NEXT) | instid1(VALU_DEP_3)
	v_cndmask_b32_e32 v2, v4, v2, vcc_lo
	v_and_b32_e32 v3, 0x80000000, v3
	s_delay_alu instid0(VALU_DEP_3) | instskip(NEXT) | instid1(VALU_DEP_3)
	v_lshl_add_u32 v4, v5, 23, 0x3b800000
	v_lshlrev_b32_e32 v2, 20, v2
	s_delay_alu instid0(VALU_DEP_1) | instskip(NEXT) | instid1(VALU_DEP_1)
	v_or3_b32 v2, v3, v4, v2
	v_cvt_f16_f32_e32 v2, v2
.LBB55_817:
	s_or_b32 exec_lo, exec_lo, s28
.LBB55_818:
	s_mov_b32 s27, -1
.LBB55_819:
	s_mov_b32 s28, 0
.LBB55_820:
	s_delay_alu instid0(SALU_CYCLE_1)
	s_and_b32 vcc_lo, exec_lo, s28
	s_cbranch_vccz .LBB55_855
; %bb.821:
	s_cmp_gt_i32 s26, 22
	s_cbranch_scc0 .LBB55_831
; %bb.822:
	s_cmp_lt_i32 s26, 24
	s_cbranch_scc1 .LBB55_834
; %bb.823:
	s_cmp_gt_i32 s26, 24
	s_cbranch_scc0 .LBB55_835
; %bb.824:
	s_wait_loadcnt 0x0
	global_load_u8 v3, v[0:1], off
	s_mov_b32 s27, 0
	s_mov_b32 s28, exec_lo
	s_wait_loadcnt 0x0
	v_cmpx_lt_i16_e32 0x7f, v3
	s_xor_b32 s28, exec_lo, s28
	s_cbranch_execz .LBB55_847
; %bb.825:
	s_mov_b32 s27, -1
	s_mov_b32 s29, exec_lo
	v_cmpx_eq_u16_e32 0x80, v3
; %bb.826:
	s_xor_b32 s27, exec_lo, -1
; %bb.827:
	s_or_b32 exec_lo, exec_lo, s29
	s_delay_alu instid0(SALU_CYCLE_1)
	s_and_b32 s27, s27, exec_lo
	s_or_saveexec_b32 s28, s28
	v_mov_b32_e32 v2, 0x7e00
	s_xor_b32 exec_lo, exec_lo, s28
	s_cbranch_execnz .LBB55_848
.LBB55_828:
	s_or_b32 exec_lo, exec_lo, s28
	s_and_saveexec_b32 s28, s27
	s_cbranch_execz .LBB55_830
.LBB55_829:
	v_and_b32_e32 v2, 0xffff, v3
	s_delay_alu instid0(VALU_DEP_1) | instskip(SKIP_1) | instid1(VALU_DEP_2)
	v_and_b32_e32 v4, 3, v2
	v_bfe_u32 v8, v2, 2, 5
	v_clz_i32_u32_e32 v5, v4
	s_delay_alu instid0(VALU_DEP_2) | instskip(NEXT) | instid1(VALU_DEP_2)
	v_cmp_eq_u32_e32 vcc_lo, 0, v8
	v_min_u32_e32 v5, 32, v5
	s_delay_alu instid0(VALU_DEP_1) | instskip(NEXT) | instid1(VALU_DEP_1)
	v_subrev_nc_u32_e32 v7, 29, v5
	v_dual_lshlrev_b32 v2, v7, v2 :: v_dual_sub_nc_u32 v5, 30, v5
	s_delay_alu instid0(VALU_DEP_1) | instskip(NEXT) | instid1(VALU_DEP_2)
	v_dual_lshlrev_b32 v3, 24, v3 :: v_dual_bitop2_b32 v2, 3, v2 bitop3:0x40
	v_cndmask_b32_e32 v5, v8, v5, vcc_lo
	s_delay_alu instid0(VALU_DEP_2) | instskip(NEXT) | instid1(VALU_DEP_3)
	v_cndmask_b32_e32 v2, v4, v2, vcc_lo
	v_and_b32_e32 v3, 0x80000000, v3
	s_delay_alu instid0(VALU_DEP_3) | instskip(NEXT) | instid1(VALU_DEP_3)
	v_lshl_add_u32 v4, v5, 23, 0x37800000
	v_lshlrev_b32_e32 v2, 21, v2
	s_delay_alu instid0(VALU_DEP_1) | instskip(NEXT) | instid1(VALU_DEP_1)
	v_or3_b32 v2, v3, v4, v2
	v_cvt_f16_f32_e32 v2, v2
.LBB55_830:
	s_or_b32 exec_lo, exec_lo, s28
	s_mov_b32 s27, 0
	s_branch .LBB55_836
.LBB55_831:
	s_mov_b32 s28, -1
                                        ; implicit-def: $vgpr2
	s_branch .LBB55_842
.LBB55_832:
	s_or_saveexec_b32 s28, s28
	v_mov_b32_e32 v2, 0x7e00
	s_xor_b32 exec_lo, exec_lo, s28
	s_cbranch_execz .LBB55_815
.LBB55_833:
	v_cmp_ne_u16_e32 vcc_lo, 0, v3
	v_mov_b32_e32 v2, v3
	s_and_not1_b32 s27, s27, exec_lo
	s_and_b32 s29, vcc_lo, exec_lo
	s_delay_alu instid0(SALU_CYCLE_1)
	s_or_b32 s27, s27, s29
	s_or_b32 exec_lo, exec_lo, s28
	s_and_saveexec_b32 s28, s27
	s_cbranch_execnz .LBB55_816
	s_branch .LBB55_817
.LBB55_834:
	s_mov_b32 s27, -1
                                        ; implicit-def: $vgpr2
	s_branch .LBB55_839
.LBB55_835:
	s_mov_b32 s27, -1
                                        ; implicit-def: $vgpr2
.LBB55_836:
	s_delay_alu instid0(SALU_CYCLE_1)
	s_and_b32 vcc_lo, exec_lo, s27
	s_cbranch_vccz .LBB55_838
; %bb.837:
	s_wait_loadcnt 0x0
	global_load_u8 v2, v[0:1], off
	s_wait_loadcnt 0x0
	v_lshlrev_b32_e32 v2, 24, v2
	s_delay_alu instid0(VALU_DEP_1) | instskip(NEXT) | instid1(VALU_DEP_1)
	v_and_b32_e32 v3, 0x7f000000, v2
	v_clz_i32_u32_e32 v4, v3
	v_add_nc_u32_e32 v7, 0x1000000, v3
	v_cmp_ne_u32_e32 vcc_lo, 0, v3
	s_delay_alu instid0(VALU_DEP_3) | instskip(NEXT) | instid1(VALU_DEP_1)
	v_min_u32_e32 v4, 32, v4
	v_sub_nc_u32_e64 v4, v4, 4 clamp
	s_delay_alu instid0(VALU_DEP_1) | instskip(NEXT) | instid1(VALU_DEP_1)
	v_dual_lshlrev_b32 v5, v4, v3 :: v_dual_lshlrev_b32 v4, 23, v4
	v_lshrrev_b32_e32 v5, 4, v5
	s_delay_alu instid0(VALU_DEP_1) | instskip(NEXT) | instid1(VALU_DEP_1)
	v_dual_sub_nc_u32 v4, v5, v4 :: v_dual_ashrrev_i32 v5, 8, v7
	v_add_nc_u32_e32 v4, 0x3c000000, v4
	s_delay_alu instid0(VALU_DEP_1) | instskip(NEXT) | instid1(VALU_DEP_1)
	v_and_or_b32 v4, 0x7f800000, v5, v4
	v_cndmask_b32_e32 v3, 0, v4, vcc_lo
	s_delay_alu instid0(VALU_DEP_1) | instskip(NEXT) | instid1(VALU_DEP_1)
	v_and_or_b32 v2, 0x80000000, v2, v3
	v_cvt_f16_f32_e32 v2, v2
.LBB55_838:
	s_mov_b32 s27, 0
.LBB55_839:
	s_delay_alu instid0(SALU_CYCLE_1)
	s_and_not1_b32 vcc_lo, exec_lo, s27
	s_cbranch_vccnz .LBB55_841
; %bb.840:
	s_wait_loadcnt 0x0
	global_load_u8 v2, v[0:1], off
	s_wait_loadcnt 0x0
	v_lshlrev_b32_e32 v3, 25, v2
	v_lshlrev_b16 v2, 8, v2
	s_delay_alu instid0(VALU_DEP_1) | instskip(SKIP_1) | instid1(VALU_DEP_2)
	v_and_or_b32 v5, 0x7f00, v2, 0.5
	v_bfe_i32 v2, v2, 0, 16
	v_dual_add_f32 v5, -0.5, v5 :: v_dual_lshrrev_b32 v4, 4, v3
	v_cmp_gt_u32_e32 vcc_lo, 0x8000000, v3
	s_delay_alu instid0(VALU_DEP_2) | instskip(NEXT) | instid1(VALU_DEP_1)
	v_or_b32_e32 v4, 0x70000000, v4
	v_mul_f32_e32 v4, 0x7800000, v4
	s_delay_alu instid0(VALU_DEP_1) | instskip(NEXT) | instid1(VALU_DEP_1)
	v_cndmask_b32_e32 v3, v4, v5, vcc_lo
	v_and_or_b32 v2, 0x80000000, v2, v3
	s_delay_alu instid0(VALU_DEP_1)
	v_cvt_f16_f32_e32 v2, v2
.LBB55_841:
	s_mov_b32 s28, 0
	s_mov_b32 s27, -1
.LBB55_842:
	s_and_not1_b32 vcc_lo, exec_lo, s28
	s_cbranch_vccnz .LBB55_855
; %bb.843:
	s_cmp_gt_i32 s26, 14
	s_cbranch_scc0 .LBB55_846
; %bb.844:
	s_cmp_eq_u32 s26, 15
	s_cbranch_scc0 .LBB55_849
; %bb.845:
	s_wait_loadcnt 0x0
	global_load_u16 v2, v[0:1], off
	s_mov_b32 s27, -1
	s_mov_b32 s25, 0
	s_wait_loadcnt 0x0
	v_lshlrev_b32_e32 v2, 16, v2
	s_delay_alu instid0(VALU_DEP_1)
	v_cvt_f16_f32_e32 v2, v2
	s_branch .LBB55_850
.LBB55_846:
	s_mov_b32 s28, -1
                                        ; implicit-def: $vgpr2
	s_branch .LBB55_851
.LBB55_847:
	s_or_saveexec_b32 s28, s28
	v_mov_b32_e32 v2, 0x7e00
	s_xor_b32 exec_lo, exec_lo, s28
	s_cbranch_execz .LBB55_828
.LBB55_848:
	v_cmp_ne_u16_e32 vcc_lo, 0, v3
	v_mov_b32_e32 v2, v3
	s_and_not1_b32 s27, s27, exec_lo
	s_and_b32 s29, vcc_lo, exec_lo
	s_delay_alu instid0(SALU_CYCLE_1)
	s_or_b32 s27, s27, s29
	s_or_b32 exec_lo, exec_lo, s28
	s_and_saveexec_b32 s28, s27
	s_cbranch_execnz .LBB55_829
	s_branch .LBB55_830
.LBB55_849:
	s_mov_b32 s25, -1
                                        ; implicit-def: $vgpr2
.LBB55_850:
	s_mov_b32 s28, 0
.LBB55_851:
	s_delay_alu instid0(SALU_CYCLE_1)
	s_and_b32 vcc_lo, exec_lo, s28
	s_cbranch_vccz .LBB55_855
; %bb.852:
	s_cmp_eq_u32 s26, 11
	s_cbranch_scc0 .LBB55_854
; %bb.853:
	s_wait_loadcnt 0x0
	global_load_u8 v2, v[0:1], off
	s_mov_b32 s25, 0
	s_mov_b32 s27, -1
	s_wait_loadcnt 0x0
	v_cmp_ne_u16_e32 vcc_lo, 0, v2
	v_cndmask_b32_e64 v2, 0, 0x3c00, vcc_lo
	s_branch .LBB55_855
.LBB55_854:
	s_mov_b32 s25, -1
                                        ; implicit-def: $vgpr2
.LBB55_855:
	s_mov_b32 s26, 0
.LBB55_856:
	s_delay_alu instid0(SALU_CYCLE_1)
	s_and_b32 vcc_lo, exec_lo, s26
	s_cbranch_vccz .LBB55_905
; %bb.857:
	s_and_b32 s0, 0xffff, s0
	s_delay_alu instid0(SALU_CYCLE_1)
	s_cmp_lt_i32 s0, 5
	s_cbranch_scc1 .LBB55_862
; %bb.858:
	s_cmp_lt_i32 s0, 8
	s_cbranch_scc1 .LBB55_863
; %bb.859:
	;; [unrolled: 3-line block ×3, first 2 shown]
	s_cmp_gt_i32 s0, 9
	s_cbranch_scc0 .LBB55_865
; %bb.861:
	s_wait_loadcnt 0x0
	global_load_b64 v[2:3], v[0:1], off
	s_mov_b32 s26, 0
	s_wait_loadcnt 0x0
	v_and_or_b32 v2, 0x1ff, v3, v2
	v_lshrrev_b32_e32 v4, 8, v3
	v_bfe_u32 v5, v3, 20, 11
	v_lshrrev_b32_e32 v3, 16, v3
	s_delay_alu instid0(VALU_DEP_4) | instskip(NEXT) | instid1(VALU_DEP_3)
	v_cmp_ne_u32_e32 vcc_lo, 0, v2
	v_sub_nc_u32_e32 v7, 0x3f1, v5
	v_add_nc_u32_e32 v5, 0xfffffc10, v5
	v_cndmask_b32_e64 v2, 0, 1, vcc_lo
	s_delay_alu instid0(VALU_DEP_1) | instskip(NEXT) | instid1(VALU_DEP_4)
	v_and_or_b32 v2, 0xffe, v4, v2
	v_med3_i32 v4, v7, 0, 13
	s_delay_alu instid0(VALU_DEP_2) | instskip(NEXT) | instid1(VALU_DEP_1)
	v_or_b32_e32 v7, 0x1000, v2
	v_lshrrev_b32_e32 v8, v4, v7
	s_delay_alu instid0(VALU_DEP_1) | instskip(NEXT) | instid1(VALU_DEP_1)
	v_lshlrev_b32_e32 v4, v4, v8
	v_cmp_ne_u32_e32 vcc_lo, v4, v7
	v_lshl_or_b32 v7, v5, 12, v2
	v_cndmask_b32_e64 v4, 0, 1, vcc_lo
	v_cmp_gt_i32_e32 vcc_lo, 1, v5
	s_delay_alu instid0(VALU_DEP_2) | instskip(NEXT) | instid1(VALU_DEP_1)
	v_or_b32_e32 v4, v8, v4
	v_cndmask_b32_e32 v4, v7, v4, vcc_lo
	s_delay_alu instid0(VALU_DEP_1) | instskip(NEXT) | instid1(VALU_DEP_1)
	v_dual_lshrrev_b32 v4, 2, v4 :: v_dual_bitop2_b32 v7, 7, v4 bitop3:0x40
	v_cmp_lt_i32_e32 vcc_lo, 5, v7
	v_cndmask_b32_e64 v8, 0, 1, vcc_lo
	v_cmp_eq_u32_e32 vcc_lo, 3, v7
	v_cndmask_b32_e64 v7, 0, 1, vcc_lo
	v_cmp_ne_u32_e32 vcc_lo, 0, v2
	s_delay_alu instid0(VALU_DEP_2) | instskip(SKIP_1) | instid1(VALU_DEP_2)
	v_or_b32_e32 v7, v7, v8
	v_mov_b32_e32 v8, 0x7e00
	v_add_nc_u32_e32 v4, v4, v7
	s_delay_alu instid0(VALU_DEP_2) | instskip(SKIP_1) | instid1(VALU_DEP_3)
	v_cndmask_b32_e32 v2, 0x7c00, v8, vcc_lo
	v_cmp_gt_i32_e32 vcc_lo, 31, v5
	v_cndmask_b32_e32 v4, 0x7c00, v4, vcc_lo
	v_cmp_eq_u32_e32 vcc_lo, 0x40f, v5
	s_delay_alu instid0(VALU_DEP_2) | instskip(NEXT) | instid1(VALU_DEP_1)
	v_cndmask_b32_e32 v2, v4, v2, vcc_lo
	v_and_or_b32 v2, 0x8000, v3, v2
	s_branch .LBB55_866
.LBB55_862:
	s_mov_b32 s26, -1
                                        ; implicit-def: $vgpr2
	s_branch .LBB55_884
.LBB55_863:
	s_mov_b32 s26, -1
                                        ; implicit-def: $vgpr2
	s_branch .LBB55_872
.LBB55_864:
	s_mov_b32 s26, -1
                                        ; implicit-def: $vgpr2
	s_branch .LBB55_869
.LBB55_865:
	s_mov_b32 s26, -1
                                        ; implicit-def: $vgpr2
.LBB55_866:
	s_delay_alu instid0(SALU_CYCLE_1)
	s_and_not1_b32 vcc_lo, exec_lo, s26
	s_cbranch_vccnz .LBB55_868
; %bb.867:
	s_wait_loadcnt 0x0
	global_load_b32 v2, v[0:1], off
	s_wait_loadcnt 0x0
	v_cvt_f16_f32_e32 v2, v2
.LBB55_868:
	s_mov_b32 s26, 0
.LBB55_869:
	s_delay_alu instid0(SALU_CYCLE_1)
	s_and_not1_b32 vcc_lo, exec_lo, s26
	s_cbranch_vccnz .LBB55_871
; %bb.870:
	s_wait_loadcnt 0x0
	global_load_b32 v2, v[0:1], off
.LBB55_871:
	s_mov_b32 s26, 0
.LBB55_872:
	s_delay_alu instid0(SALU_CYCLE_1)
	s_and_not1_b32 vcc_lo, exec_lo, s26
	s_cbranch_vccnz .LBB55_883
; %bb.873:
	s_cmp_lt_i32 s0, 6
	s_cbranch_scc1 .LBB55_876
; %bb.874:
	s_cmp_gt_i32 s0, 6
	s_cbranch_scc0 .LBB55_877
; %bb.875:
	s_wait_loadcnt 0x0
	global_load_b64 v[2:3], v[0:1], off
	s_mov_b32 s26, 0
	s_wait_loadcnt 0x0
	v_and_or_b32 v2, 0x1ff, v3, v2
	v_lshrrev_b32_e32 v4, 8, v3
	v_bfe_u32 v5, v3, 20, 11
	v_lshrrev_b32_e32 v3, 16, v3
	s_delay_alu instid0(VALU_DEP_4) | instskip(NEXT) | instid1(VALU_DEP_3)
	v_cmp_ne_u32_e32 vcc_lo, 0, v2
	v_sub_nc_u32_e32 v7, 0x3f1, v5
	v_add_nc_u32_e32 v5, 0xfffffc10, v5
	v_cndmask_b32_e64 v2, 0, 1, vcc_lo
	s_delay_alu instid0(VALU_DEP_1) | instskip(NEXT) | instid1(VALU_DEP_4)
	v_and_or_b32 v2, 0xffe, v4, v2
	v_med3_i32 v4, v7, 0, 13
	s_delay_alu instid0(VALU_DEP_2) | instskip(NEXT) | instid1(VALU_DEP_1)
	v_or_b32_e32 v7, 0x1000, v2
	v_lshrrev_b32_e32 v8, v4, v7
	s_delay_alu instid0(VALU_DEP_1) | instskip(NEXT) | instid1(VALU_DEP_1)
	v_lshlrev_b32_e32 v4, v4, v8
	v_cmp_ne_u32_e32 vcc_lo, v4, v7
	v_lshl_or_b32 v7, v5, 12, v2
	v_cndmask_b32_e64 v4, 0, 1, vcc_lo
	v_cmp_gt_i32_e32 vcc_lo, 1, v5
	s_delay_alu instid0(VALU_DEP_2) | instskip(NEXT) | instid1(VALU_DEP_1)
	v_or_b32_e32 v4, v8, v4
	v_cndmask_b32_e32 v4, v7, v4, vcc_lo
	s_delay_alu instid0(VALU_DEP_1) | instskip(NEXT) | instid1(VALU_DEP_1)
	v_dual_lshrrev_b32 v4, 2, v4 :: v_dual_bitop2_b32 v7, 7, v4 bitop3:0x40
	v_cmp_lt_i32_e32 vcc_lo, 5, v7
	v_cndmask_b32_e64 v8, 0, 1, vcc_lo
	v_cmp_eq_u32_e32 vcc_lo, 3, v7
	v_cndmask_b32_e64 v7, 0, 1, vcc_lo
	v_cmp_ne_u32_e32 vcc_lo, 0, v2
	s_delay_alu instid0(VALU_DEP_2) | instskip(SKIP_1) | instid1(VALU_DEP_2)
	v_or_b32_e32 v7, v7, v8
	v_mov_b32_e32 v8, 0x7e00
	v_add_nc_u32_e32 v4, v4, v7
	s_delay_alu instid0(VALU_DEP_2) | instskip(SKIP_1) | instid1(VALU_DEP_3)
	v_cndmask_b32_e32 v2, 0x7c00, v8, vcc_lo
	v_cmp_gt_i32_e32 vcc_lo, 31, v5
	v_cndmask_b32_e32 v4, 0x7c00, v4, vcc_lo
	v_cmp_eq_u32_e32 vcc_lo, 0x40f, v5
	s_delay_alu instid0(VALU_DEP_2) | instskip(NEXT) | instid1(VALU_DEP_1)
	v_cndmask_b32_e32 v2, v4, v2, vcc_lo
	v_and_or_b32 v2, 0x8000, v3, v2
	s_branch .LBB55_878
.LBB55_876:
	s_mov_b32 s26, -1
                                        ; implicit-def: $vgpr2
	s_branch .LBB55_881
.LBB55_877:
	s_mov_b32 s26, -1
                                        ; implicit-def: $vgpr2
.LBB55_878:
	s_delay_alu instid0(SALU_CYCLE_1)
	s_and_not1_b32 vcc_lo, exec_lo, s26
	s_cbranch_vccnz .LBB55_880
; %bb.879:
	s_wait_loadcnt 0x0
	global_load_b32 v2, v[0:1], off
	s_wait_loadcnt 0x0
	v_cvt_f16_f32_e32 v2, v2
.LBB55_880:
	s_mov_b32 s26, 0
.LBB55_881:
	s_delay_alu instid0(SALU_CYCLE_1)
	s_and_not1_b32 vcc_lo, exec_lo, s26
	s_cbranch_vccnz .LBB55_883
; %bb.882:
	s_wait_loadcnt 0x0
	global_load_u16 v2, v[0:1], off
.LBB55_883:
	s_mov_b32 s26, 0
.LBB55_884:
	s_delay_alu instid0(SALU_CYCLE_1)
	s_and_not1_b32 vcc_lo, exec_lo, s26
	s_cbranch_vccnz .LBB55_904
; %bb.885:
	s_cmp_lt_i32 s0, 2
	s_cbranch_scc1 .LBB55_889
; %bb.886:
	s_cmp_lt_i32 s0, 3
	s_cbranch_scc1 .LBB55_890
; %bb.887:
	s_cmp_gt_i32 s0, 3
	s_cbranch_scc0 .LBB55_891
; %bb.888:
	s_wait_loadcnt 0x0
	global_load_b64 v[2:3], v[0:1], off
	s_mov_b32 s26, 0
	s_wait_loadcnt 0x0
	v_xor_b32_e32 v4, v2, v3
	v_cls_i32_e32 v5, v3
	s_delay_alu instid0(VALU_DEP_2) | instskip(NEXT) | instid1(VALU_DEP_1)
	v_ashrrev_i32_e32 v4, 31, v4
	v_add_nc_u32_e32 v4, 32, v4
	s_delay_alu instid0(VALU_DEP_1) | instskip(NEXT) | instid1(VALU_DEP_1)
	v_add_min_u32_e64 v4, v5, -1, v4
	v_lshlrev_b64_e32 v[2:3], v4, v[2:3]
	s_delay_alu instid0(VALU_DEP_1) | instskip(NEXT) | instid1(VALU_DEP_1)
	v_min_u32_e32 v2, 1, v2
	v_dual_sub_nc_u32 v3, 32, v4 :: v_dual_bitop2_b32 v2, v3, v2 bitop3:0x54
	s_delay_alu instid0(VALU_DEP_1) | instskip(NEXT) | instid1(VALU_DEP_1)
	v_cvt_f32_i32_e32 v2, v2
	v_ldexp_f32 v2, v2, v3
	s_delay_alu instid0(VALU_DEP_1)
	v_cvt_f16_f32_e32 v2, v2
	s_branch .LBB55_892
.LBB55_889:
	s_mov_b32 s26, -1
                                        ; implicit-def: $vgpr2
	s_branch .LBB55_898
.LBB55_890:
	s_mov_b32 s26, -1
                                        ; implicit-def: $vgpr2
	s_branch .LBB55_895
.LBB55_891:
	s_mov_b32 s26, -1
                                        ; implicit-def: $vgpr2
.LBB55_892:
	s_delay_alu instid0(SALU_CYCLE_1)
	s_and_not1_b32 vcc_lo, exec_lo, s26
	s_cbranch_vccnz .LBB55_894
; %bb.893:
	s_wait_loadcnt 0x0
	global_load_b32 v2, v[0:1], off
	s_wait_loadcnt 0x0
	v_cvt_f32_i32_e32 v2, v2
	s_delay_alu instid0(VALU_DEP_1)
	v_cvt_f16_f32_e32 v2, v2
.LBB55_894:
	s_mov_b32 s26, 0
.LBB55_895:
	s_delay_alu instid0(SALU_CYCLE_1)
	s_and_not1_b32 vcc_lo, exec_lo, s26
	s_cbranch_vccnz .LBB55_897
; %bb.896:
	s_wait_loadcnt 0x0
	global_load_u16 v2, v[0:1], off
	s_wait_loadcnt 0x0
	v_cvt_f16_i16_e32 v2, v2
.LBB55_897:
	s_mov_b32 s26, 0
.LBB55_898:
	s_delay_alu instid0(SALU_CYCLE_1)
	s_and_not1_b32 vcc_lo, exec_lo, s26
	s_cbranch_vccnz .LBB55_904
; %bb.899:
	s_cmp_gt_i32 s0, 0
	s_mov_b32 s0, 0
	s_cbranch_scc0 .LBB55_901
; %bb.900:
	s_wait_loadcnt 0x0
	global_load_i8 v2, v[0:1], off
	s_wait_loadcnt 0x0
	v_cvt_f16_i16_e32 v2, v2
	s_branch .LBB55_902
.LBB55_901:
	s_mov_b32 s0, -1
                                        ; implicit-def: $vgpr2
.LBB55_902:
	s_delay_alu instid0(SALU_CYCLE_1)
	s_and_not1_b32 vcc_lo, exec_lo, s0
	s_cbranch_vccnz .LBB55_904
; %bb.903:
	global_load_u8 v0, v[0:1], off
	s_wait_loadcnt 0x0
	v_cvt_f16_u16_e32 v2, v0
.LBB55_904:
	s_mov_b32 s27, -1
.LBB55_905:
	s_delay_alu instid0(SALU_CYCLE_1)
	s_and_not1_b32 vcc_lo, exec_lo, s27
	s_cbranch_vccnz .LBB55_913
; %bb.906:
	s_wait_xcnt 0x0
	v_mul_lo_u32 v0, v6, s10
	s_and_b32 s0, s1, 0xff
	s_delay_alu instid0(SALU_CYCLE_1) | instskip(NEXT) | instid1(VALU_DEP_1)
	s_cmp_lt_i32 s0, 11
	v_ashrrev_i32_e32 v1, 31, v0
	s_delay_alu instid0(VALU_DEP_1)
	v_add_nc_u64_e32 v[0:1], s[2:3], v[0:1]
	s_cbranch_scc1 .LBB55_914
; %bb.907:
	s_and_b32 s27, 0xffff, s0
	s_delay_alu instid0(SALU_CYCLE_1)
	s_cmp_gt_i32 s27, 25
	s_cbranch_scc0 .LBB55_915
; %bb.908:
	s_cmp_gt_i32 s27, 28
	s_cbranch_scc0 .LBB55_916
; %bb.909:
	;; [unrolled: 3-line block ×4, first 2 shown]
	s_cmp_eq_u32 s27, 46
	s_mov_b32 s29, 0
	s_cbranch_scc0 .LBB55_921
; %bb.912:
	s_wait_loadcnt 0x0
	global_load_b32 v3, v[0:1], off
	s_mov_b32 s28, -1
	s_mov_b32 s26, 0
	s_wait_loadcnt 0x0
	v_lshlrev_b32_e32 v3, 16, v3
	s_delay_alu instid0(VALU_DEP_1)
	v_cvt_f16_f32_e32 v3, v3
	s_branch .LBB55_923
.LBB55_913:
	s_mov_b32 s28, 0
	s_mov_b32 s0, s21
	;; [unrolled: 1-line block ×3, first 2 shown]
	s_branch .LBB55_1086
.LBB55_914:
	s_mov_b32 s27, -1
	s_mov_b32 s28, 0
	s_mov_b32 s26, s22
                                        ; implicit-def: $vgpr3
	s_branch .LBB55_988
.LBB55_915:
	s_mov_b32 s29, -1
	s_mov_b32 s28, 0
	s_mov_b32 s26, s22
                                        ; implicit-def: $vgpr3
	s_branch .LBB55_952
.LBB55_916:
	s_mov_b32 s29, -1
	s_mov_b32 s28, 0
	s_mov_b32 s26, s22
                                        ; implicit-def: $vgpr3
	s_branch .LBB55_933
.LBB55_917:
	s_mov_b32 s29, -1
	s_mov_b32 s28, 0
	s_mov_b32 s26, s22
                                        ; implicit-def: $vgpr3
	s_branch .LBB55_928
.LBB55_918:
	s_mov_b32 s29, -1
	s_mov_b32 s28, 0
	s_mov_b32 s26, s22
	s_branch .LBB55_922
.LBB55_919:
	s_and_not1_saveexec_b32 s27, s27
	s_cbranch_execz .LBB55_750
.LBB55_920:
	v_add_f32_e64 v4, 0x42800000, |v3|
	s_and_not1_b32 s26, s26, exec_lo
	s_delay_alu instid0(VALU_DEP_1) | instskip(NEXT) | instid1(VALU_DEP_1)
	v_and_b32_e32 v4, 0xff, v4
	v_cmp_ne_u32_e32 vcc_lo, 0, v4
	s_and_b32 s28, vcc_lo, exec_lo
	s_delay_alu instid0(SALU_CYCLE_1)
	s_or_b32 s26, s26, s28
	s_or_b32 exec_lo, exec_lo, s27
	v_mov_b32_e32 v5, 0
	s_and_saveexec_b32 s27, s26
	s_cbranch_execnz .LBB55_751
	s_branch .LBB55_752
.LBB55_921:
	s_mov_b32 s26, -1
	s_mov_b32 s28, 0
.LBB55_922:
                                        ; implicit-def: $vgpr3
.LBB55_923:
	s_and_b32 vcc_lo, exec_lo, s29
	s_cbranch_vccz .LBB55_927
; %bb.924:
	s_cmp_eq_u32 s27, 44
	s_cbranch_scc0 .LBB55_926
; %bb.925:
	s_wait_loadcnt 0x0
	global_load_u8 v3, v[0:1], off
	s_mov_b32 s26, 0
	s_mov_b32 s28, -1
	s_wait_loadcnt 0x0
	v_lshlrev_b32_e32 v4, 23, v3
	v_cmp_ne_u32_e32 vcc_lo, 0xff, v3
	s_delay_alu instid0(VALU_DEP_2) | instskip(NEXT) | instid1(VALU_DEP_1)
	v_cvt_f16_f32_e32 v4, v4
	v_cndmask_b32_e32 v4, 0x7e00, v4, vcc_lo
	v_cmp_ne_u32_e32 vcc_lo, 0, v3
	s_delay_alu instid0(VALU_DEP_2)
	v_cndmask_b32_e32 v3, 0, v4, vcc_lo
	s_branch .LBB55_927
.LBB55_926:
	s_mov_b32 s26, -1
                                        ; implicit-def: $vgpr3
.LBB55_927:
	s_mov_b32 s29, 0
.LBB55_928:
	s_delay_alu instid0(SALU_CYCLE_1)
	s_and_b32 vcc_lo, exec_lo, s29
	s_cbranch_vccz .LBB55_932
; %bb.929:
	s_cmp_eq_u32 s27, 29
	s_cbranch_scc0 .LBB55_931
; %bb.930:
	global_load_b64 v[4:5], v[0:1], off
	s_mov_b32 s28, -1
	s_mov_b32 s26, 0
	s_mov_b32 s29, 0
	s_wait_loadcnt 0x0
	v_clz_i32_u32_e32 v3, v5
	s_delay_alu instid0(VALU_DEP_1) | instskip(NEXT) | instid1(VALU_DEP_1)
	v_min_u32_e32 v3, 32, v3
	v_lshlrev_b64_e32 v[4:5], v3, v[4:5]
	v_sub_nc_u32_e32 v3, 32, v3
	s_delay_alu instid0(VALU_DEP_2) | instskip(NEXT) | instid1(VALU_DEP_1)
	v_min_u32_e32 v4, 1, v4
	v_or_b32_e32 v4, v5, v4
	s_delay_alu instid0(VALU_DEP_1) | instskip(NEXT) | instid1(VALU_DEP_1)
	v_cvt_f32_u32_e32 v4, v4
	v_ldexp_f32 v3, v4, v3
	s_delay_alu instid0(VALU_DEP_1)
	v_cvt_f16_f32_e32 v3, v3
	s_branch .LBB55_933
.LBB55_931:
	s_mov_b32 s26, -1
                                        ; implicit-def: $vgpr3
.LBB55_932:
	s_mov_b32 s29, 0
.LBB55_933:
	s_delay_alu instid0(SALU_CYCLE_1)
	s_and_b32 vcc_lo, exec_lo, s29
	s_cbranch_vccz .LBB55_951
; %bb.934:
	s_cmp_lt_i32 s27, 27
	s_cbranch_scc1 .LBB55_937
; %bb.935:
	s_cmp_gt_i32 s27, 27
	s_cbranch_scc0 .LBB55_938
; %bb.936:
	s_wait_loadcnt 0x0
	global_load_b32 v3, v[0:1], off
	s_mov_b32 s28, 0
	s_wait_loadcnt 0x0
	v_cvt_f32_u32_e32 v3, v3
	s_delay_alu instid0(VALU_DEP_1)
	v_cvt_f16_f32_e32 v3, v3
	s_branch .LBB55_939
.LBB55_937:
	s_mov_b32 s28, -1
                                        ; implicit-def: $vgpr3
	s_branch .LBB55_942
.LBB55_938:
	s_mov_b32 s28, -1
                                        ; implicit-def: $vgpr3
.LBB55_939:
	s_delay_alu instid0(SALU_CYCLE_1)
	s_and_not1_b32 vcc_lo, exec_lo, s28
	s_cbranch_vccnz .LBB55_941
; %bb.940:
	s_wait_loadcnt 0x0
	global_load_u16 v3, v[0:1], off
	s_wait_loadcnt 0x0
	v_cvt_f16_u16_e32 v3, v3
.LBB55_941:
	s_mov_b32 s28, 0
.LBB55_942:
	s_delay_alu instid0(SALU_CYCLE_1)
	s_and_not1_b32 vcc_lo, exec_lo, s28
	s_cbranch_vccnz .LBB55_950
; %bb.943:
	global_load_u8 v4, v[0:1], off
	s_mov_b32 s28, 0
	s_mov_b32 s29, exec_lo
	s_wait_loadcnt 0x0
	v_cmpx_lt_i16_e32 0x7f, v4
	s_xor_b32 s29, exec_lo, s29
	s_cbranch_execz .LBB55_964
; %bb.944:
	s_mov_b32 s28, -1
	s_mov_b32 s30, exec_lo
	v_cmpx_eq_u16_e32 0x80, v4
; %bb.945:
	s_xor_b32 s28, exec_lo, -1
; %bb.946:
	s_or_b32 exec_lo, exec_lo, s30
	s_delay_alu instid0(SALU_CYCLE_1)
	s_and_b32 s28, s28, exec_lo
	s_or_saveexec_b32 s29, s29
	v_mov_b32_e32 v3, 0x7e00
	s_xor_b32 exec_lo, exec_lo, s29
	s_cbranch_execnz .LBB55_965
.LBB55_947:
	s_or_b32 exec_lo, exec_lo, s29
	s_and_saveexec_b32 s29, s28
	s_cbranch_execz .LBB55_949
.LBB55_948:
	v_and_b32_e32 v3, 0xffff, v4
	s_delay_alu instid0(VALU_DEP_1) | instskip(SKIP_1) | instid1(VALU_DEP_2)
	v_dual_lshlrev_b32 v4, 24, v4 :: v_dual_bitop2_b32 v5, 7, v3 bitop3:0x40
	v_bfe_u32 v9, v3, 3, 4
	v_and_b32_e32 v4, 0x80000000, v4
	s_delay_alu instid0(VALU_DEP_3) | instskip(NEXT) | instid1(VALU_DEP_3)
	v_clz_i32_u32_e32 v7, v5
	v_cmp_eq_u32_e32 vcc_lo, 0, v9
	s_delay_alu instid0(VALU_DEP_2) | instskip(NEXT) | instid1(VALU_DEP_1)
	v_min_u32_e32 v7, 32, v7
	v_subrev_nc_u32_e32 v8, 28, v7
	v_sub_nc_u32_e32 v7, 29, v7
	s_delay_alu instid0(VALU_DEP_2) | instskip(NEXT) | instid1(VALU_DEP_2)
	v_lshlrev_b32_e32 v3, v8, v3
	v_cndmask_b32_e32 v7, v9, v7, vcc_lo
	s_delay_alu instid0(VALU_DEP_2) | instskip(NEXT) | instid1(VALU_DEP_1)
	v_and_b32_e32 v3, 7, v3
	v_cndmask_b32_e32 v3, v5, v3, vcc_lo
	s_delay_alu instid0(VALU_DEP_3) | instskip(NEXT) | instid1(VALU_DEP_2)
	v_lshl_add_u32 v5, v7, 23, 0x3b800000
	v_lshlrev_b32_e32 v3, 20, v3
	s_delay_alu instid0(VALU_DEP_1) | instskip(NEXT) | instid1(VALU_DEP_1)
	v_or3_b32 v3, v4, v5, v3
	v_cvt_f16_f32_e32 v3, v3
.LBB55_949:
	s_or_b32 exec_lo, exec_lo, s29
.LBB55_950:
	s_mov_b32 s28, -1
.LBB55_951:
	s_mov_b32 s29, 0
.LBB55_952:
	s_delay_alu instid0(SALU_CYCLE_1)
	s_and_b32 vcc_lo, exec_lo, s29
	s_cbranch_vccz .LBB55_987
; %bb.953:
	s_cmp_gt_i32 s27, 22
	s_cbranch_scc0 .LBB55_963
; %bb.954:
	s_cmp_lt_i32 s27, 24
	s_cbranch_scc1 .LBB55_966
; %bb.955:
	s_cmp_gt_i32 s27, 24
	s_cbranch_scc0 .LBB55_967
; %bb.956:
	global_load_u8 v4, v[0:1], off
	s_mov_b32 s28, 0
	s_mov_b32 s29, exec_lo
	s_wait_loadcnt 0x0
	v_cmpx_lt_i16_e32 0x7f, v4
	s_xor_b32 s29, exec_lo, s29
	s_cbranch_execz .LBB55_979
; %bb.957:
	s_mov_b32 s28, -1
	s_mov_b32 s30, exec_lo
	v_cmpx_eq_u16_e32 0x80, v4
; %bb.958:
	s_xor_b32 s28, exec_lo, -1
; %bb.959:
	s_or_b32 exec_lo, exec_lo, s30
	s_delay_alu instid0(SALU_CYCLE_1)
	s_and_b32 s28, s28, exec_lo
	s_or_saveexec_b32 s29, s29
	v_mov_b32_e32 v3, 0x7e00
	s_xor_b32 exec_lo, exec_lo, s29
	s_cbranch_execnz .LBB55_980
.LBB55_960:
	s_or_b32 exec_lo, exec_lo, s29
	s_and_saveexec_b32 s29, s28
	s_cbranch_execz .LBB55_962
.LBB55_961:
	v_and_b32_e32 v3, 0xffff, v4
	s_delay_alu instid0(VALU_DEP_1) | instskip(SKIP_1) | instid1(VALU_DEP_2)
	v_dual_lshlrev_b32 v4, 24, v4 :: v_dual_bitop2_b32 v5, 3, v3 bitop3:0x40
	v_bfe_u32 v9, v3, 2, 5
	v_and_b32_e32 v4, 0x80000000, v4
	s_delay_alu instid0(VALU_DEP_3) | instskip(NEXT) | instid1(VALU_DEP_3)
	v_clz_i32_u32_e32 v7, v5
	v_cmp_eq_u32_e32 vcc_lo, 0, v9
	s_delay_alu instid0(VALU_DEP_2) | instskip(NEXT) | instid1(VALU_DEP_1)
	v_min_u32_e32 v7, 32, v7
	v_subrev_nc_u32_e32 v8, 29, v7
	v_sub_nc_u32_e32 v7, 30, v7
	s_delay_alu instid0(VALU_DEP_2) | instskip(NEXT) | instid1(VALU_DEP_2)
	v_lshlrev_b32_e32 v3, v8, v3
	v_cndmask_b32_e32 v7, v9, v7, vcc_lo
	s_delay_alu instid0(VALU_DEP_2) | instskip(NEXT) | instid1(VALU_DEP_1)
	v_and_b32_e32 v3, 3, v3
	v_cndmask_b32_e32 v3, v5, v3, vcc_lo
	s_delay_alu instid0(VALU_DEP_3) | instskip(NEXT) | instid1(VALU_DEP_2)
	v_lshl_add_u32 v5, v7, 23, 0x37800000
	v_lshlrev_b32_e32 v3, 21, v3
	s_delay_alu instid0(VALU_DEP_1) | instskip(NEXT) | instid1(VALU_DEP_1)
	v_or3_b32 v3, v4, v5, v3
	v_cvt_f16_f32_e32 v3, v3
.LBB55_962:
	s_or_b32 exec_lo, exec_lo, s29
	s_mov_b32 s28, 0
	s_branch .LBB55_968
.LBB55_963:
	s_mov_b32 s29, -1
                                        ; implicit-def: $vgpr3
	s_branch .LBB55_974
.LBB55_964:
	s_or_saveexec_b32 s29, s29
	v_mov_b32_e32 v3, 0x7e00
	s_xor_b32 exec_lo, exec_lo, s29
	s_cbranch_execz .LBB55_947
.LBB55_965:
	v_cmp_ne_u16_e32 vcc_lo, 0, v4
	v_mov_b32_e32 v3, v4
	s_and_not1_b32 s28, s28, exec_lo
	s_and_b32 s30, vcc_lo, exec_lo
	s_delay_alu instid0(SALU_CYCLE_1)
	s_or_b32 s28, s28, s30
	s_or_b32 exec_lo, exec_lo, s29
	s_and_saveexec_b32 s29, s28
	s_cbranch_execnz .LBB55_948
	s_branch .LBB55_949
.LBB55_966:
	s_mov_b32 s28, -1
                                        ; implicit-def: $vgpr3
	s_branch .LBB55_971
.LBB55_967:
	s_mov_b32 s28, -1
                                        ; implicit-def: $vgpr3
.LBB55_968:
	s_delay_alu instid0(SALU_CYCLE_1)
	s_and_b32 vcc_lo, exec_lo, s28
	s_cbranch_vccz .LBB55_970
; %bb.969:
	s_wait_loadcnt 0x0
	global_load_u8 v3, v[0:1], off
	s_wait_loadcnt 0x0
	v_lshlrev_b32_e32 v3, 24, v3
	s_delay_alu instid0(VALU_DEP_1) | instskip(NEXT) | instid1(VALU_DEP_1)
	v_and_b32_e32 v4, 0x7f000000, v3
	v_clz_i32_u32_e32 v5, v4
	v_add_nc_u32_e32 v8, 0x1000000, v4
	v_cmp_ne_u32_e32 vcc_lo, 0, v4
	s_delay_alu instid0(VALU_DEP_3) | instskip(NEXT) | instid1(VALU_DEP_1)
	v_min_u32_e32 v5, 32, v5
	v_sub_nc_u32_e64 v5, v5, 4 clamp
	s_delay_alu instid0(VALU_DEP_1) | instskip(NEXT) | instid1(VALU_DEP_1)
	v_dual_lshlrev_b32 v7, v5, v4 :: v_dual_lshlrev_b32 v5, 23, v5
	v_lshrrev_b32_e32 v7, 4, v7
	s_delay_alu instid0(VALU_DEP_1) | instskip(NEXT) | instid1(VALU_DEP_1)
	v_dual_sub_nc_u32 v5, v7, v5 :: v_dual_ashrrev_i32 v7, 8, v8
	v_add_nc_u32_e32 v5, 0x3c000000, v5
	s_delay_alu instid0(VALU_DEP_1) | instskip(NEXT) | instid1(VALU_DEP_1)
	v_and_or_b32 v5, 0x7f800000, v7, v5
	v_cndmask_b32_e32 v4, 0, v5, vcc_lo
	s_delay_alu instid0(VALU_DEP_1) | instskip(NEXT) | instid1(VALU_DEP_1)
	v_and_or_b32 v3, 0x80000000, v3, v4
	v_cvt_f16_f32_e32 v3, v3
.LBB55_970:
	s_mov_b32 s28, 0
.LBB55_971:
	s_delay_alu instid0(SALU_CYCLE_1)
	s_and_not1_b32 vcc_lo, exec_lo, s28
	s_cbranch_vccnz .LBB55_973
; %bb.972:
	s_wait_loadcnt 0x0
	global_load_u8 v3, v[0:1], off
	s_wait_loadcnt 0x0
	v_lshlrev_b32_e32 v4, 25, v3
	v_lshlrev_b16 v3, 8, v3
	s_delay_alu instid0(VALU_DEP_1) | instskip(NEXT) | instid1(VALU_DEP_3)
	v_and_or_b32 v7, 0x7f00, v3, 0.5
	v_lshrrev_b32_e32 v5, 4, v4
	v_bfe_i32 v3, v3, 0, 16
	s_delay_alu instid0(VALU_DEP_3) | instskip(NEXT) | instid1(VALU_DEP_3)
	v_add_f32_e32 v7, -0.5, v7
	v_or_b32_e32 v5, 0x70000000, v5
	s_delay_alu instid0(VALU_DEP_1) | instskip(SKIP_1) | instid1(VALU_DEP_2)
	v_mul_f32_e32 v5, 0x7800000, v5
	v_cmp_gt_u32_e32 vcc_lo, 0x8000000, v4
	v_cndmask_b32_e32 v4, v5, v7, vcc_lo
	s_delay_alu instid0(VALU_DEP_1) | instskip(NEXT) | instid1(VALU_DEP_1)
	v_and_or_b32 v3, 0x80000000, v3, v4
	v_cvt_f16_f32_e32 v3, v3
.LBB55_973:
	s_mov_b32 s29, 0
	s_mov_b32 s28, -1
.LBB55_974:
	s_and_not1_b32 vcc_lo, exec_lo, s29
	s_cbranch_vccnz .LBB55_987
; %bb.975:
	s_cmp_gt_i32 s27, 14
	s_cbranch_scc0 .LBB55_978
; %bb.976:
	s_cmp_eq_u32 s27, 15
	s_cbranch_scc0 .LBB55_981
; %bb.977:
	s_wait_loadcnt 0x0
	global_load_u16 v3, v[0:1], off
	s_mov_b32 s28, -1
	s_mov_b32 s26, 0
	s_wait_loadcnt 0x0
	v_lshlrev_b32_e32 v3, 16, v3
	s_delay_alu instid0(VALU_DEP_1)
	v_cvt_f16_f32_e32 v3, v3
	s_branch .LBB55_982
.LBB55_978:
	s_mov_b32 s29, -1
                                        ; implicit-def: $vgpr3
	s_branch .LBB55_983
.LBB55_979:
	s_or_saveexec_b32 s29, s29
	v_mov_b32_e32 v3, 0x7e00
	s_xor_b32 exec_lo, exec_lo, s29
	s_cbranch_execz .LBB55_960
.LBB55_980:
	v_cmp_ne_u16_e32 vcc_lo, 0, v4
	v_mov_b32_e32 v3, v4
	s_and_not1_b32 s28, s28, exec_lo
	s_and_b32 s30, vcc_lo, exec_lo
	s_delay_alu instid0(SALU_CYCLE_1)
	s_or_b32 s28, s28, s30
	s_or_b32 exec_lo, exec_lo, s29
	s_and_saveexec_b32 s29, s28
	s_cbranch_execnz .LBB55_961
	s_branch .LBB55_962
.LBB55_981:
	s_mov_b32 s26, -1
                                        ; implicit-def: $vgpr3
.LBB55_982:
	s_mov_b32 s29, 0
.LBB55_983:
	s_delay_alu instid0(SALU_CYCLE_1)
	s_and_b32 vcc_lo, exec_lo, s29
	s_cbranch_vccz .LBB55_987
; %bb.984:
	s_cmp_eq_u32 s27, 11
	s_cbranch_scc0 .LBB55_986
; %bb.985:
	s_wait_loadcnt 0x0
	global_load_u8 v3, v[0:1], off
	s_mov_b32 s26, 0
	s_mov_b32 s28, -1
	s_wait_loadcnt 0x0
	v_cmp_ne_u16_e32 vcc_lo, 0, v3
	v_cndmask_b32_e64 v3, 0, 0x3c00, vcc_lo
	s_branch .LBB55_987
.LBB55_986:
	s_mov_b32 s26, -1
                                        ; implicit-def: $vgpr3
.LBB55_987:
	s_mov_b32 s27, 0
.LBB55_988:
	s_delay_alu instid0(SALU_CYCLE_1)
	s_and_b32 vcc_lo, exec_lo, s27
	s_cbranch_vccz .LBB55_1037
; %bb.989:
	s_and_b32 s0, 0xffff, s0
	s_delay_alu instid0(SALU_CYCLE_1)
	s_cmp_lt_i32 s0, 5
	s_cbranch_scc1 .LBB55_994
; %bb.990:
	s_cmp_lt_i32 s0, 8
	s_cbranch_scc1 .LBB55_995
; %bb.991:
	;; [unrolled: 3-line block ×3, first 2 shown]
	s_cmp_gt_i32 s0, 9
	s_cbranch_scc0 .LBB55_997
; %bb.993:
	global_load_b64 v[4:5], v[0:1], off
	s_mov_b32 s27, 0
	s_wait_loadcnt 0x0
	v_and_or_b32 v3, 0x1ff, v5, v4
	v_lshrrev_b32_e32 v4, 8, v5
	v_bfe_u32 v7, v5, 20, 11
	s_delay_alu instid0(VALU_DEP_3) | instskip(NEXT) | instid1(VALU_DEP_2)
	v_cmp_ne_u32_e32 vcc_lo, 0, v3
	v_sub_nc_u32_e32 v8, 0x3f1, v7
	v_cndmask_b32_e64 v3, 0, 1, vcc_lo
	s_delay_alu instid0(VALU_DEP_1) | instskip(NEXT) | instid1(VALU_DEP_3)
	v_and_or_b32 v3, 0xffe, v4, v3
	v_med3_i32 v4, v8, 0, 13
	s_delay_alu instid0(VALU_DEP_2) | instskip(NEXT) | instid1(VALU_DEP_1)
	v_or_b32_e32 v8, 0x1000, v3
	v_lshrrev_b32_e32 v9, v4, v8
	s_delay_alu instid0(VALU_DEP_1) | instskip(NEXT) | instid1(VALU_DEP_1)
	v_lshlrev_b32_e32 v4, v4, v9
	v_cmp_ne_u32_e32 vcc_lo, v4, v8
	v_cndmask_b32_e64 v4, 0, 1, vcc_lo
	s_delay_alu instid0(VALU_DEP_1) | instskip(SKIP_1) | instid1(VALU_DEP_1)
	v_or_b32_e32 v4, v9, v4
	v_add_nc_u32_e32 v7, 0xfffffc10, v7
	v_lshl_or_b32 v8, v7, 12, v3
	v_cmp_gt_i32_e32 vcc_lo, 1, v7
	s_delay_alu instid0(VALU_DEP_2) | instskip(NEXT) | instid1(VALU_DEP_1)
	v_cndmask_b32_e32 v4, v8, v4, vcc_lo
	v_dual_lshrrev_b32 v4, 2, v4 :: v_dual_bitop2_b32 v8, 7, v4 bitop3:0x40
	s_delay_alu instid0(VALU_DEP_1) | instskip(SKIP_4) | instid1(VALU_DEP_2)
	v_cmp_lt_i32_e32 vcc_lo, 5, v8
	v_cndmask_b32_e64 v9, 0, 1, vcc_lo
	v_cmp_eq_u32_e32 vcc_lo, 3, v8
	v_cndmask_b32_e64 v8, 0, 1, vcc_lo
	v_cmp_ne_u32_e32 vcc_lo, 0, v3
	v_or_b32_e32 v8, v8, v9
	s_delay_alu instid0(VALU_DEP_1) | instskip(NEXT) | instid1(VALU_DEP_1)
	v_dual_mov_b32 v9, 0x7e00 :: v_dual_add_nc_u32 v4, v4, v8
	v_cndmask_b32_e32 v3, 0x7c00, v9, vcc_lo
	v_cmp_gt_i32_e32 vcc_lo, 31, v7
	s_delay_alu instid0(VALU_DEP_3) | instskip(SKIP_1) | instid1(VALU_DEP_2)
	v_cndmask_b32_e32 v4, 0x7c00, v4, vcc_lo
	v_cmp_eq_u32_e32 vcc_lo, 0x40f, v7
	v_dual_cndmask_b32 v3, v4, v3 :: v_dual_lshrrev_b32 v4, 16, v5
	s_delay_alu instid0(VALU_DEP_1)
	v_and_or_b32 v3, 0x8000, v4, v3
	s_branch .LBB55_998
.LBB55_994:
	s_mov_b32 s27, -1
                                        ; implicit-def: $vgpr3
	s_branch .LBB55_1016
.LBB55_995:
	s_mov_b32 s27, -1
                                        ; implicit-def: $vgpr3
	s_branch .LBB55_1004
.LBB55_996:
	s_mov_b32 s27, -1
                                        ; implicit-def: $vgpr3
	s_branch .LBB55_1001
.LBB55_997:
	s_mov_b32 s27, -1
                                        ; implicit-def: $vgpr3
.LBB55_998:
	s_delay_alu instid0(SALU_CYCLE_1)
	s_and_not1_b32 vcc_lo, exec_lo, s27
	s_cbranch_vccnz .LBB55_1000
; %bb.999:
	s_wait_loadcnt 0x0
	global_load_b32 v3, v[0:1], off
	s_wait_loadcnt 0x0
	v_cvt_f16_f32_e32 v3, v3
.LBB55_1000:
	s_mov_b32 s27, 0
.LBB55_1001:
	s_delay_alu instid0(SALU_CYCLE_1)
	s_and_not1_b32 vcc_lo, exec_lo, s27
	s_cbranch_vccnz .LBB55_1003
; %bb.1002:
	s_wait_loadcnt 0x0
	global_load_b32 v3, v[0:1], off
.LBB55_1003:
	s_mov_b32 s27, 0
.LBB55_1004:
	s_delay_alu instid0(SALU_CYCLE_1)
	s_and_not1_b32 vcc_lo, exec_lo, s27
	s_cbranch_vccnz .LBB55_1015
; %bb.1005:
	s_cmp_lt_i32 s0, 6
	s_cbranch_scc1 .LBB55_1008
; %bb.1006:
	s_cmp_gt_i32 s0, 6
	s_cbranch_scc0 .LBB55_1009
; %bb.1007:
	global_load_b64 v[4:5], v[0:1], off
	s_mov_b32 s27, 0
	s_wait_loadcnt 0x0
	v_and_or_b32 v3, 0x1ff, v5, v4
	v_lshrrev_b32_e32 v4, 8, v5
	v_bfe_u32 v7, v5, 20, 11
	s_delay_alu instid0(VALU_DEP_3) | instskip(NEXT) | instid1(VALU_DEP_2)
	v_cmp_ne_u32_e32 vcc_lo, 0, v3
	v_sub_nc_u32_e32 v8, 0x3f1, v7
	v_cndmask_b32_e64 v3, 0, 1, vcc_lo
	s_delay_alu instid0(VALU_DEP_1) | instskip(NEXT) | instid1(VALU_DEP_3)
	v_and_or_b32 v3, 0xffe, v4, v3
	v_med3_i32 v4, v8, 0, 13
	s_delay_alu instid0(VALU_DEP_2) | instskip(NEXT) | instid1(VALU_DEP_1)
	v_or_b32_e32 v8, 0x1000, v3
	v_lshrrev_b32_e32 v9, v4, v8
	s_delay_alu instid0(VALU_DEP_1) | instskip(NEXT) | instid1(VALU_DEP_1)
	v_lshlrev_b32_e32 v4, v4, v9
	v_cmp_ne_u32_e32 vcc_lo, v4, v8
	v_cndmask_b32_e64 v4, 0, 1, vcc_lo
	s_delay_alu instid0(VALU_DEP_1) | instskip(SKIP_1) | instid1(VALU_DEP_1)
	v_or_b32_e32 v4, v9, v4
	v_add_nc_u32_e32 v7, 0xfffffc10, v7
	v_lshl_or_b32 v8, v7, 12, v3
	v_cmp_gt_i32_e32 vcc_lo, 1, v7
	s_delay_alu instid0(VALU_DEP_2) | instskip(NEXT) | instid1(VALU_DEP_1)
	v_cndmask_b32_e32 v4, v8, v4, vcc_lo
	v_dual_lshrrev_b32 v4, 2, v4 :: v_dual_bitop2_b32 v8, 7, v4 bitop3:0x40
	s_delay_alu instid0(VALU_DEP_1) | instskip(SKIP_4) | instid1(VALU_DEP_2)
	v_cmp_lt_i32_e32 vcc_lo, 5, v8
	v_cndmask_b32_e64 v9, 0, 1, vcc_lo
	v_cmp_eq_u32_e32 vcc_lo, 3, v8
	v_cndmask_b32_e64 v8, 0, 1, vcc_lo
	v_cmp_ne_u32_e32 vcc_lo, 0, v3
	v_or_b32_e32 v8, v8, v9
	s_delay_alu instid0(VALU_DEP_1) | instskip(NEXT) | instid1(VALU_DEP_1)
	v_dual_mov_b32 v9, 0x7e00 :: v_dual_add_nc_u32 v4, v4, v8
	v_cndmask_b32_e32 v3, 0x7c00, v9, vcc_lo
	v_cmp_gt_i32_e32 vcc_lo, 31, v7
	s_delay_alu instid0(VALU_DEP_3) | instskip(SKIP_1) | instid1(VALU_DEP_2)
	v_cndmask_b32_e32 v4, 0x7c00, v4, vcc_lo
	v_cmp_eq_u32_e32 vcc_lo, 0x40f, v7
	v_dual_cndmask_b32 v3, v4, v3 :: v_dual_lshrrev_b32 v4, 16, v5
	s_delay_alu instid0(VALU_DEP_1)
	v_and_or_b32 v3, 0x8000, v4, v3
	s_branch .LBB55_1010
.LBB55_1008:
	s_mov_b32 s27, -1
                                        ; implicit-def: $vgpr3
	s_branch .LBB55_1013
.LBB55_1009:
	s_mov_b32 s27, -1
                                        ; implicit-def: $vgpr3
.LBB55_1010:
	s_delay_alu instid0(SALU_CYCLE_1)
	s_and_not1_b32 vcc_lo, exec_lo, s27
	s_cbranch_vccnz .LBB55_1012
; %bb.1011:
	s_wait_loadcnt 0x0
	global_load_b32 v3, v[0:1], off
	s_wait_loadcnt 0x0
	v_cvt_f16_f32_e32 v3, v3
.LBB55_1012:
	s_mov_b32 s27, 0
.LBB55_1013:
	s_delay_alu instid0(SALU_CYCLE_1)
	s_and_not1_b32 vcc_lo, exec_lo, s27
	s_cbranch_vccnz .LBB55_1015
; %bb.1014:
	s_wait_loadcnt 0x0
	global_load_u16 v3, v[0:1], off
.LBB55_1015:
	s_mov_b32 s27, 0
.LBB55_1016:
	s_delay_alu instid0(SALU_CYCLE_1)
	s_and_not1_b32 vcc_lo, exec_lo, s27
	s_cbranch_vccnz .LBB55_1036
; %bb.1017:
	s_cmp_lt_i32 s0, 2
	s_cbranch_scc1 .LBB55_1021
; %bb.1018:
	s_cmp_lt_i32 s0, 3
	s_cbranch_scc1 .LBB55_1022
; %bb.1019:
	s_cmp_gt_i32 s0, 3
	s_cbranch_scc0 .LBB55_1023
; %bb.1020:
	global_load_b64 v[4:5], v[0:1], off
	s_mov_b32 s27, 0
	s_wait_loadcnt 0x0
	v_xor_b32_e32 v3, v4, v5
	v_cls_i32_e32 v7, v5
	s_delay_alu instid0(VALU_DEP_2) | instskip(NEXT) | instid1(VALU_DEP_1)
	v_ashrrev_i32_e32 v3, 31, v3
	v_add_nc_u32_e32 v3, 32, v3
	s_delay_alu instid0(VALU_DEP_1) | instskip(NEXT) | instid1(VALU_DEP_1)
	v_add_min_u32_e64 v3, v7, -1, v3
	v_lshlrev_b64_e32 v[4:5], v3, v[4:5]
	v_sub_nc_u32_e32 v3, 32, v3
	s_delay_alu instid0(VALU_DEP_2) | instskip(NEXT) | instid1(VALU_DEP_1)
	v_min_u32_e32 v4, 1, v4
	v_or_b32_e32 v4, v5, v4
	s_delay_alu instid0(VALU_DEP_1) | instskip(NEXT) | instid1(VALU_DEP_1)
	v_cvt_f32_i32_e32 v4, v4
	v_ldexp_f32 v3, v4, v3
	s_delay_alu instid0(VALU_DEP_1)
	v_cvt_f16_f32_e32 v3, v3
	s_branch .LBB55_1024
.LBB55_1021:
	s_mov_b32 s27, -1
                                        ; implicit-def: $vgpr3
	s_branch .LBB55_1030
.LBB55_1022:
	s_mov_b32 s27, -1
                                        ; implicit-def: $vgpr3
	s_branch .LBB55_1027
.LBB55_1023:
	s_mov_b32 s27, -1
                                        ; implicit-def: $vgpr3
.LBB55_1024:
	s_delay_alu instid0(SALU_CYCLE_1)
	s_and_not1_b32 vcc_lo, exec_lo, s27
	s_cbranch_vccnz .LBB55_1026
; %bb.1025:
	s_wait_loadcnt 0x0
	global_load_b32 v3, v[0:1], off
	s_wait_loadcnt 0x0
	v_cvt_f32_i32_e32 v3, v3
	s_delay_alu instid0(VALU_DEP_1)
	v_cvt_f16_f32_e32 v3, v3
.LBB55_1026:
	s_mov_b32 s27, 0
.LBB55_1027:
	s_delay_alu instid0(SALU_CYCLE_1)
	s_and_not1_b32 vcc_lo, exec_lo, s27
	s_cbranch_vccnz .LBB55_1029
; %bb.1028:
	s_wait_loadcnt 0x0
	global_load_u16 v3, v[0:1], off
	s_wait_loadcnt 0x0
	v_cvt_f16_i16_e32 v3, v3
.LBB55_1029:
	s_mov_b32 s27, 0
.LBB55_1030:
	s_delay_alu instid0(SALU_CYCLE_1)
	s_and_not1_b32 vcc_lo, exec_lo, s27
	s_cbranch_vccnz .LBB55_1036
; %bb.1031:
	s_cmp_gt_i32 s0, 0
	s_mov_b32 s0, 0
	s_cbranch_scc0 .LBB55_1033
; %bb.1032:
	s_wait_loadcnt 0x0
	global_load_i8 v3, v[0:1], off
	s_wait_loadcnt 0x0
	v_cvt_f16_i16_e32 v3, v3
	s_branch .LBB55_1034
.LBB55_1033:
	s_mov_b32 s0, -1
                                        ; implicit-def: $vgpr3
.LBB55_1034:
	s_delay_alu instid0(SALU_CYCLE_1)
	s_and_not1_b32 vcc_lo, exec_lo, s0
	s_cbranch_vccnz .LBB55_1036
; %bb.1035:
	global_load_u8 v0, v[0:1], off
	s_wait_loadcnt 0x0
	v_cvt_f16_u16_e32 v3, v0
.LBB55_1036:
	s_mov_b32 s28, -1
.LBB55_1037:
	s_delay_alu instid0(SALU_CYCLE_1)
	s_and_not1_b32 vcc_lo, exec_lo, s28
	s_cbranch_vccnz .LBB55_1045
; %bb.1038:
	s_wait_xcnt 0x0
	v_mul_lo_u32 v0, v6, s8
	s_wait_loadcnt 0x0
	v_mul_f16_e32 v3, v2, v3
	v_cmp_lt_f16_e32 vcc_lo, 0, v2
	s_and_b32 s27, s11, 0xff
	s_mov_b32 s29, 0
	s_mov_b32 s28, -1
	s_cmp_lt_i32 s27, 11
	s_mov_b32 s0, s21
	s_delay_alu instid0(VALU_DEP_3) | instskip(NEXT) | instid1(VALU_DEP_1)
	v_dual_cndmask_b32 v2, v3, v2 :: v_dual_ashrrev_i32 v1, 31, v0
	v_add_nc_u64_e32 v[0:1], s[4:5], v[0:1]
	s_cbranch_scc1 .LBB55_1046
; %bb.1039:
	s_and_b32 s28, 0xffff, s27
	s_delay_alu instid0(SALU_CYCLE_1)
	s_cmp_gt_i32 s28, 25
	s_cbranch_scc0 .LBB55_1099
; %bb.1040:
	s_cmp_gt_i32 s28, 28
	s_cbranch_scc0 .LBB55_1101
; %bb.1041:
	;; [unrolled: 3-line block ×4, first 2 shown]
	s_mov_b32 s30, 0
	s_mov_b32 s0, -1
	s_cmp_eq_u32 s28, 46
	s_cbranch_scc0 .LBB55_1106
; %bb.1044:
	v_cvt_f32_f16_e32 v3, v2
	v_cmp_o_f16_e32 vcc_lo, v2, v2
	s_mov_b32 s29, -1
	s_mov_b32 s0, 0
	s_delay_alu instid0(VALU_DEP_2) | instskip(NEXT) | instid1(VALU_DEP_1)
	v_bfe_u32 v4, v3, 16, 1
	v_add3_u32 v3, v3, v4, 0x7fff
	s_delay_alu instid0(VALU_DEP_1) | instskip(NEXT) | instid1(VALU_DEP_1)
	v_lshrrev_b32_e32 v3, 16, v3
	v_cndmask_b32_e32 v3, 0x7fc0, v3, vcc_lo
	global_store_b32 v[0:1], v3, off
	s_branch .LBB55_1106
.LBB55_1045:
	s_mov_b32 s28, 0
	s_mov_b32 s0, s21
	s_branch .LBB55_1086
.LBB55_1046:
	s_and_b32 vcc_lo, exec_lo, s28
	s_cbranch_vccz .LBB55_1175
; %bb.1047:
	s_and_b32 s27, 0xffff, s27
	s_mov_b32 s28, -1
	s_cmp_lt_i32 s27, 5
	s_cbranch_scc1 .LBB55_1068
; %bb.1048:
	s_cmp_lt_i32 s27, 8
	s_cbranch_scc1 .LBB55_1058
; %bb.1049:
	;; [unrolled: 3-line block ×3, first 2 shown]
	s_cmp_gt_i32 s27, 9
	s_cbranch_scc0 .LBB55_1052
; %bb.1051:
	s_wait_xcnt 0x0
	v_cvt_f32_f16_e32 v3, v2
	v_mov_b32_e32 v10, 0
	s_mov_b32 s28, 0
	s_delay_alu instid0(VALU_DEP_2) | instskip(NEXT) | instid1(VALU_DEP_2)
	v_cvt_f64_f32_e32 v[8:9], v3
	v_mov_b32_e32 v11, v10
	global_store_b128 v[0:1], v[8:11], off
.LBB55_1052:
	s_and_not1_b32 vcc_lo, exec_lo, s28
	s_cbranch_vccnz .LBB55_1054
; %bb.1053:
	s_wait_xcnt 0x0
	v_cvt_f32_f16_e32 v4, v2
	v_mov_b32_e32 v5, 0
	global_store_b64 v[0:1], v[4:5], off
.LBB55_1054:
	s_mov_b32 s28, 0
.LBB55_1055:
	s_delay_alu instid0(SALU_CYCLE_1)
	s_and_not1_b32 vcc_lo, exec_lo, s28
	s_cbranch_vccnz .LBB55_1057
; %bb.1056:
	s_wait_xcnt 0x0
	v_and_b32_e32 v3, 0xffff, v2
	global_store_b32 v[0:1], v3, off
.LBB55_1057:
	s_mov_b32 s28, 0
.LBB55_1058:
	s_delay_alu instid0(SALU_CYCLE_1)
	s_and_not1_b32 vcc_lo, exec_lo, s28
	s_cbranch_vccnz .LBB55_1067
; %bb.1059:
	s_cmp_lt_i32 s27, 6
	s_mov_b32 s28, -1
	s_cbranch_scc1 .LBB55_1065
; %bb.1060:
	s_cmp_gt_i32 s27, 6
	s_cbranch_scc0 .LBB55_1062
; %bb.1061:
	s_wait_xcnt 0x0
	v_cvt_f32_f16_e32 v3, v2
	s_mov_b32 s28, 0
	s_delay_alu instid0(VALU_DEP_1)
	v_cvt_f64_f32_e32 v[4:5], v3
	global_store_b64 v[0:1], v[4:5], off
.LBB55_1062:
	s_and_not1_b32 vcc_lo, exec_lo, s28
	s_cbranch_vccnz .LBB55_1064
; %bb.1063:
	s_wait_xcnt 0x0
	v_cvt_f32_f16_e32 v3, v2
	global_store_b32 v[0:1], v3, off
.LBB55_1064:
	s_mov_b32 s28, 0
.LBB55_1065:
	s_delay_alu instid0(SALU_CYCLE_1)
	s_and_not1_b32 vcc_lo, exec_lo, s28
	s_cbranch_vccnz .LBB55_1067
; %bb.1066:
	global_store_b16 v[0:1], v2, off
.LBB55_1067:
	s_mov_b32 s28, 0
.LBB55_1068:
	s_delay_alu instid0(SALU_CYCLE_1)
	s_and_not1_b32 vcc_lo, exec_lo, s28
	s_cbranch_vccnz .LBB55_1084
; %bb.1069:
	s_cmp_lt_i32 s27, 2
	s_mov_b32 s28, -1
	s_cbranch_scc1 .LBB55_1079
; %bb.1070:
	s_cmp_lt_i32 s27, 3
	s_cbranch_scc1 .LBB55_1076
; %bb.1071:
	s_cmp_gt_i32 s27, 3
	s_cbranch_scc0 .LBB55_1073
; %bb.1072:
	s_wait_xcnt 0x0
	v_cvt_f32_f16_e32 v3, v2
	s_mov_b32 s28, 0
	s_delay_alu instid0(VALU_DEP_1) | instskip(NEXT) | instid1(VALU_DEP_1)
	v_cvt_i32_f32_e32 v4, v3
	v_ashrrev_i32_e32 v5, 31, v4
	global_store_b64 v[0:1], v[4:5], off
.LBB55_1073:
	s_and_not1_b32 vcc_lo, exec_lo, s28
	s_cbranch_vccnz .LBB55_1075
; %bb.1074:
	s_wait_xcnt 0x0
	v_cvt_f32_f16_e32 v3, v2
	s_delay_alu instid0(VALU_DEP_1)
	v_cvt_i32_f32_e32 v3, v3
	global_store_b32 v[0:1], v3, off
.LBB55_1075:
	s_mov_b32 s28, 0
.LBB55_1076:
	s_delay_alu instid0(SALU_CYCLE_1)
	s_and_not1_b32 vcc_lo, exec_lo, s28
	s_cbranch_vccnz .LBB55_1078
; %bb.1077:
	s_wait_xcnt 0x0
	v_cvt_i16_f16_e32 v3, v2
	global_store_b16 v[0:1], v3, off
.LBB55_1078:
	s_mov_b32 s28, 0
.LBB55_1079:
	s_delay_alu instid0(SALU_CYCLE_1)
	s_and_not1_b32 vcc_lo, exec_lo, s28
	s_cbranch_vccnz .LBB55_1084
; %bb.1080:
	s_cmp_gt_i32 s27, 0
	s_mov_b32 s27, -1
	s_cbranch_scc0 .LBB55_1082
; %bb.1081:
	s_wait_xcnt 0x0
	v_cvt_i16_f16_e32 v3, v2
	s_mov_b32 s27, 0
	global_store_b8 v[0:1], v3, off
.LBB55_1082:
	s_and_not1_b32 vcc_lo, exec_lo, s27
	s_cbranch_vccnz .LBB55_1084
; %bb.1083:
	s_wait_xcnt 0x0
	v_cvt_f32_f16_e32 v2, v2
	s_delay_alu instid0(VALU_DEP_1)
	v_cvt_i32_f32_e32 v2, v2
	global_store_b8 v[0:1], v2, off
.LBB55_1084:
	s_branch .LBB55_1176
.LBB55_1085:
	s_mov_b32 s28, 0
.LBB55_1086:
                                        ; implicit-def: $vgpr6
.LBB55_1087:
	s_and_not1_b32 s27, s21, exec_lo
	s_and_b32 s0, s0, exec_lo
	s_and_b32 s26, s26, exec_lo
	s_or_b32 s27, s27, s0
	s_and_not1_b32 s0, s22, exec_lo
	s_and_not1_b32 s29, s20, exec_lo
	s_and_b32 s25, s25, exec_lo
	s_or_b32 s26, s0, s26
	s_or_b32 s25, s29, s25
	s_or_not1_b32 s31, s28, exec_lo
.LBB55_1088:
	s_wait_xcnt 0x0
	s_or_b32 exec_lo, exec_lo, s24
	s_mov_b32 s28, 0
	s_mov_b32 s29, 0
	;; [unrolled: 1-line block ×3, first 2 shown]
                                        ; implicit-def: $sgpr0
                                        ; implicit-def: $vgpr0_vgpr1
                                        ; implicit-def: $vgpr2
	s_and_saveexec_b32 s24, s31
	s_cbranch_execz .LBB55_1246
; %bb.1089:
	v_cmp_gt_i32_e32 vcc_lo, s16, v6
	s_mov_b32 s33, s25
	s_mov_b32 s31, 0
	;; [unrolled: 1-line block ×3, first 2 shown]
                                        ; implicit-def: $sgpr0
                                        ; implicit-def: $vgpr0_vgpr1
                                        ; implicit-def: $vgpr2
	s_and_saveexec_b32 s16, vcc_lo
	s_cbranch_execz .LBB55_1245
; %bb.1090:
	v_mul_lo_u32 v0, v6, s9
	s_and_b32 s0, s13, 0xff
	s_delay_alu instid0(SALU_CYCLE_1) | instskip(NEXT) | instid1(VALU_DEP_1)
	s_cmp_lt_i32 s0, 11
	v_ashrrev_i32_e32 v1, 31, v0
	s_delay_alu instid0(VALU_DEP_1)
	v_add_nc_u64_e32 v[0:1], s[6:7], v[0:1]
	s_cbranch_scc1 .LBB55_1097
; %bb.1091:
	s_and_b32 s28, 0xffff, s0
	s_delay_alu instid0(SALU_CYCLE_1)
	s_cmp_gt_i32 s28, 25
	s_cbranch_scc0 .LBB55_1098
; %bb.1092:
	s_cmp_gt_i32 s28, 28
	s_cbranch_scc0 .LBB55_1100
; %bb.1093:
	;; [unrolled: 3-line block ×4, first 2 shown]
	s_cmp_eq_u32 s28, 46
	s_mov_b32 s33, 0
	s_cbranch_scc0 .LBB55_1177
; %bb.1096:
	s_wait_loadcnt 0x0
	global_load_b32 v2, v[0:1], off
	s_mov_b32 s31, -1
	s_wait_loadcnt 0x0
	v_lshlrev_b32_e32 v2, 16, v2
	s_delay_alu instid0(VALU_DEP_1)
	v_cvt_f16_f32_e32 v2, v2
	s_branch .LBB55_1179
.LBB55_1097:
	s_mov_b32 s28, -1
	s_mov_b32 s29, s25
                                        ; implicit-def: $vgpr2
	s_branch .LBB55_1244
.LBB55_1098:
	s_mov_b32 s33, -1
	s_mov_b32 s29, s25
                                        ; implicit-def: $vgpr2
	s_branch .LBB55_1210
.LBB55_1099:
	s_mov_b32 s30, -1
	s_mov_b32 s0, s21
	s_branch .LBB55_1133
.LBB55_1100:
	s_mov_b32 s33, -1
	s_mov_b32 s29, s25
                                        ; implicit-def: $vgpr2
	s_branch .LBB55_1191
.LBB55_1101:
	s_mov_b32 s30, -1
	s_mov_b32 s0, s21
	s_branch .LBB55_1116
.LBB55_1102:
	s_mov_b32 s33, -1
	s_mov_b32 s29, s25
                                        ; implicit-def: $vgpr2
	s_branch .LBB55_1186
.LBB55_1103:
	s_mov_b32 s30, -1
	s_mov_b32 s0, s21
	s_branch .LBB55_1112
.LBB55_1104:
	s_mov_b32 s33, -1
	s_mov_b32 s29, s25
	s_branch .LBB55_1178
.LBB55_1105:
	s_mov_b32 s30, -1
	s_mov_b32 s0, s21
.LBB55_1106:
	s_and_b32 vcc_lo, exec_lo, s30
	s_cbranch_vccz .LBB55_1111
; %bb.1107:
	s_cmp_eq_u32 s28, 44
	s_mov_b32 s0, -1
	s_cbranch_scc0 .LBB55_1111
; %bb.1108:
	s_wait_xcnt 0x0
	v_cvt_f32_f16_e32 v3, v2
	v_mov_b32_e32 v4, 0xff
	s_mov_b32 s29, exec_lo
	s_delay_alu instid0(VALU_DEP_2) | instskip(NEXT) | instid1(VALU_DEP_1)
	v_bfe_u32 v5, v3, 23, 8
	v_cmpx_ne_u32_e32 0xff, v5
	s_cbranch_execz .LBB55_1110
; %bb.1109:
	v_and_b32_e32 v4, 0x400000, v3
	v_and_or_b32 v5, 0x3fffff, v3, v5
	v_lshrrev_b32_e32 v3, 23, v3
	s_delay_alu instid0(VALU_DEP_3) | instskip(NEXT) | instid1(VALU_DEP_3)
	v_cmp_ne_u32_e32 vcc_lo, 0, v4
	v_cmp_ne_u32_e64 s0, 0, v5
	s_and_b32 s0, vcc_lo, s0
	s_delay_alu instid0(SALU_CYCLE_1) | instskip(NEXT) | instid1(VALU_DEP_1)
	v_cndmask_b32_e64 v4, 0, 1, s0
	v_add_nc_u32_e32 v4, v3, v4
.LBB55_1110:
	s_or_b32 exec_lo, exec_lo, s29
	s_mov_b32 s29, -1
	s_mov_b32 s0, 0
	global_store_b8 v[0:1], v4, off
.LBB55_1111:
	s_mov_b32 s30, 0
.LBB55_1112:
	s_delay_alu instid0(SALU_CYCLE_1)
	s_and_b32 vcc_lo, exec_lo, s30
	s_cbranch_vccz .LBB55_1115
; %bb.1113:
	s_cmp_eq_u32 s28, 29
	s_mov_b32 s0, -1
	s_cbranch_scc0 .LBB55_1115
; %bb.1114:
	s_wait_xcnt 0x0
	v_cvt_f32_f16_e32 v3, v2
	v_mov_b32_e32 v5, 0
	s_mov_b32 s29, -1
	s_mov_b32 s0, 0
	s_mov_b32 s30, 0
	v_cvt_u32_f32_e32 v4, v3
	global_store_b64 v[0:1], v[4:5], off
	s_branch .LBB55_1116
.LBB55_1115:
	s_mov_b32 s30, 0
.LBB55_1116:
	s_delay_alu instid0(SALU_CYCLE_1)
	s_and_b32 vcc_lo, exec_lo, s30
	s_cbranch_vccz .LBB55_1132
; %bb.1117:
	s_cmp_lt_i32 s28, 27
	s_mov_b32 s29, -1
	s_cbranch_scc1 .LBB55_1123
; %bb.1118:
	s_cmp_gt_i32 s28, 27
	s_cbranch_scc0 .LBB55_1120
; %bb.1119:
	s_wait_xcnt 0x0
	v_cvt_f32_f16_e32 v3, v2
	s_mov_b32 s29, 0
	s_delay_alu instid0(VALU_DEP_1)
	v_cvt_u32_f32_e32 v3, v3
	global_store_b32 v[0:1], v3, off
.LBB55_1120:
	s_and_not1_b32 vcc_lo, exec_lo, s29
	s_cbranch_vccnz .LBB55_1122
; %bb.1121:
	s_wait_xcnt 0x0
	v_cvt_u16_f16_e32 v3, v2
	global_store_b16 v[0:1], v3, off
.LBB55_1122:
	s_mov_b32 s29, 0
.LBB55_1123:
	s_delay_alu instid0(SALU_CYCLE_1)
	s_and_not1_b32 vcc_lo, exec_lo, s29
	s_cbranch_vccnz .LBB55_1131
; %bb.1124:
	s_wait_xcnt 0x0
	v_cvt_f32_f16_e32 v3, v2
	v_mov_b32_e32 v5, 0x80
	s_mov_b32 s29, exec_lo
	s_delay_alu instid0(VALU_DEP_2) | instskip(NEXT) | instid1(VALU_DEP_1)
	v_and_b32_e32 v4, 0x7fffffff, v3
	v_cmpx_gt_u32_e32 0x43800000, v4
	s_cbranch_execz .LBB55_1130
; %bb.1125:
	v_cmp_lt_u32_e32 vcc_lo, 0x3bffffff, v4
	s_mov_b32 s30, 0
                                        ; implicit-def: $vgpr4
	s_and_saveexec_b32 s31, vcc_lo
	s_delay_alu instid0(SALU_CYCLE_1)
	s_xor_b32 s31, exec_lo, s31
	s_cbranch_execz .LBB55_1182
; %bb.1126:
	v_bfe_u32 v4, v3, 20, 1
	s_mov_b32 s30, exec_lo
	s_delay_alu instid0(VALU_DEP_1) | instskip(NEXT) | instid1(VALU_DEP_1)
	v_add3_u32 v4, v3, v4, 0x487ffff
	v_lshrrev_b32_e32 v4, 20, v4
	s_and_not1_saveexec_b32 s31, s31
	s_cbranch_execnz .LBB55_1183
.LBB55_1127:
	s_or_b32 exec_lo, exec_lo, s31
	v_mov_b32_e32 v5, 0
	s_and_saveexec_b32 s31, s30
.LBB55_1128:
	v_lshrrev_b32_e32 v3, 24, v3
	s_delay_alu instid0(VALU_DEP_1)
	v_and_or_b32 v5, 0x80, v3, v4
.LBB55_1129:
	s_or_b32 exec_lo, exec_lo, s31
.LBB55_1130:
	s_delay_alu instid0(SALU_CYCLE_1)
	s_or_b32 exec_lo, exec_lo, s29
	global_store_b8 v[0:1], v5, off
.LBB55_1131:
	s_mov_b32 s29, -1
.LBB55_1132:
	s_mov_b32 s30, 0
.LBB55_1133:
	s_delay_alu instid0(SALU_CYCLE_1)
	s_and_b32 vcc_lo, exec_lo, s30
	s_cbranch_vccz .LBB55_1174
; %bb.1134:
	s_cmp_gt_i32 s28, 22
	s_mov_b32 s30, -1
	s_cbranch_scc0 .LBB55_1166
; %bb.1135:
	s_cmp_lt_i32 s28, 24
	s_mov_b32 s29, -1
	s_cbranch_scc1 .LBB55_1155
; %bb.1136:
	s_cmp_gt_i32 s28, 24
	s_cbranch_scc0 .LBB55_1144
; %bb.1137:
	s_wait_xcnt 0x0
	v_cvt_f32_f16_e32 v3, v2
	v_mov_b32_e32 v5, 0x80
	s_mov_b32 s29, exec_lo
	s_delay_alu instid0(VALU_DEP_2) | instskip(NEXT) | instid1(VALU_DEP_1)
	v_and_b32_e32 v4, 0x7fffffff, v3
	v_cmpx_gt_u32_e32 0x47800000, v4
	s_cbranch_execz .LBB55_1143
; %bb.1138:
	v_cmp_lt_u32_e32 vcc_lo, 0x37ffffff, v4
	s_mov_b32 s30, 0
                                        ; implicit-def: $vgpr4
	s_and_saveexec_b32 s31, vcc_lo
	s_delay_alu instid0(SALU_CYCLE_1)
	s_xor_b32 s31, exec_lo, s31
	s_cbranch_execz .LBB55_2204
; %bb.1139:
	v_bfe_u32 v4, v3, 21, 1
	s_mov_b32 s30, exec_lo
	s_delay_alu instid0(VALU_DEP_1) | instskip(NEXT) | instid1(VALU_DEP_1)
	v_add3_u32 v4, v3, v4, 0x88fffff
	v_lshrrev_b32_e32 v4, 21, v4
	s_and_not1_saveexec_b32 s31, s31
	s_cbranch_execnz .LBB55_2205
.LBB55_1140:
	s_or_b32 exec_lo, exec_lo, s31
	v_mov_b32_e32 v5, 0
	s_and_saveexec_b32 s31, s30
.LBB55_1141:
	v_lshrrev_b32_e32 v3, 24, v3
	s_delay_alu instid0(VALU_DEP_1)
	v_and_or_b32 v5, 0x80, v3, v4
.LBB55_1142:
	s_or_b32 exec_lo, exec_lo, s31
.LBB55_1143:
	s_delay_alu instid0(SALU_CYCLE_1)
	s_or_b32 exec_lo, exec_lo, s29
	s_mov_b32 s29, 0
	global_store_b8 v[0:1], v5, off
.LBB55_1144:
	s_and_b32 vcc_lo, exec_lo, s29
	s_cbranch_vccz .LBB55_1154
; %bb.1145:
	s_wait_xcnt 0x0
	v_cvt_f32_f16_e32 v3, v2
	s_mov_b32 s29, exec_lo
                                        ; implicit-def: $vgpr4
	s_delay_alu instid0(VALU_DEP_1) | instskip(NEXT) | instid1(VALU_DEP_1)
	v_and_b32_e32 v5, 0x7fffffff, v3
	v_cmpx_gt_u32_e32 0x43f00000, v5
	s_xor_b32 s29, exec_lo, s29
	s_cbranch_execz .LBB55_1151
; %bb.1146:
	s_mov_b32 s30, exec_lo
                                        ; implicit-def: $vgpr4
	v_cmpx_lt_u32_e32 0x3c7fffff, v5
	s_xor_b32 s30, exec_lo, s30
; %bb.1147:
	v_bfe_u32 v4, v3, 20, 1
	s_delay_alu instid0(VALU_DEP_1) | instskip(NEXT) | instid1(VALU_DEP_1)
	v_add3_u32 v4, v3, v4, 0x407ffff
	v_and_b32_e32 v5, 0xff00000, v4
	v_lshrrev_b32_e32 v4, 20, v4
	s_delay_alu instid0(VALU_DEP_2) | instskip(NEXT) | instid1(VALU_DEP_2)
	v_cmp_ne_u32_e32 vcc_lo, 0x7f00000, v5
	v_cndmask_b32_e32 v4, 0x7e, v4, vcc_lo
; %bb.1148:
	s_and_not1_saveexec_b32 s30, s30
; %bb.1149:
	v_add_f32_e64 v4, 0x46800000, |v3|
; %bb.1150:
	s_or_b32 exec_lo, exec_lo, s30
                                        ; implicit-def: $vgpr5
.LBB55_1151:
	s_and_not1_saveexec_b32 s29, s29
; %bb.1152:
	v_mov_b32_e32 v4, 0x7f
	v_cmp_lt_u32_e32 vcc_lo, 0x7f800000, v5
	s_delay_alu instid0(VALU_DEP_2)
	v_cndmask_b32_e32 v4, 0x7e, v4, vcc_lo
; %bb.1153:
	s_or_b32 exec_lo, exec_lo, s29
	v_lshrrev_b32_e32 v3, 24, v3
	s_delay_alu instid0(VALU_DEP_1)
	v_and_or_b32 v3, 0x80, v3, v4
	global_store_b8 v[0:1], v3, off
.LBB55_1154:
	s_mov_b32 s29, 0
.LBB55_1155:
	s_delay_alu instid0(SALU_CYCLE_1)
	s_and_not1_b32 vcc_lo, exec_lo, s29
	s_cbranch_vccnz .LBB55_1165
; %bb.1156:
	s_wait_xcnt 0x0
	v_cvt_f32_f16_e32 v3, v2
	s_mov_b32 s29, exec_lo
                                        ; implicit-def: $vgpr4
	s_delay_alu instid0(VALU_DEP_1) | instskip(NEXT) | instid1(VALU_DEP_1)
	v_and_b32_e32 v5, 0x7fffffff, v3
	v_cmpx_gt_u32_e32 0x47800000, v5
	s_xor_b32 s29, exec_lo, s29
	s_cbranch_execz .LBB55_1162
; %bb.1157:
	s_mov_b32 s30, exec_lo
                                        ; implicit-def: $vgpr4
	v_cmpx_lt_u32_e32 0x387fffff, v5
	s_xor_b32 s30, exec_lo, s30
; %bb.1158:
	v_bfe_u32 v4, v3, 21, 1
	s_delay_alu instid0(VALU_DEP_1) | instskip(NEXT) | instid1(VALU_DEP_1)
	v_add3_u32 v4, v3, v4, 0x80fffff
	v_lshrrev_b32_e32 v4, 21, v4
; %bb.1159:
	s_and_not1_saveexec_b32 s30, s30
; %bb.1160:
	v_add_f32_e64 v4, 0x43000000, |v3|
; %bb.1161:
	s_or_b32 exec_lo, exec_lo, s30
                                        ; implicit-def: $vgpr5
.LBB55_1162:
	s_and_not1_saveexec_b32 s29, s29
; %bb.1163:
	v_mov_b32_e32 v4, 0x7f
	v_cmp_lt_u32_e32 vcc_lo, 0x7f800000, v5
	s_delay_alu instid0(VALU_DEP_2)
	v_cndmask_b32_e32 v4, 0x7c, v4, vcc_lo
; %bb.1164:
	s_or_b32 exec_lo, exec_lo, s29
	v_lshrrev_b32_e32 v3, 24, v3
	s_delay_alu instid0(VALU_DEP_1)
	v_and_or_b32 v3, 0x80, v3, v4
	global_store_b8 v[0:1], v3, off
.LBB55_1165:
	s_mov_b32 s30, 0
	s_mov_b32 s29, -1
.LBB55_1166:
	s_and_not1_b32 vcc_lo, exec_lo, s30
	s_cbranch_vccnz .LBB55_1174
; %bb.1167:
	s_cmp_gt_i32 s28, 14
	s_mov_b32 s30, -1
	s_cbranch_scc0 .LBB55_1171
; %bb.1168:
	s_cmp_eq_u32 s28, 15
	s_mov_b32 s0, -1
	s_cbranch_scc0 .LBB55_1170
; %bb.1169:
	s_wait_xcnt 0x0
	v_cvt_f32_f16_e32 v3, v2
	v_cmp_o_f16_e32 vcc_lo, v2, v2
	s_mov_b32 s29, -1
	s_mov_b32 s0, 0
	s_delay_alu instid0(VALU_DEP_2) | instskip(NEXT) | instid1(VALU_DEP_1)
	v_bfe_u32 v4, v3, 16, 1
	v_add3_u32 v3, v3, v4, 0x7fff
	s_delay_alu instid0(VALU_DEP_1) | instskip(NEXT) | instid1(VALU_DEP_1)
	v_lshrrev_b32_e32 v3, 16, v3
	v_cndmask_b32_e32 v3, 0x7fc0, v3, vcc_lo
	global_store_b16 v[0:1], v3, off
.LBB55_1170:
	s_mov_b32 s30, 0
.LBB55_1171:
	s_delay_alu instid0(SALU_CYCLE_1)
	s_and_b32 vcc_lo, exec_lo, s30
	s_cbranch_vccz .LBB55_1174
; %bb.1172:
	s_cmp_eq_u32 s28, 11
	s_mov_b32 s0, -1
	s_cbranch_scc0 .LBB55_1174
; %bb.1173:
	s_wait_xcnt 0x0
	v_and_b32_e32 v3, 0x7fff, v2
	s_mov_b32 s0, 0
	s_mov_b32 s29, -1
	s_delay_alu instid0(VALU_DEP_1)
	v_cmp_ne_u16_e32 vcc_lo, 0, v3
	v_cndmask_b32_e64 v3, 0, 1, vcc_lo
	global_store_b8 v[0:1], v3, off
.LBB55_1174:
.LBB55_1175:
	s_and_not1_b32 vcc_lo, exec_lo, s29
	s_cbranch_vccnz .LBB55_1085
.LBB55_1176:
	v_add_nc_u32_e32 v6, 0x80, v6
	s_mov_b32 s28, -1
	s_branch .LBB55_1087
.LBB55_1177:
	s_mov_b32 s29, -1
.LBB55_1178:
                                        ; implicit-def: $vgpr2
.LBB55_1179:
	s_and_b32 vcc_lo, exec_lo, s33
	s_cbranch_vccz .LBB55_1185
; %bb.1180:
	s_cmp_eq_u32 s28, 44
	s_cbranch_scc0 .LBB55_1184
; %bb.1181:
	s_wait_loadcnt 0x0
	global_load_u8 v2, v[0:1], off
	s_mov_b32 s29, 0
	s_mov_b32 s31, -1
	s_wait_loadcnt 0x0
	v_lshlrev_b32_e32 v3, 23, v2
	v_cmp_ne_u32_e32 vcc_lo, 0xff, v2
	s_delay_alu instid0(VALU_DEP_2) | instskip(NEXT) | instid1(VALU_DEP_1)
	v_cvt_f16_f32_e32 v3, v3
	v_cndmask_b32_e32 v3, 0x7e00, v3, vcc_lo
	v_cmp_ne_u32_e32 vcc_lo, 0, v2
	s_delay_alu instid0(VALU_DEP_2)
	v_cndmask_b32_e32 v2, 0, v3, vcc_lo
	s_branch .LBB55_1185
.LBB55_1182:
	s_and_not1_saveexec_b32 s31, s31
	s_cbranch_execz .LBB55_1127
.LBB55_1183:
	v_add_f32_e64 v4, 0x46000000, |v3|
	s_and_not1_b32 s30, s30, exec_lo
	s_delay_alu instid0(VALU_DEP_1) | instskip(NEXT) | instid1(VALU_DEP_1)
	v_and_b32_e32 v4, 0xff, v4
	v_cmp_ne_u32_e32 vcc_lo, 0, v4
	s_and_b32 s33, vcc_lo, exec_lo
	s_delay_alu instid0(SALU_CYCLE_1)
	s_or_b32 s30, s30, s33
	s_or_b32 exec_lo, exec_lo, s31
	v_mov_b32_e32 v5, 0
	s_and_saveexec_b32 s31, s30
	s_cbranch_execnz .LBB55_1128
	s_branch .LBB55_1129
.LBB55_1184:
	s_mov_b32 s29, -1
                                        ; implicit-def: $vgpr2
.LBB55_1185:
	s_mov_b32 s33, 0
.LBB55_1186:
	s_delay_alu instid0(SALU_CYCLE_1)
	s_and_b32 vcc_lo, exec_lo, s33
	s_cbranch_vccz .LBB55_1190
; %bb.1187:
	s_cmp_eq_u32 s28, 29
	s_cbranch_scc0 .LBB55_1189
; %bb.1188:
	s_wait_loadcnt 0x0
	global_load_b64 v[2:3], v[0:1], off
	s_mov_b32 s29, 0
	s_mov_b32 s31, -1
	s_mov_b32 s33, 0
	s_wait_loadcnt 0x0
	v_clz_i32_u32_e32 v4, v3
	s_delay_alu instid0(VALU_DEP_1) | instskip(NEXT) | instid1(VALU_DEP_1)
	v_min_u32_e32 v4, 32, v4
	v_lshlrev_b64_e32 v[2:3], v4, v[2:3]
	s_delay_alu instid0(VALU_DEP_1) | instskip(NEXT) | instid1(VALU_DEP_1)
	v_min_u32_e32 v2, 1, v2
	v_dual_sub_nc_u32 v3, 32, v4 :: v_dual_bitop2_b32 v2, v3, v2 bitop3:0x54
	s_delay_alu instid0(VALU_DEP_1) | instskip(NEXT) | instid1(VALU_DEP_1)
	v_cvt_f32_u32_e32 v2, v2
	v_ldexp_f32 v2, v2, v3
	s_delay_alu instid0(VALU_DEP_1)
	v_cvt_f16_f32_e32 v2, v2
	s_branch .LBB55_1191
.LBB55_1189:
	s_mov_b32 s29, -1
                                        ; implicit-def: $vgpr2
.LBB55_1190:
	s_mov_b32 s33, 0
.LBB55_1191:
	s_delay_alu instid0(SALU_CYCLE_1)
	s_and_b32 vcc_lo, exec_lo, s33
	s_cbranch_vccz .LBB55_1209
; %bb.1192:
	s_cmp_lt_i32 s28, 27
	s_cbranch_scc1 .LBB55_1195
; %bb.1193:
	s_cmp_gt_i32 s28, 27
	s_cbranch_scc0 .LBB55_1196
; %bb.1194:
	s_wait_loadcnt 0x0
	global_load_b32 v2, v[0:1], off
	s_mov_b32 s31, 0
	s_wait_loadcnt 0x0
	v_cvt_f32_u32_e32 v2, v2
	s_delay_alu instid0(VALU_DEP_1)
	v_cvt_f16_f32_e32 v2, v2
	s_branch .LBB55_1197
.LBB55_1195:
	s_mov_b32 s31, -1
                                        ; implicit-def: $vgpr2
	s_branch .LBB55_1200
.LBB55_1196:
	s_mov_b32 s31, -1
                                        ; implicit-def: $vgpr2
.LBB55_1197:
	s_delay_alu instid0(SALU_CYCLE_1)
	s_and_not1_b32 vcc_lo, exec_lo, s31
	s_cbranch_vccnz .LBB55_1199
; %bb.1198:
	s_wait_loadcnt 0x0
	global_load_u16 v2, v[0:1], off
	s_wait_loadcnt 0x0
	v_cvt_f16_u16_e32 v2, v2
.LBB55_1199:
	s_mov_b32 s31, 0
.LBB55_1200:
	s_delay_alu instid0(SALU_CYCLE_1)
	s_and_not1_b32 vcc_lo, exec_lo, s31
	s_cbranch_vccnz .LBB55_1208
; %bb.1201:
	s_wait_loadcnt 0x0
	global_load_u8 v3, v[0:1], off
	s_mov_b32 s31, 0
	s_mov_b32 s33, exec_lo
	s_wait_loadcnt 0x0
	v_cmpx_lt_i16_e32 0x7f, v3
	s_xor_b32 s33, exec_lo, s33
	s_cbranch_execz .LBB55_1222
; %bb.1202:
	s_mov_b32 s31, -1
	s_mov_b32 s34, exec_lo
	v_cmpx_eq_u16_e32 0x80, v3
; %bb.1203:
	s_xor_b32 s31, exec_lo, -1
; %bb.1204:
	s_or_b32 exec_lo, exec_lo, s34
	s_delay_alu instid0(SALU_CYCLE_1)
	s_and_b32 s31, s31, exec_lo
	s_or_saveexec_b32 s33, s33
	v_mov_b32_e32 v2, 0x7e00
	s_xor_b32 exec_lo, exec_lo, s33
	s_cbranch_execnz .LBB55_1223
.LBB55_1205:
	s_or_b32 exec_lo, exec_lo, s33
	s_and_saveexec_b32 s33, s31
	s_cbranch_execz .LBB55_1207
.LBB55_1206:
	v_and_b32_e32 v2, 0xffff, v3
	s_delay_alu instid0(VALU_DEP_1) | instskip(SKIP_1) | instid1(VALU_DEP_2)
	v_and_b32_e32 v4, 7, v2
	v_bfe_u32 v8, v2, 3, 4
	v_clz_i32_u32_e32 v5, v4
	s_delay_alu instid0(VALU_DEP_2) | instskip(NEXT) | instid1(VALU_DEP_2)
	v_cmp_eq_u32_e32 vcc_lo, 0, v8
	v_min_u32_e32 v5, 32, v5
	s_delay_alu instid0(VALU_DEP_1) | instskip(NEXT) | instid1(VALU_DEP_1)
	v_subrev_nc_u32_e32 v7, 28, v5
	v_dual_lshlrev_b32 v2, v7, v2 :: v_dual_sub_nc_u32 v5, 29, v5
	s_delay_alu instid0(VALU_DEP_1) | instskip(NEXT) | instid1(VALU_DEP_2)
	v_dual_lshlrev_b32 v3, 24, v3 :: v_dual_bitop2_b32 v2, 7, v2 bitop3:0x40
	v_cndmask_b32_e32 v5, v8, v5, vcc_lo
	s_delay_alu instid0(VALU_DEP_2) | instskip(NEXT) | instid1(VALU_DEP_3)
	v_cndmask_b32_e32 v2, v4, v2, vcc_lo
	v_and_b32_e32 v3, 0x80000000, v3
	s_delay_alu instid0(VALU_DEP_3) | instskip(NEXT) | instid1(VALU_DEP_3)
	v_lshl_add_u32 v4, v5, 23, 0x3b800000
	v_lshlrev_b32_e32 v2, 20, v2
	s_delay_alu instid0(VALU_DEP_1) | instskip(NEXT) | instid1(VALU_DEP_1)
	v_or3_b32 v2, v3, v4, v2
	v_cvt_f16_f32_e32 v2, v2
.LBB55_1207:
	s_or_b32 exec_lo, exec_lo, s33
.LBB55_1208:
	s_mov_b32 s31, -1
.LBB55_1209:
	s_mov_b32 s33, 0
.LBB55_1210:
	s_delay_alu instid0(SALU_CYCLE_1)
	s_and_b32 vcc_lo, exec_lo, s33
	s_cbranch_vccz .LBB55_1243
; %bb.1211:
	s_cmp_gt_i32 s28, 22
	s_cbranch_scc0 .LBB55_1221
; %bb.1212:
	s_cmp_lt_i32 s28, 24
	s_cbranch_scc1 .LBB55_1224
; %bb.1213:
	s_cmp_gt_i32 s28, 24
	s_cbranch_scc0 .LBB55_1225
; %bb.1214:
	s_wait_loadcnt 0x0
	global_load_u8 v3, v[0:1], off
	s_mov_b32 s31, exec_lo
	s_wait_loadcnt 0x0
	v_cmpx_lt_i16_e32 0x7f, v3
	s_xor_b32 s31, exec_lo, s31
	s_cbranch_execz .LBB55_1237
; %bb.1215:
	s_mov_b32 s30, -1
	s_mov_b32 s33, exec_lo
	v_cmpx_eq_u16_e32 0x80, v3
; %bb.1216:
	s_xor_b32 s30, exec_lo, -1
; %bb.1217:
	s_or_b32 exec_lo, exec_lo, s33
	s_delay_alu instid0(SALU_CYCLE_1)
	s_and_b32 s30, s30, exec_lo
	s_or_saveexec_b32 s31, s31
	v_mov_b32_e32 v2, 0x7e00
	s_xor_b32 exec_lo, exec_lo, s31
	s_cbranch_execnz .LBB55_1238
.LBB55_1218:
	s_or_b32 exec_lo, exec_lo, s31
	s_and_saveexec_b32 s31, s30
	s_cbranch_execz .LBB55_1220
.LBB55_1219:
	v_and_b32_e32 v2, 0xffff, v3
	s_delay_alu instid0(VALU_DEP_1) | instskip(SKIP_1) | instid1(VALU_DEP_2)
	v_and_b32_e32 v4, 3, v2
	v_bfe_u32 v8, v2, 2, 5
	v_clz_i32_u32_e32 v5, v4
	s_delay_alu instid0(VALU_DEP_2) | instskip(NEXT) | instid1(VALU_DEP_2)
	v_cmp_eq_u32_e32 vcc_lo, 0, v8
	v_min_u32_e32 v5, 32, v5
	s_delay_alu instid0(VALU_DEP_1) | instskip(NEXT) | instid1(VALU_DEP_1)
	v_subrev_nc_u32_e32 v7, 29, v5
	v_dual_lshlrev_b32 v2, v7, v2 :: v_dual_sub_nc_u32 v5, 30, v5
	s_delay_alu instid0(VALU_DEP_1) | instskip(NEXT) | instid1(VALU_DEP_2)
	v_dual_lshlrev_b32 v3, 24, v3 :: v_dual_bitop2_b32 v2, 3, v2 bitop3:0x40
	v_cndmask_b32_e32 v5, v8, v5, vcc_lo
	s_delay_alu instid0(VALU_DEP_2) | instskip(NEXT) | instid1(VALU_DEP_3)
	v_cndmask_b32_e32 v2, v4, v2, vcc_lo
	v_and_b32_e32 v3, 0x80000000, v3
	s_delay_alu instid0(VALU_DEP_3) | instskip(NEXT) | instid1(VALU_DEP_3)
	v_lshl_add_u32 v4, v5, 23, 0x37800000
	v_lshlrev_b32_e32 v2, 21, v2
	s_delay_alu instid0(VALU_DEP_1) | instskip(NEXT) | instid1(VALU_DEP_1)
	v_or3_b32 v2, v3, v4, v2
	v_cvt_f16_f32_e32 v2, v2
.LBB55_1220:
	s_or_b32 exec_lo, exec_lo, s31
	s_mov_b32 s30, 0
	s_branch .LBB55_1226
.LBB55_1221:
	s_mov_b32 s30, -1
                                        ; implicit-def: $vgpr2
	s_branch .LBB55_1232
.LBB55_1222:
	s_or_saveexec_b32 s33, s33
	v_mov_b32_e32 v2, 0x7e00
	s_xor_b32 exec_lo, exec_lo, s33
	s_cbranch_execz .LBB55_1205
.LBB55_1223:
	v_cmp_ne_u16_e32 vcc_lo, 0, v3
	v_mov_b32_e32 v2, v3
	s_and_not1_b32 s31, s31, exec_lo
	s_and_b32 s34, vcc_lo, exec_lo
	s_delay_alu instid0(SALU_CYCLE_1)
	s_or_b32 s31, s31, s34
	s_or_b32 exec_lo, exec_lo, s33
	s_and_saveexec_b32 s33, s31
	s_cbranch_execnz .LBB55_1206
	s_branch .LBB55_1207
.LBB55_1224:
	s_mov_b32 s30, -1
                                        ; implicit-def: $vgpr2
	s_branch .LBB55_1229
.LBB55_1225:
	s_mov_b32 s30, -1
                                        ; implicit-def: $vgpr2
.LBB55_1226:
	s_delay_alu instid0(SALU_CYCLE_1)
	s_and_b32 vcc_lo, exec_lo, s30
	s_cbranch_vccz .LBB55_1228
; %bb.1227:
	s_wait_loadcnt 0x0
	global_load_u8 v2, v[0:1], off
	s_wait_loadcnt 0x0
	v_lshlrev_b32_e32 v2, 24, v2
	s_delay_alu instid0(VALU_DEP_1) | instskip(NEXT) | instid1(VALU_DEP_1)
	v_and_b32_e32 v3, 0x7f000000, v2
	v_clz_i32_u32_e32 v4, v3
	v_add_nc_u32_e32 v7, 0x1000000, v3
	v_cmp_ne_u32_e32 vcc_lo, 0, v3
	s_delay_alu instid0(VALU_DEP_3) | instskip(NEXT) | instid1(VALU_DEP_1)
	v_min_u32_e32 v4, 32, v4
	v_sub_nc_u32_e64 v4, v4, 4 clamp
	s_delay_alu instid0(VALU_DEP_1) | instskip(NEXT) | instid1(VALU_DEP_1)
	v_dual_lshlrev_b32 v5, v4, v3 :: v_dual_lshlrev_b32 v4, 23, v4
	v_lshrrev_b32_e32 v5, 4, v5
	s_delay_alu instid0(VALU_DEP_1) | instskip(NEXT) | instid1(VALU_DEP_1)
	v_dual_sub_nc_u32 v4, v5, v4 :: v_dual_ashrrev_i32 v5, 8, v7
	v_add_nc_u32_e32 v4, 0x3c000000, v4
	s_delay_alu instid0(VALU_DEP_1) | instskip(NEXT) | instid1(VALU_DEP_1)
	v_and_or_b32 v4, 0x7f800000, v5, v4
	v_cndmask_b32_e32 v3, 0, v4, vcc_lo
	s_delay_alu instid0(VALU_DEP_1) | instskip(NEXT) | instid1(VALU_DEP_1)
	v_and_or_b32 v2, 0x80000000, v2, v3
	v_cvt_f16_f32_e32 v2, v2
.LBB55_1228:
	s_mov_b32 s30, 0
.LBB55_1229:
	s_delay_alu instid0(SALU_CYCLE_1)
	s_and_not1_b32 vcc_lo, exec_lo, s30
	s_cbranch_vccnz .LBB55_1231
; %bb.1230:
	s_wait_loadcnt 0x0
	global_load_u8 v2, v[0:1], off
	s_wait_loadcnt 0x0
	v_lshlrev_b32_e32 v3, 25, v2
	v_lshlrev_b16 v2, 8, v2
	s_delay_alu instid0(VALU_DEP_1) | instskip(SKIP_1) | instid1(VALU_DEP_2)
	v_and_or_b32 v5, 0x7f00, v2, 0.5
	v_bfe_i32 v2, v2, 0, 16
	v_dual_add_f32 v5, -0.5, v5 :: v_dual_lshrrev_b32 v4, 4, v3
	v_cmp_gt_u32_e32 vcc_lo, 0x8000000, v3
	s_delay_alu instid0(VALU_DEP_2) | instskip(NEXT) | instid1(VALU_DEP_1)
	v_or_b32_e32 v4, 0x70000000, v4
	v_mul_f32_e32 v4, 0x7800000, v4
	s_delay_alu instid0(VALU_DEP_1) | instskip(NEXT) | instid1(VALU_DEP_1)
	v_cndmask_b32_e32 v3, v4, v5, vcc_lo
	v_and_or_b32 v2, 0x80000000, v2, v3
	s_delay_alu instid0(VALU_DEP_1)
	v_cvt_f16_f32_e32 v2, v2
.LBB55_1231:
	s_mov_b32 s30, 0
	s_mov_b32 s31, -1
.LBB55_1232:
	s_and_not1_b32 vcc_lo, exec_lo, s30
	s_mov_b32 s30, 0
	s_cbranch_vccnz .LBB55_1243
; %bb.1233:
	s_cmp_gt_i32 s28, 14
	s_cbranch_scc0 .LBB55_1236
; %bb.1234:
	s_cmp_eq_u32 s28, 15
	s_cbranch_scc0 .LBB55_1239
; %bb.1235:
	s_wait_loadcnt 0x0
	global_load_u16 v2, v[0:1], off
	s_mov_b32 s29, 0
	s_mov_b32 s31, -1
	s_wait_loadcnt 0x0
	v_lshlrev_b32_e32 v2, 16, v2
	s_delay_alu instid0(VALU_DEP_1)
	v_cvt_f16_f32_e32 v2, v2
	s_branch .LBB55_1241
.LBB55_1236:
	s_mov_b32 s30, -1
	s_branch .LBB55_1240
.LBB55_1237:
	s_or_saveexec_b32 s31, s31
	v_mov_b32_e32 v2, 0x7e00
	s_xor_b32 exec_lo, exec_lo, s31
	s_cbranch_execz .LBB55_1218
.LBB55_1238:
	v_cmp_ne_u16_e32 vcc_lo, 0, v3
	v_mov_b32_e32 v2, v3
	s_and_not1_b32 s30, s30, exec_lo
	s_and_b32 s33, vcc_lo, exec_lo
	s_delay_alu instid0(SALU_CYCLE_1)
	s_or_b32 s30, s30, s33
	s_or_b32 exec_lo, exec_lo, s31
	s_and_saveexec_b32 s31, s30
	s_cbranch_execnz .LBB55_1219
	s_branch .LBB55_1220
.LBB55_1239:
	s_mov_b32 s29, -1
.LBB55_1240:
                                        ; implicit-def: $vgpr2
.LBB55_1241:
	s_and_b32 vcc_lo, exec_lo, s30
	s_mov_b32 s30, 0
	s_cbranch_vccz .LBB55_1243
; %bb.1242:
	s_cmp_lg_u32 s28, 11
	s_mov_b32 s30, -1
	s_cselect_b32 s28, -1, 0
	s_and_not1_b32 s29, s29, exec_lo
	s_and_b32 s28, s28, exec_lo
	s_delay_alu instid0(SALU_CYCLE_1)
	s_or_b32 s29, s29, s28
.LBB55_1243:
	s_mov_b32 s28, 0
.LBB55_1244:
	s_and_not1_b32 s33, s25, exec_lo
	s_and_b32 s29, s29, exec_lo
	s_and_b32 s34, s31, exec_lo
	;; [unrolled: 1-line block ×4, first 2 shown]
	s_or_b32 s33, s33, s29
.LBB55_1245:
	s_wait_xcnt 0x0
	s_or_b32 exec_lo, exec_lo, s16
	s_delay_alu instid0(SALU_CYCLE_1)
	s_and_not1_b32 s16, s25, exec_lo
	s_and_b32 s25, s33, exec_lo
	s_and_b32 s30, s34, exec_lo
	;; [unrolled: 1-line block ×4, first 2 shown]
	s_or_b32 s25, s16, s25
.LBB55_1246:
	s_or_b32 exec_lo, exec_lo, s24
	s_delay_alu instid0(SALU_CYCLE_1)
	s_and_not1_b32 s16, s21, exec_lo
	s_and_b32 s21, s27, exec_lo
	s_and_not1_b32 s22, s22, exec_lo
	s_and_b32 s24, s26, exec_lo
	s_or_b32 s21, s16, s21
	s_and_not1_b32 s16, s20, exec_lo
	s_and_b32 s20, s25, exec_lo
	s_or_b32 s22, s22, s24
	s_and_b32 s27, s30, exec_lo
	s_and_b32 s26, s29, exec_lo
	;; [unrolled: 1-line block ×3, first 2 shown]
	s_or_b32 s20, s16, s20
.LBB55_1247:
	s_or_b32 exec_lo, exec_lo, s23
	s_delay_alu instid0(SALU_CYCLE_1)
	s_and_not1_b32 s15, s15, exec_lo
	s_and_b32 s16, s21, exec_lo
	s_and_not1_b32 s17, s17, exec_lo
	s_and_b32 s21, s22, exec_lo
	s_or_b32 s15, s15, s16
	s_and_not1_b32 s16, s18, exec_lo
	s_and_b32 s18, s20, exec_lo
	s_or_b32 s17, s17, s21
	s_and_b32 s21, s27, exec_lo
	s_and_b32 s22, s26, exec_lo
	s_and_b32 s20, s24, exec_lo
	s_or_b32 s18, s16, s18
	s_or_b32 exec_lo, exec_lo, s19
	s_mov_b32 s16, 0
	s_and_saveexec_b32 s19, s18
	s_cbranch_execz .LBB55_391
.LBB55_1248:
	s_mov_b32 s16, exec_lo
	s_and_not1_b32 s20, s20, exec_lo
	s_trap 2
	s_or_b32 exec_lo, exec_lo, s19
	s_and_saveexec_b32 s18, s20
	s_delay_alu instid0(SALU_CYCLE_1)
	s_xor_b32 s18, exec_lo, s18
	s_cbranch_execnz .LBB55_392
.LBB55_1249:
	s_or_b32 exec_lo, exec_lo, s18
	s_and_saveexec_b32 s18, s22
	s_cbranch_execz .LBB55_1295
.LBB55_1250:
	s_sext_i32_i16 s19, s0
	s_delay_alu instid0(SALU_CYCLE_1)
	s_cmp_lt_i32 s19, 5
	s_cbranch_scc1 .LBB55_1255
; %bb.1251:
	s_cmp_lt_i32 s19, 8
	s_cbranch_scc1 .LBB55_1256
; %bb.1252:
	;; [unrolled: 3-line block ×3, first 2 shown]
	s_cmp_gt_i32 s19, 9
	s_cbranch_scc0 .LBB55_1258
; %bb.1254:
	s_wait_loadcnt 0x0
	global_load_b64 v[2:3], v[0:1], off
	s_mov_b32 s19, 0
	s_wait_loadcnt 0x0
	v_and_or_b32 v2, 0x1ff, v3, v2
	v_lshrrev_b32_e32 v4, 8, v3
	v_bfe_u32 v5, v3, 20, 11
	v_lshrrev_b32_e32 v3, 16, v3
	s_delay_alu instid0(VALU_DEP_4) | instskip(NEXT) | instid1(VALU_DEP_3)
	v_cmp_ne_u32_e32 vcc_lo, 0, v2
	v_sub_nc_u32_e32 v7, 0x3f1, v5
	v_add_nc_u32_e32 v5, 0xfffffc10, v5
	v_cndmask_b32_e64 v2, 0, 1, vcc_lo
	s_delay_alu instid0(VALU_DEP_1) | instskip(NEXT) | instid1(VALU_DEP_4)
	v_and_or_b32 v2, 0xffe, v4, v2
	v_med3_i32 v4, v7, 0, 13
	s_delay_alu instid0(VALU_DEP_2) | instskip(NEXT) | instid1(VALU_DEP_1)
	v_or_b32_e32 v7, 0x1000, v2
	v_lshrrev_b32_e32 v8, v4, v7
	s_delay_alu instid0(VALU_DEP_1) | instskip(NEXT) | instid1(VALU_DEP_1)
	v_lshlrev_b32_e32 v4, v4, v8
	v_cmp_ne_u32_e32 vcc_lo, v4, v7
	v_lshl_or_b32 v7, v5, 12, v2
	v_cndmask_b32_e64 v4, 0, 1, vcc_lo
	v_cmp_gt_i32_e32 vcc_lo, 1, v5
	s_delay_alu instid0(VALU_DEP_2) | instskip(NEXT) | instid1(VALU_DEP_1)
	v_or_b32_e32 v4, v8, v4
	v_cndmask_b32_e32 v4, v7, v4, vcc_lo
	s_delay_alu instid0(VALU_DEP_1) | instskip(NEXT) | instid1(VALU_DEP_1)
	v_dual_lshrrev_b32 v4, 2, v4 :: v_dual_bitop2_b32 v7, 7, v4 bitop3:0x40
	v_cmp_lt_i32_e32 vcc_lo, 5, v7
	v_cndmask_b32_e64 v8, 0, 1, vcc_lo
	v_cmp_eq_u32_e32 vcc_lo, 3, v7
	v_cndmask_b32_e64 v7, 0, 1, vcc_lo
	v_cmp_ne_u32_e32 vcc_lo, 0, v2
	s_delay_alu instid0(VALU_DEP_2) | instskip(SKIP_1) | instid1(VALU_DEP_2)
	v_or_b32_e32 v7, v7, v8
	v_mov_b32_e32 v8, 0x7e00
	v_add_nc_u32_e32 v4, v4, v7
	s_delay_alu instid0(VALU_DEP_2) | instskip(SKIP_1) | instid1(VALU_DEP_3)
	v_cndmask_b32_e32 v2, 0x7c00, v8, vcc_lo
	v_cmp_gt_i32_e32 vcc_lo, 31, v5
	v_cndmask_b32_e32 v4, 0x7c00, v4, vcc_lo
	v_cmp_eq_u32_e32 vcc_lo, 0x40f, v5
	s_delay_alu instid0(VALU_DEP_2) | instskip(NEXT) | instid1(VALU_DEP_1)
	v_cndmask_b32_e32 v2, v4, v2, vcc_lo
	v_and_or_b32 v2, 0x8000, v3, v2
	s_branch .LBB55_1259
.LBB55_1255:
                                        ; implicit-def: $vgpr2
	s_branch .LBB55_1276
.LBB55_1256:
                                        ; implicit-def: $vgpr2
	s_branch .LBB55_1265
.LBB55_1257:
	s_mov_b32 s19, -1
                                        ; implicit-def: $vgpr2
	s_branch .LBB55_1262
.LBB55_1258:
	s_mov_b32 s19, -1
                                        ; implicit-def: $vgpr2
.LBB55_1259:
	s_delay_alu instid0(SALU_CYCLE_1)
	s_and_not1_b32 vcc_lo, exec_lo, s19
	s_cbranch_vccnz .LBB55_1261
; %bb.1260:
	s_wait_loadcnt 0x0
	global_load_b32 v2, v[0:1], off
	s_wait_loadcnt 0x0
	v_cvt_f16_f32_e32 v2, v2
.LBB55_1261:
	s_mov_b32 s19, 0
.LBB55_1262:
	s_delay_alu instid0(SALU_CYCLE_1)
	s_and_not1_b32 vcc_lo, exec_lo, s19
	s_cbranch_vccnz .LBB55_1264
; %bb.1263:
	s_wait_loadcnt 0x0
	global_load_b32 v2, v[0:1], off
.LBB55_1264:
	s_cbranch_execnz .LBB55_1275
.LBB55_1265:
	s_sext_i32_i16 s19, s0
	s_delay_alu instid0(SALU_CYCLE_1)
	s_cmp_lt_i32 s19, 6
	s_cbranch_scc1 .LBB55_1268
; %bb.1266:
	s_cmp_gt_i32 s19, 6
	s_cbranch_scc0 .LBB55_1269
; %bb.1267:
	s_wait_loadcnt 0x0
	global_load_b64 v[2:3], v[0:1], off
	s_mov_b32 s19, 0
	s_wait_loadcnt 0x0
	v_and_or_b32 v2, 0x1ff, v3, v2
	v_lshrrev_b32_e32 v4, 8, v3
	v_bfe_u32 v5, v3, 20, 11
	v_lshrrev_b32_e32 v3, 16, v3
	s_delay_alu instid0(VALU_DEP_4) | instskip(NEXT) | instid1(VALU_DEP_3)
	v_cmp_ne_u32_e32 vcc_lo, 0, v2
	v_sub_nc_u32_e32 v7, 0x3f1, v5
	v_add_nc_u32_e32 v5, 0xfffffc10, v5
	v_cndmask_b32_e64 v2, 0, 1, vcc_lo
	s_delay_alu instid0(VALU_DEP_1) | instskip(NEXT) | instid1(VALU_DEP_4)
	v_and_or_b32 v2, 0xffe, v4, v2
	v_med3_i32 v4, v7, 0, 13
	s_delay_alu instid0(VALU_DEP_2) | instskip(NEXT) | instid1(VALU_DEP_1)
	v_or_b32_e32 v7, 0x1000, v2
	v_lshrrev_b32_e32 v8, v4, v7
	s_delay_alu instid0(VALU_DEP_1) | instskip(NEXT) | instid1(VALU_DEP_1)
	v_lshlrev_b32_e32 v4, v4, v8
	v_cmp_ne_u32_e32 vcc_lo, v4, v7
	v_lshl_or_b32 v7, v5, 12, v2
	v_cndmask_b32_e64 v4, 0, 1, vcc_lo
	v_cmp_gt_i32_e32 vcc_lo, 1, v5
	s_delay_alu instid0(VALU_DEP_2) | instskip(NEXT) | instid1(VALU_DEP_1)
	v_or_b32_e32 v4, v8, v4
	v_cndmask_b32_e32 v4, v7, v4, vcc_lo
	s_delay_alu instid0(VALU_DEP_1) | instskip(NEXT) | instid1(VALU_DEP_1)
	v_dual_lshrrev_b32 v4, 2, v4 :: v_dual_bitop2_b32 v7, 7, v4 bitop3:0x40
	v_cmp_lt_i32_e32 vcc_lo, 5, v7
	v_cndmask_b32_e64 v8, 0, 1, vcc_lo
	v_cmp_eq_u32_e32 vcc_lo, 3, v7
	v_cndmask_b32_e64 v7, 0, 1, vcc_lo
	v_cmp_ne_u32_e32 vcc_lo, 0, v2
	s_delay_alu instid0(VALU_DEP_2) | instskip(SKIP_1) | instid1(VALU_DEP_2)
	v_or_b32_e32 v7, v7, v8
	v_mov_b32_e32 v8, 0x7e00
	v_add_nc_u32_e32 v4, v4, v7
	s_delay_alu instid0(VALU_DEP_2) | instskip(SKIP_1) | instid1(VALU_DEP_3)
	v_cndmask_b32_e32 v2, 0x7c00, v8, vcc_lo
	v_cmp_gt_i32_e32 vcc_lo, 31, v5
	v_cndmask_b32_e32 v4, 0x7c00, v4, vcc_lo
	v_cmp_eq_u32_e32 vcc_lo, 0x40f, v5
	s_delay_alu instid0(VALU_DEP_2) | instskip(NEXT) | instid1(VALU_DEP_1)
	v_cndmask_b32_e32 v2, v4, v2, vcc_lo
	v_and_or_b32 v2, 0x8000, v3, v2
	s_branch .LBB55_1270
.LBB55_1268:
	s_mov_b32 s19, -1
                                        ; implicit-def: $vgpr2
	s_branch .LBB55_1273
.LBB55_1269:
	s_mov_b32 s19, -1
                                        ; implicit-def: $vgpr2
.LBB55_1270:
	s_delay_alu instid0(SALU_CYCLE_1)
	s_and_not1_b32 vcc_lo, exec_lo, s19
	s_cbranch_vccnz .LBB55_1272
; %bb.1271:
	s_wait_loadcnt 0x0
	global_load_b32 v2, v[0:1], off
	s_wait_loadcnt 0x0
	v_cvt_f16_f32_e32 v2, v2
.LBB55_1272:
	s_mov_b32 s19, 0
.LBB55_1273:
	s_delay_alu instid0(SALU_CYCLE_1)
	s_and_not1_b32 vcc_lo, exec_lo, s19
	s_cbranch_vccnz .LBB55_1275
; %bb.1274:
	s_wait_loadcnt 0x0
	global_load_u16 v2, v[0:1], off
.LBB55_1275:
	s_cbranch_execnz .LBB55_1294
.LBB55_1276:
	s_sext_i32_i16 s19, s0
	s_delay_alu instid0(SALU_CYCLE_1)
	s_cmp_lt_i32 s19, 2
	s_cbranch_scc1 .LBB55_1280
; %bb.1277:
	s_cmp_lt_i32 s19, 3
	s_cbranch_scc1 .LBB55_1281
; %bb.1278:
	s_cmp_gt_i32 s19, 3
	s_cbranch_scc0 .LBB55_1282
; %bb.1279:
	s_wait_loadcnt 0x0
	global_load_b64 v[2:3], v[0:1], off
	s_mov_b32 s19, 0
	s_wait_loadcnt 0x0
	v_xor_b32_e32 v4, v2, v3
	v_cls_i32_e32 v5, v3
	s_delay_alu instid0(VALU_DEP_2) | instskip(NEXT) | instid1(VALU_DEP_1)
	v_ashrrev_i32_e32 v4, 31, v4
	v_add_nc_u32_e32 v4, 32, v4
	s_delay_alu instid0(VALU_DEP_1) | instskip(NEXT) | instid1(VALU_DEP_1)
	v_add_min_u32_e64 v4, v5, -1, v4
	v_lshlrev_b64_e32 v[2:3], v4, v[2:3]
	s_delay_alu instid0(VALU_DEP_1) | instskip(NEXT) | instid1(VALU_DEP_1)
	v_min_u32_e32 v2, 1, v2
	v_dual_sub_nc_u32 v3, 32, v4 :: v_dual_bitop2_b32 v2, v3, v2 bitop3:0x54
	s_delay_alu instid0(VALU_DEP_1) | instskip(NEXT) | instid1(VALU_DEP_1)
	v_cvt_f32_i32_e32 v2, v2
	v_ldexp_f32 v2, v2, v3
	s_delay_alu instid0(VALU_DEP_1)
	v_cvt_f16_f32_e32 v2, v2
	s_branch .LBB55_1283
.LBB55_1280:
                                        ; implicit-def: $vgpr2
	s_branch .LBB55_1289
.LBB55_1281:
	s_mov_b32 s19, -1
                                        ; implicit-def: $vgpr2
	s_branch .LBB55_1286
.LBB55_1282:
	s_mov_b32 s19, -1
                                        ; implicit-def: $vgpr2
.LBB55_1283:
	s_delay_alu instid0(SALU_CYCLE_1)
	s_and_not1_b32 vcc_lo, exec_lo, s19
	s_cbranch_vccnz .LBB55_1285
; %bb.1284:
	s_wait_loadcnt 0x0
	global_load_b32 v2, v[0:1], off
	s_wait_loadcnt 0x0
	v_cvt_f32_i32_e32 v2, v2
	s_delay_alu instid0(VALU_DEP_1)
	v_cvt_f16_f32_e32 v2, v2
.LBB55_1285:
	s_mov_b32 s19, 0
.LBB55_1286:
	s_delay_alu instid0(SALU_CYCLE_1)
	s_and_not1_b32 vcc_lo, exec_lo, s19
	s_cbranch_vccnz .LBB55_1288
; %bb.1287:
	s_wait_loadcnt 0x0
	global_load_u16 v2, v[0:1], off
	s_wait_loadcnt 0x0
	v_cvt_f16_i16_e32 v2, v2
.LBB55_1288:
	s_cbranch_execnz .LBB55_1294
.LBB55_1289:
	s_sext_i32_i16 s0, s0
	s_delay_alu instid0(SALU_CYCLE_1)
	s_cmp_gt_i32 s0, 0
	s_mov_b32 s0, 0
	s_cbranch_scc0 .LBB55_1291
; %bb.1290:
	s_wait_loadcnt 0x0
	global_load_i8 v2, v[0:1], off
	s_wait_loadcnt 0x0
	v_cvt_f16_i16_e32 v2, v2
	s_branch .LBB55_1292
.LBB55_1291:
	s_mov_b32 s0, -1
                                        ; implicit-def: $vgpr2
.LBB55_1292:
	s_delay_alu instid0(SALU_CYCLE_1)
	s_and_not1_b32 vcc_lo, exec_lo, s0
	s_cbranch_vccnz .LBB55_1294
; %bb.1293:
	global_load_u8 v0, v[0:1], off
	s_wait_loadcnt 0x0
	v_cvt_f16_u16_e32 v2, v0
.LBB55_1294:
	s_or_b32 s21, s21, exec_lo
.LBB55_1295:
	s_wait_xcnt 0x0
	s_or_b32 exec_lo, exec_lo, s18
	s_mov_b32 s20, 0
	s_mov_b32 s22, 0
	;; [unrolled: 1-line block ×3, first 2 shown]
                                        ; implicit-def: $sgpr0
                                        ; implicit-def: $vgpr0_vgpr1
                                        ; implicit-def: $vgpr4
	s_and_saveexec_b32 s18, s21
	s_cbranch_execz .LBB55_1303
; %bb.1296:
	v_mul_lo_u32 v0, v6, s10
	s_and_b32 s0, s1, 0xff
	s_delay_alu instid0(SALU_CYCLE_1) | instskip(NEXT) | instid1(VALU_DEP_1)
	s_cmp_lt_i32 s0, 11
	v_ashrrev_i32_e32 v1, 31, v0
	s_delay_alu instid0(VALU_DEP_1)
	v_add_nc_u64_e32 v[0:1], s[2:3], v[0:1]
	s_cbranch_scc1 .LBB55_1306
; %bb.1297:
	s_and_b32 s19, 0xffff, s0
	s_mov_b32 s21, 0
	s_cmp_gt_i32 s19, 25
	s_cbranch_scc0 .LBB55_1307
; %bb.1298:
	s_cmp_gt_i32 s19, 28
	s_cbranch_scc0 .LBB55_1308
; %bb.1299:
	;; [unrolled: 3-line block ×4, first 2 shown]
	s_cmp_eq_u32 s19, 46
	s_mov_b32 s23, 0
	s_cbranch_scc0 .LBB55_1311
; %bb.1302:
	s_wait_loadcnt 0x0
	global_load_b32 v3, v[0:1], off
	s_mov_b32 s22, -1
	s_wait_loadcnt 0x0
	v_lshlrev_b32_e32 v3, 16, v3
	s_delay_alu instid0(VALU_DEP_1)
	v_cvt_f16_f32_e32 v4, v3
	s_branch .LBB55_1313
.LBB55_1303:
	s_or_b32 exec_lo, exec_lo, s18
	s_and_saveexec_b32 s18, s17
	s_cbranch_execnz .LBB55_1376
.LBB55_1304:
	s_or_b32 exec_lo, exec_lo, s18
	s_and_saveexec_b32 s17, s20
	s_delay_alu instid0(SALU_CYCLE_1)
	s_xor_b32 s17, exec_lo, s17
	s_cbranch_execz .LBB55_1377
.LBB55_1305:
	s_wait_loadcnt 0x0
	global_load_u8 v3, v[0:1], off
	s_or_b32 s19, s19, exec_lo
	s_wait_loadcnt 0x0
	v_cmp_ne_u16_e32 vcc_lo, 0, v3
	v_cndmask_b32_e64 v4, 0, 0x3c00, vcc_lo
	s_wait_xcnt 0x0
	s_or_b32 exec_lo, exec_lo, s17
	s_and_saveexec_b32 s17, s22
	s_cbranch_execz .LBB55_1423
	s_branch .LBB55_1378
.LBB55_1306:
	s_mov_b32 s23, -1
	s_mov_b32 s21, 0
	s_mov_b32 s20, s17
                                        ; implicit-def: $vgpr4
	s_branch .LBB55_1375
.LBB55_1307:
	s_mov_b32 s20, s17
                                        ; implicit-def: $vgpr4
	s_cbranch_execnz .LBB55_1342
	s_branch .LBB55_1374
.LBB55_1308:
	s_mov_b32 s23, -1
	s_mov_b32 s20, s17
                                        ; implicit-def: $vgpr4
	s_branch .LBB55_1323
.LBB55_1309:
	s_mov_b32 s23, -1
	s_mov_b32 s20, s17
                                        ; implicit-def: $vgpr4
	s_branch .LBB55_1318
.LBB55_1310:
	s_mov_b32 s23, -1
	s_mov_b32 s20, s17
	s_branch .LBB55_1312
.LBB55_1311:
	s_mov_b32 s20, -1
.LBB55_1312:
                                        ; implicit-def: $vgpr4
.LBB55_1313:
	s_and_b32 vcc_lo, exec_lo, s23
	s_cbranch_vccz .LBB55_1317
; %bb.1314:
	s_cmp_eq_u32 s19, 44
	s_cbranch_scc0 .LBB55_1316
; %bb.1315:
	s_wait_loadcnt 0x0
	global_load_u8 v3, v[0:1], off
	s_mov_b32 s20, 0
	s_mov_b32 s22, -1
	s_wait_loadcnt 0x0
	v_lshlrev_b32_e32 v4, 23, v3
	v_cmp_ne_u32_e32 vcc_lo, 0xff, v3
	s_delay_alu instid0(VALU_DEP_2) | instskip(NEXT) | instid1(VALU_DEP_1)
	v_cvt_f16_f32_e32 v4, v4
	v_cndmask_b32_e32 v4, 0x7e00, v4, vcc_lo
	v_cmp_ne_u32_e32 vcc_lo, 0, v3
	s_delay_alu instid0(VALU_DEP_2)
	v_cndmask_b32_e32 v4, 0, v4, vcc_lo
	s_branch .LBB55_1317
.LBB55_1316:
	s_mov_b32 s20, -1
                                        ; implicit-def: $vgpr4
.LBB55_1317:
	s_mov_b32 s23, 0
.LBB55_1318:
	s_delay_alu instid0(SALU_CYCLE_1)
	s_and_b32 vcc_lo, exec_lo, s23
	s_cbranch_vccz .LBB55_1322
; %bb.1319:
	s_cmp_eq_u32 s19, 29
	s_cbranch_scc0 .LBB55_1321
; %bb.1320:
	global_load_b64 v[4:5], v[0:1], off
	s_mov_b32 s20, 0
	s_mov_b32 s22, -1
	s_mov_b32 s23, 0
	s_wait_loadcnt 0x0
	v_clz_i32_u32_e32 v3, v5
	s_delay_alu instid0(VALU_DEP_1) | instskip(NEXT) | instid1(VALU_DEP_1)
	v_min_u32_e32 v3, 32, v3
	v_lshlrev_b64_e32 v[4:5], v3, v[4:5]
	v_sub_nc_u32_e32 v3, 32, v3
	s_delay_alu instid0(VALU_DEP_2) | instskip(NEXT) | instid1(VALU_DEP_1)
	v_min_u32_e32 v4, 1, v4
	v_or_b32_e32 v4, v5, v4
	s_delay_alu instid0(VALU_DEP_1) | instskip(NEXT) | instid1(VALU_DEP_1)
	v_cvt_f32_u32_e32 v4, v4
	v_ldexp_f32 v3, v4, v3
	s_delay_alu instid0(VALU_DEP_1)
	v_cvt_f16_f32_e32 v4, v3
	s_branch .LBB55_1323
.LBB55_1321:
	s_mov_b32 s20, -1
                                        ; implicit-def: $vgpr4
.LBB55_1322:
	s_mov_b32 s23, 0
.LBB55_1323:
	s_delay_alu instid0(SALU_CYCLE_1)
	s_and_b32 vcc_lo, exec_lo, s23
	s_cbranch_vccz .LBB55_1341
; %bb.1324:
	s_cmp_lt_i32 s19, 27
	s_cbranch_scc1 .LBB55_1327
; %bb.1325:
	s_cmp_gt_i32 s19, 27
	s_cbranch_scc0 .LBB55_1328
; %bb.1326:
	s_wait_loadcnt 0x0
	global_load_b32 v3, v[0:1], off
	s_mov_b32 s22, 0
	s_wait_loadcnt 0x0
	v_cvt_f32_u32_e32 v3, v3
	s_delay_alu instid0(VALU_DEP_1)
	v_cvt_f16_f32_e32 v4, v3
	s_branch .LBB55_1329
.LBB55_1327:
	s_mov_b32 s22, -1
                                        ; implicit-def: $vgpr4
	s_branch .LBB55_1332
.LBB55_1328:
	s_mov_b32 s22, -1
                                        ; implicit-def: $vgpr4
.LBB55_1329:
	s_delay_alu instid0(SALU_CYCLE_1)
	s_and_not1_b32 vcc_lo, exec_lo, s22
	s_cbranch_vccnz .LBB55_1331
; %bb.1330:
	s_wait_loadcnt 0x0
	global_load_u16 v3, v[0:1], off
	s_wait_loadcnt 0x0
	v_cvt_f16_u16_e32 v4, v3
.LBB55_1331:
	s_mov_b32 s22, 0
.LBB55_1332:
	s_delay_alu instid0(SALU_CYCLE_1)
	s_and_not1_b32 vcc_lo, exec_lo, s22
	s_cbranch_vccnz .LBB55_1340
; %bb.1333:
	s_wait_loadcnt 0x0
	global_load_u8 v3, v[0:1], off
	s_mov_b32 s22, 0
	s_mov_b32 s23, exec_lo
	s_wait_loadcnt 0x0
	v_cmpx_lt_i16_e32 0x7f, v3
	s_xor_b32 s23, exec_lo, s23
	s_cbranch_execz .LBB55_1353
; %bb.1334:
	s_mov_b32 s22, -1
	s_mov_b32 s24, exec_lo
	v_cmpx_eq_u16_e32 0x80, v3
; %bb.1335:
	s_xor_b32 s22, exec_lo, -1
; %bb.1336:
	s_or_b32 exec_lo, exec_lo, s24
	s_delay_alu instid0(SALU_CYCLE_1)
	s_and_b32 s22, s22, exec_lo
	s_or_saveexec_b32 s23, s23
	v_mov_b32_e32 v4, 0x7e00
	s_xor_b32 exec_lo, exec_lo, s23
	s_cbranch_execnz .LBB55_1354
.LBB55_1337:
	s_or_b32 exec_lo, exec_lo, s23
	s_and_saveexec_b32 s23, s22
	s_cbranch_execz .LBB55_1339
.LBB55_1338:
	v_and_b32_e32 v4, 0xffff, v3
	s_delay_alu instid0(VALU_DEP_1) | instskip(SKIP_1) | instid1(VALU_DEP_2)
	v_and_b32_e32 v5, 7, v4
	v_bfe_u32 v9, v4, 3, 4
	v_clz_i32_u32_e32 v7, v5
	s_delay_alu instid0(VALU_DEP_2) | instskip(NEXT) | instid1(VALU_DEP_2)
	v_cmp_eq_u32_e32 vcc_lo, 0, v9
	v_min_u32_e32 v7, 32, v7
	s_delay_alu instid0(VALU_DEP_1) | instskip(NEXT) | instid1(VALU_DEP_1)
	v_subrev_nc_u32_e32 v8, 28, v7
	v_dual_lshlrev_b32 v4, v8, v4 :: v_dual_sub_nc_u32 v7, 29, v7
	s_delay_alu instid0(VALU_DEP_1) | instskip(NEXT) | instid1(VALU_DEP_1)
	v_dual_lshlrev_b32 v3, 24, v3 :: v_dual_bitop2_b32 v4, 7, v4 bitop3:0x40
	v_cndmask_b32_e32 v4, v5, v4, vcc_lo
	s_delay_alu instid0(VALU_DEP_3) | instskip(NEXT) | instid1(VALU_DEP_3)
	v_cndmask_b32_e32 v7, v9, v7, vcc_lo
	v_and_b32_e32 v3, 0x80000000, v3
	s_delay_alu instid0(VALU_DEP_3) | instskip(NEXT) | instid1(VALU_DEP_3)
	v_lshlrev_b32_e32 v4, 20, v4
	v_lshl_add_u32 v5, v7, 23, 0x3b800000
	s_delay_alu instid0(VALU_DEP_1) | instskip(NEXT) | instid1(VALU_DEP_1)
	v_or3_b32 v3, v3, v5, v4
	v_cvt_f16_f32_e32 v4, v3
.LBB55_1339:
	s_or_b32 exec_lo, exec_lo, s23
.LBB55_1340:
	s_mov_b32 s22, -1
.LBB55_1341:
	s_branch .LBB55_1374
.LBB55_1342:
	s_cmp_gt_i32 s19, 22
	s_cbranch_scc0 .LBB55_1352
; %bb.1343:
	s_cmp_lt_i32 s19, 24
	s_cbranch_scc1 .LBB55_1355
; %bb.1344:
	s_cmp_gt_i32 s19, 24
	s_cbranch_scc0 .LBB55_1356
; %bb.1345:
	s_wait_loadcnt 0x0
	global_load_u8 v3, v[0:1], off
	s_mov_b32 s22, exec_lo
	s_wait_loadcnt 0x0
	v_cmpx_lt_i16_e32 0x7f, v3
	s_xor_b32 s22, exec_lo, s22
	s_cbranch_execz .LBB55_1368
; %bb.1346:
	s_mov_b32 s21, -1
	s_mov_b32 s23, exec_lo
	v_cmpx_eq_u16_e32 0x80, v3
; %bb.1347:
	s_xor_b32 s21, exec_lo, -1
; %bb.1348:
	s_or_b32 exec_lo, exec_lo, s23
	s_delay_alu instid0(SALU_CYCLE_1)
	s_and_b32 s21, s21, exec_lo
	s_or_saveexec_b32 s22, s22
	v_mov_b32_e32 v4, 0x7e00
	s_xor_b32 exec_lo, exec_lo, s22
	s_cbranch_execnz .LBB55_1369
.LBB55_1349:
	s_or_b32 exec_lo, exec_lo, s22
	s_and_saveexec_b32 s22, s21
	s_cbranch_execz .LBB55_1351
.LBB55_1350:
	v_and_b32_e32 v4, 0xffff, v3
	s_delay_alu instid0(VALU_DEP_1) | instskip(SKIP_1) | instid1(VALU_DEP_2)
	v_and_b32_e32 v5, 3, v4
	v_bfe_u32 v9, v4, 2, 5
	v_clz_i32_u32_e32 v7, v5
	s_delay_alu instid0(VALU_DEP_2) | instskip(NEXT) | instid1(VALU_DEP_2)
	v_cmp_eq_u32_e32 vcc_lo, 0, v9
	v_min_u32_e32 v7, 32, v7
	s_delay_alu instid0(VALU_DEP_1) | instskip(NEXT) | instid1(VALU_DEP_1)
	v_subrev_nc_u32_e32 v8, 29, v7
	v_dual_lshlrev_b32 v4, v8, v4 :: v_dual_sub_nc_u32 v7, 30, v7
	s_delay_alu instid0(VALU_DEP_1) | instskip(NEXT) | instid1(VALU_DEP_1)
	v_dual_lshlrev_b32 v3, 24, v3 :: v_dual_bitop2_b32 v4, 3, v4 bitop3:0x40
	v_cndmask_b32_e32 v4, v5, v4, vcc_lo
	s_delay_alu instid0(VALU_DEP_3) | instskip(NEXT) | instid1(VALU_DEP_3)
	v_cndmask_b32_e32 v7, v9, v7, vcc_lo
	v_and_b32_e32 v3, 0x80000000, v3
	s_delay_alu instid0(VALU_DEP_3) | instskip(NEXT) | instid1(VALU_DEP_3)
	v_lshlrev_b32_e32 v4, 21, v4
	v_lshl_add_u32 v5, v7, 23, 0x37800000
	s_delay_alu instid0(VALU_DEP_1) | instskip(NEXT) | instid1(VALU_DEP_1)
	v_or3_b32 v3, v3, v5, v4
	v_cvt_f16_f32_e32 v4, v3
.LBB55_1351:
	s_or_b32 exec_lo, exec_lo, s22
	s_mov_b32 s21, 0
	s_branch .LBB55_1357
.LBB55_1352:
	s_mov_b32 s21, -1
                                        ; implicit-def: $vgpr4
	s_branch .LBB55_1363
.LBB55_1353:
	s_or_saveexec_b32 s23, s23
	v_mov_b32_e32 v4, 0x7e00
	s_xor_b32 exec_lo, exec_lo, s23
	s_cbranch_execz .LBB55_1337
.LBB55_1354:
	v_cmp_ne_u16_e32 vcc_lo, 0, v3
	v_mov_b32_e32 v4, v3
	s_and_not1_b32 s22, s22, exec_lo
	s_and_b32 s24, vcc_lo, exec_lo
	s_delay_alu instid0(SALU_CYCLE_1)
	s_or_b32 s22, s22, s24
	s_or_b32 exec_lo, exec_lo, s23
	s_and_saveexec_b32 s23, s22
	s_cbranch_execnz .LBB55_1338
	s_branch .LBB55_1339
.LBB55_1355:
	s_mov_b32 s21, -1
                                        ; implicit-def: $vgpr4
	s_branch .LBB55_1360
.LBB55_1356:
	s_mov_b32 s21, -1
                                        ; implicit-def: $vgpr4
.LBB55_1357:
	s_delay_alu instid0(SALU_CYCLE_1)
	s_and_b32 vcc_lo, exec_lo, s21
	s_cbranch_vccz .LBB55_1359
; %bb.1358:
	s_wait_loadcnt 0x0
	global_load_u8 v3, v[0:1], off
	s_wait_loadcnt 0x0
	v_lshlrev_b32_e32 v3, 24, v3
	s_delay_alu instid0(VALU_DEP_1) | instskip(NEXT) | instid1(VALU_DEP_1)
	v_and_b32_e32 v4, 0x7f000000, v3
	v_clz_i32_u32_e32 v5, v4
	v_add_nc_u32_e32 v8, 0x1000000, v4
	v_cmp_ne_u32_e32 vcc_lo, 0, v4
	s_delay_alu instid0(VALU_DEP_3) | instskip(NEXT) | instid1(VALU_DEP_1)
	v_min_u32_e32 v5, 32, v5
	v_sub_nc_u32_e64 v5, v5, 4 clamp
	s_delay_alu instid0(VALU_DEP_1) | instskip(NEXT) | instid1(VALU_DEP_1)
	v_dual_lshlrev_b32 v7, v5, v4 :: v_dual_lshlrev_b32 v5, 23, v5
	v_lshrrev_b32_e32 v7, 4, v7
	s_delay_alu instid0(VALU_DEP_1) | instskip(NEXT) | instid1(VALU_DEP_1)
	v_dual_sub_nc_u32 v5, v7, v5 :: v_dual_ashrrev_i32 v7, 8, v8
	v_add_nc_u32_e32 v5, 0x3c000000, v5
	s_delay_alu instid0(VALU_DEP_1) | instskip(NEXT) | instid1(VALU_DEP_1)
	v_and_or_b32 v5, 0x7f800000, v7, v5
	v_cndmask_b32_e32 v4, 0, v5, vcc_lo
	s_delay_alu instid0(VALU_DEP_1) | instskip(NEXT) | instid1(VALU_DEP_1)
	v_and_or_b32 v3, 0x80000000, v3, v4
	v_cvt_f16_f32_e32 v4, v3
.LBB55_1359:
	s_mov_b32 s21, 0
.LBB55_1360:
	s_delay_alu instid0(SALU_CYCLE_1)
	s_and_not1_b32 vcc_lo, exec_lo, s21
	s_cbranch_vccnz .LBB55_1362
; %bb.1361:
	s_wait_loadcnt 0x0
	global_load_u8 v3, v[0:1], off
	s_wait_loadcnt 0x0
	v_lshlrev_b32_e32 v4, 25, v3
	v_lshlrev_b16 v3, 8, v3
	s_delay_alu instid0(VALU_DEP_1) | instskip(NEXT) | instid1(VALU_DEP_3)
	v_and_or_b32 v7, 0x7f00, v3, 0.5
	v_lshrrev_b32_e32 v5, 4, v4
	v_bfe_i32 v3, v3, 0, 16
	s_delay_alu instid0(VALU_DEP_3) | instskip(NEXT) | instid1(VALU_DEP_3)
	v_add_f32_e32 v7, -0.5, v7
	v_or_b32_e32 v5, 0x70000000, v5
	s_delay_alu instid0(VALU_DEP_1) | instskip(SKIP_1) | instid1(VALU_DEP_2)
	v_mul_f32_e32 v5, 0x7800000, v5
	v_cmp_gt_u32_e32 vcc_lo, 0x8000000, v4
	v_cndmask_b32_e32 v4, v5, v7, vcc_lo
	s_delay_alu instid0(VALU_DEP_1) | instskip(NEXT) | instid1(VALU_DEP_1)
	v_and_or_b32 v3, 0x80000000, v3, v4
	v_cvt_f16_f32_e32 v4, v3
.LBB55_1362:
	s_mov_b32 s21, 0
	s_mov_b32 s22, -1
.LBB55_1363:
	s_and_not1_b32 vcc_lo, exec_lo, s21
	s_mov_b32 s21, 0
	s_cbranch_vccnz .LBB55_1374
; %bb.1364:
	s_cmp_gt_i32 s19, 14
	s_cbranch_scc0 .LBB55_1367
; %bb.1365:
	s_cmp_eq_u32 s19, 15
	s_cbranch_scc0 .LBB55_1370
; %bb.1366:
	s_wait_loadcnt 0x0
	global_load_u16 v3, v[0:1], off
	s_mov_b32 s20, 0
	s_mov_b32 s22, -1
	s_wait_loadcnt 0x0
	v_lshlrev_b32_e32 v3, 16, v3
	s_delay_alu instid0(VALU_DEP_1)
	v_cvt_f16_f32_e32 v4, v3
	s_branch .LBB55_1372
.LBB55_1367:
	s_mov_b32 s21, -1
	s_branch .LBB55_1371
.LBB55_1368:
	s_or_saveexec_b32 s22, s22
	v_mov_b32_e32 v4, 0x7e00
	s_xor_b32 exec_lo, exec_lo, s22
	s_cbranch_execz .LBB55_1349
.LBB55_1369:
	v_cmp_ne_u16_e32 vcc_lo, 0, v3
	v_mov_b32_e32 v4, v3
	s_and_not1_b32 s21, s21, exec_lo
	s_and_b32 s23, vcc_lo, exec_lo
	s_delay_alu instid0(SALU_CYCLE_1)
	s_or_b32 s21, s21, s23
	s_or_b32 exec_lo, exec_lo, s22
	s_and_saveexec_b32 s22, s21
	s_cbranch_execnz .LBB55_1350
	s_branch .LBB55_1351
.LBB55_1370:
	s_mov_b32 s20, -1
.LBB55_1371:
                                        ; implicit-def: $vgpr4
.LBB55_1372:
	s_and_b32 vcc_lo, exec_lo, s21
	s_mov_b32 s21, 0
	s_cbranch_vccz .LBB55_1374
; %bb.1373:
	s_cmp_lg_u32 s19, 11
	s_mov_b32 s21, -1
	s_cselect_b32 s19, -1, 0
	s_and_not1_b32 s20, s20, exec_lo
	s_and_b32 s19, s19, exec_lo
	s_delay_alu instid0(SALU_CYCLE_1)
	s_or_b32 s20, s20, s19
.LBB55_1374:
	s_mov_b32 s23, 0
.LBB55_1375:
	s_and_b32 s19, s22, exec_lo
	s_and_b32 s22, s23, exec_lo
	s_and_not1_b32 s17, s17, exec_lo
	s_and_b32 s23, s20, exec_lo
	s_and_b32 s20, s21, exec_lo
	s_or_b32 s17, s17, s23
	s_wait_xcnt 0x0
	s_or_b32 exec_lo, exec_lo, s18
	s_and_saveexec_b32 s18, s17
	s_cbranch_execz .LBB55_1304
.LBB55_1376:
	s_or_b32 s16, s16, exec_lo
	s_and_not1_b32 s20, s20, exec_lo
	s_trap 2
	s_or_b32 exec_lo, exec_lo, s18
	s_and_saveexec_b32 s17, s20
	s_delay_alu instid0(SALU_CYCLE_1)
	s_xor_b32 s17, exec_lo, s17
	s_cbranch_execnz .LBB55_1305
.LBB55_1377:
	s_or_b32 exec_lo, exec_lo, s17
	s_and_saveexec_b32 s17, s22
	s_cbranch_execz .LBB55_1423
.LBB55_1378:
	s_sext_i32_i16 s18, s0
	s_delay_alu instid0(SALU_CYCLE_1)
	s_cmp_lt_i32 s18, 5
	s_cbranch_scc1 .LBB55_1383
; %bb.1379:
	s_cmp_lt_i32 s18, 8
	s_cbranch_scc1 .LBB55_1384
; %bb.1380:
	;; [unrolled: 3-line block ×3, first 2 shown]
	s_cmp_gt_i32 s18, 9
	s_cbranch_scc0 .LBB55_1386
; %bb.1382:
	global_load_b64 v[4:5], v[0:1], off
	s_mov_b32 s18, 0
	s_wait_loadcnt 0x0
	v_and_or_b32 v3, 0x1ff, v5, v4
	v_lshrrev_b32_e32 v4, 8, v5
	v_bfe_u32 v7, v5, 20, 11
	s_delay_alu instid0(VALU_DEP_3) | instskip(NEXT) | instid1(VALU_DEP_2)
	v_cmp_ne_u32_e32 vcc_lo, 0, v3
	v_sub_nc_u32_e32 v8, 0x3f1, v7
	v_cndmask_b32_e64 v3, 0, 1, vcc_lo
	s_delay_alu instid0(VALU_DEP_1) | instskip(NEXT) | instid1(VALU_DEP_3)
	v_and_or_b32 v3, 0xffe, v4, v3
	v_med3_i32 v4, v8, 0, 13
	s_delay_alu instid0(VALU_DEP_2) | instskip(NEXT) | instid1(VALU_DEP_1)
	v_or_b32_e32 v8, 0x1000, v3
	v_lshrrev_b32_e32 v9, v4, v8
	s_delay_alu instid0(VALU_DEP_1) | instskip(NEXT) | instid1(VALU_DEP_1)
	v_lshlrev_b32_e32 v4, v4, v9
	v_cmp_ne_u32_e32 vcc_lo, v4, v8
	v_cndmask_b32_e64 v4, 0, 1, vcc_lo
	s_delay_alu instid0(VALU_DEP_1) | instskip(SKIP_1) | instid1(VALU_DEP_1)
	v_or_b32_e32 v4, v9, v4
	v_add_nc_u32_e32 v7, 0xfffffc10, v7
	v_lshl_or_b32 v8, v7, 12, v3
	v_cmp_gt_i32_e32 vcc_lo, 1, v7
	s_delay_alu instid0(VALU_DEP_2) | instskip(NEXT) | instid1(VALU_DEP_1)
	v_cndmask_b32_e32 v4, v8, v4, vcc_lo
	v_dual_lshrrev_b32 v4, 2, v4 :: v_dual_bitop2_b32 v8, 7, v4 bitop3:0x40
	s_delay_alu instid0(VALU_DEP_1) | instskip(SKIP_4) | instid1(VALU_DEP_2)
	v_cmp_lt_i32_e32 vcc_lo, 5, v8
	v_cndmask_b32_e64 v9, 0, 1, vcc_lo
	v_cmp_eq_u32_e32 vcc_lo, 3, v8
	v_cndmask_b32_e64 v8, 0, 1, vcc_lo
	v_cmp_ne_u32_e32 vcc_lo, 0, v3
	v_or_b32_e32 v8, v8, v9
	s_delay_alu instid0(VALU_DEP_1) | instskip(NEXT) | instid1(VALU_DEP_1)
	v_dual_mov_b32 v9, 0x7e00 :: v_dual_add_nc_u32 v4, v4, v8
	v_cndmask_b32_e32 v3, 0x7c00, v9, vcc_lo
	v_cmp_gt_i32_e32 vcc_lo, 31, v7
	s_delay_alu instid0(VALU_DEP_3) | instskip(SKIP_1) | instid1(VALU_DEP_2)
	v_cndmask_b32_e32 v4, 0x7c00, v4, vcc_lo
	v_cmp_eq_u32_e32 vcc_lo, 0x40f, v7
	v_dual_cndmask_b32 v3, v4, v3 :: v_dual_lshrrev_b32 v4, 16, v5
	s_delay_alu instid0(VALU_DEP_1)
	v_and_or_b32 v4, 0x8000, v4, v3
	s_branch .LBB55_1387
.LBB55_1383:
                                        ; implicit-def: $vgpr4
	s_branch .LBB55_1404
.LBB55_1384:
                                        ; implicit-def: $vgpr4
	s_branch .LBB55_1393
.LBB55_1385:
	s_mov_b32 s18, -1
                                        ; implicit-def: $vgpr4
	s_branch .LBB55_1390
.LBB55_1386:
	s_mov_b32 s18, -1
                                        ; implicit-def: $vgpr4
.LBB55_1387:
	s_delay_alu instid0(SALU_CYCLE_1)
	s_and_not1_b32 vcc_lo, exec_lo, s18
	s_cbranch_vccnz .LBB55_1389
; %bb.1388:
	s_wait_loadcnt 0x0
	global_load_b32 v3, v[0:1], off
	s_wait_loadcnt 0x0
	v_cvt_f16_f32_e32 v4, v3
.LBB55_1389:
	s_mov_b32 s18, 0
.LBB55_1390:
	s_delay_alu instid0(SALU_CYCLE_1)
	s_and_not1_b32 vcc_lo, exec_lo, s18
	s_cbranch_vccnz .LBB55_1392
; %bb.1391:
	global_load_b32 v4, v[0:1], off
.LBB55_1392:
	s_cbranch_execnz .LBB55_1403
.LBB55_1393:
	s_sext_i32_i16 s18, s0
	s_delay_alu instid0(SALU_CYCLE_1)
	s_cmp_lt_i32 s18, 6
	s_cbranch_scc1 .LBB55_1396
; %bb.1394:
	s_cmp_gt_i32 s18, 6
	s_cbranch_scc0 .LBB55_1397
; %bb.1395:
	s_wait_loadcnt 0x0
	global_load_b64 v[4:5], v[0:1], off
	s_mov_b32 s18, 0
	s_wait_loadcnt 0x0
	v_and_or_b32 v3, 0x1ff, v5, v4
	v_lshrrev_b32_e32 v4, 8, v5
	v_bfe_u32 v7, v5, 20, 11
	s_delay_alu instid0(VALU_DEP_3) | instskip(NEXT) | instid1(VALU_DEP_2)
	v_cmp_ne_u32_e32 vcc_lo, 0, v3
	v_sub_nc_u32_e32 v8, 0x3f1, v7
	v_cndmask_b32_e64 v3, 0, 1, vcc_lo
	s_delay_alu instid0(VALU_DEP_1) | instskip(NEXT) | instid1(VALU_DEP_3)
	v_and_or_b32 v3, 0xffe, v4, v3
	v_med3_i32 v4, v8, 0, 13
	s_delay_alu instid0(VALU_DEP_2) | instskip(NEXT) | instid1(VALU_DEP_1)
	v_or_b32_e32 v8, 0x1000, v3
	v_lshrrev_b32_e32 v9, v4, v8
	s_delay_alu instid0(VALU_DEP_1) | instskip(NEXT) | instid1(VALU_DEP_1)
	v_lshlrev_b32_e32 v4, v4, v9
	v_cmp_ne_u32_e32 vcc_lo, v4, v8
	v_cndmask_b32_e64 v4, 0, 1, vcc_lo
	s_delay_alu instid0(VALU_DEP_1) | instskip(SKIP_1) | instid1(VALU_DEP_1)
	v_or_b32_e32 v4, v9, v4
	v_add_nc_u32_e32 v7, 0xfffffc10, v7
	v_lshl_or_b32 v8, v7, 12, v3
	v_cmp_gt_i32_e32 vcc_lo, 1, v7
	s_delay_alu instid0(VALU_DEP_2) | instskip(NEXT) | instid1(VALU_DEP_1)
	v_cndmask_b32_e32 v4, v8, v4, vcc_lo
	v_dual_lshrrev_b32 v4, 2, v4 :: v_dual_bitop2_b32 v8, 7, v4 bitop3:0x40
	s_delay_alu instid0(VALU_DEP_1) | instskip(SKIP_4) | instid1(VALU_DEP_2)
	v_cmp_lt_i32_e32 vcc_lo, 5, v8
	v_cndmask_b32_e64 v9, 0, 1, vcc_lo
	v_cmp_eq_u32_e32 vcc_lo, 3, v8
	v_cndmask_b32_e64 v8, 0, 1, vcc_lo
	v_cmp_ne_u32_e32 vcc_lo, 0, v3
	v_or_b32_e32 v8, v8, v9
	s_delay_alu instid0(VALU_DEP_1) | instskip(NEXT) | instid1(VALU_DEP_1)
	v_dual_mov_b32 v9, 0x7e00 :: v_dual_add_nc_u32 v4, v4, v8
	v_cndmask_b32_e32 v3, 0x7c00, v9, vcc_lo
	v_cmp_gt_i32_e32 vcc_lo, 31, v7
	s_delay_alu instid0(VALU_DEP_3) | instskip(SKIP_1) | instid1(VALU_DEP_2)
	v_cndmask_b32_e32 v4, 0x7c00, v4, vcc_lo
	v_cmp_eq_u32_e32 vcc_lo, 0x40f, v7
	v_dual_cndmask_b32 v3, v4, v3 :: v_dual_lshrrev_b32 v4, 16, v5
	s_delay_alu instid0(VALU_DEP_1)
	v_and_or_b32 v4, 0x8000, v4, v3
	s_branch .LBB55_1398
.LBB55_1396:
	s_mov_b32 s18, -1
                                        ; implicit-def: $vgpr4
	s_branch .LBB55_1401
.LBB55_1397:
	s_mov_b32 s18, -1
                                        ; implicit-def: $vgpr4
.LBB55_1398:
	s_delay_alu instid0(SALU_CYCLE_1)
	s_and_not1_b32 vcc_lo, exec_lo, s18
	s_cbranch_vccnz .LBB55_1400
; %bb.1399:
	s_wait_loadcnt 0x0
	global_load_b32 v3, v[0:1], off
	s_wait_loadcnt 0x0
	v_cvt_f16_f32_e32 v4, v3
.LBB55_1400:
	s_mov_b32 s18, 0
.LBB55_1401:
	s_delay_alu instid0(SALU_CYCLE_1)
	s_and_not1_b32 vcc_lo, exec_lo, s18
	s_cbranch_vccnz .LBB55_1403
; %bb.1402:
	s_wait_loadcnt 0x0
	global_load_u16 v4, v[0:1], off
.LBB55_1403:
	s_cbranch_execnz .LBB55_1422
.LBB55_1404:
	s_sext_i32_i16 s18, s0
	s_delay_alu instid0(SALU_CYCLE_1)
	s_cmp_lt_i32 s18, 2
	s_cbranch_scc1 .LBB55_1408
; %bb.1405:
	s_cmp_lt_i32 s18, 3
	s_cbranch_scc1 .LBB55_1409
; %bb.1406:
	s_cmp_gt_i32 s18, 3
	s_cbranch_scc0 .LBB55_1410
; %bb.1407:
	s_wait_loadcnt 0x0
	global_load_b64 v[4:5], v[0:1], off
	s_mov_b32 s18, 0
	s_wait_loadcnt 0x0
	v_xor_b32_e32 v3, v4, v5
	v_cls_i32_e32 v7, v5
	s_delay_alu instid0(VALU_DEP_2) | instskip(NEXT) | instid1(VALU_DEP_1)
	v_ashrrev_i32_e32 v3, 31, v3
	v_add_nc_u32_e32 v3, 32, v3
	s_delay_alu instid0(VALU_DEP_1) | instskip(NEXT) | instid1(VALU_DEP_1)
	v_add_min_u32_e64 v3, v7, -1, v3
	v_lshlrev_b64_e32 v[4:5], v3, v[4:5]
	v_sub_nc_u32_e32 v3, 32, v3
	s_delay_alu instid0(VALU_DEP_2) | instskip(NEXT) | instid1(VALU_DEP_1)
	v_min_u32_e32 v4, 1, v4
	v_or_b32_e32 v4, v5, v4
	s_delay_alu instid0(VALU_DEP_1) | instskip(NEXT) | instid1(VALU_DEP_1)
	v_cvt_f32_i32_e32 v4, v4
	v_ldexp_f32 v3, v4, v3
	s_delay_alu instid0(VALU_DEP_1)
	v_cvt_f16_f32_e32 v4, v3
	s_branch .LBB55_1411
.LBB55_1408:
                                        ; implicit-def: $vgpr4
	s_branch .LBB55_1417
.LBB55_1409:
	s_mov_b32 s18, -1
                                        ; implicit-def: $vgpr4
	s_branch .LBB55_1414
.LBB55_1410:
	s_mov_b32 s18, -1
                                        ; implicit-def: $vgpr4
.LBB55_1411:
	s_delay_alu instid0(SALU_CYCLE_1)
	s_and_not1_b32 vcc_lo, exec_lo, s18
	s_cbranch_vccnz .LBB55_1413
; %bb.1412:
	s_wait_loadcnt 0x0
	global_load_b32 v3, v[0:1], off
	s_wait_loadcnt 0x0
	v_cvt_f32_i32_e32 v3, v3
	s_delay_alu instid0(VALU_DEP_1)
	v_cvt_f16_f32_e32 v4, v3
.LBB55_1413:
	s_mov_b32 s18, 0
.LBB55_1414:
	s_delay_alu instid0(SALU_CYCLE_1)
	s_and_not1_b32 vcc_lo, exec_lo, s18
	s_cbranch_vccnz .LBB55_1416
; %bb.1415:
	s_wait_loadcnt 0x0
	global_load_u16 v3, v[0:1], off
	s_wait_loadcnt 0x0
	v_cvt_f16_i16_e32 v4, v3
.LBB55_1416:
	s_cbranch_execnz .LBB55_1422
.LBB55_1417:
	s_sext_i32_i16 s0, s0
	s_delay_alu instid0(SALU_CYCLE_1)
	s_cmp_gt_i32 s0, 0
	s_mov_b32 s0, 0
	s_cbranch_scc0 .LBB55_1419
; %bb.1418:
	s_wait_loadcnt 0x0
	global_load_i8 v3, v[0:1], off
	s_wait_loadcnt 0x0
	v_cvt_f16_i16_e32 v4, v3
	s_branch .LBB55_1420
.LBB55_1419:
	s_mov_b32 s0, -1
                                        ; implicit-def: $vgpr4
.LBB55_1420:
	s_delay_alu instid0(SALU_CYCLE_1)
	s_and_not1_b32 vcc_lo, exec_lo, s0
	s_cbranch_vccnz .LBB55_1422
; %bb.1421:
	global_load_u8 v0, v[0:1], off
	s_wait_loadcnt 0x0
	v_cvt_f16_u16_e32 v4, v0
.LBB55_1422:
	s_or_b32 s19, s19, exec_lo
.LBB55_1423:
	s_wait_xcnt 0x0
	s_or_b32 exec_lo, exec_lo, s17
	s_mov_b32 s0, 0
	s_mov_b32 s20, 0
                                        ; implicit-def: $sgpr17
                                        ; implicit-def: $vgpr0_vgpr1
                                        ; implicit-def: $vgpr3
	s_and_saveexec_b32 s18, s19
	s_cbranch_execz .LBB55_1498
; %bb.1424:
	v_mul_lo_u32 v0, v6, s8
	s_wait_loadcnt 0x0
	v_mul_f16_e32 v3, v2, v4
	v_cmp_lt_f16_e32 vcc_lo, 0, v2
	s_and_b32 s17, s11, 0xff
	s_mov_b32 s21, 0
	s_mov_b32 s20, -1
	s_cmp_lt_i32 s17, 11
	s_mov_b32 s0, s15
	s_delay_alu instid0(VALU_DEP_3) | instskip(NEXT) | instid1(VALU_DEP_1)
	v_dual_cndmask_b32 v3, v3, v2, vcc_lo :: v_dual_ashrrev_i32 v1, 31, v0
	v_add_nc_u64_e32 v[0:1], s[4:5], v[0:1]
	s_cbranch_scc1 .LBB55_1502
; %bb.1425:
	s_and_b32 s19, 0xffff, s17
	s_mov_b32 s0, s15
	s_cmp_gt_i32 s19, 25
	s_cbranch_scc0 .LBB55_1458
; %bb.1426:
	s_cmp_gt_i32 s19, 28
	s_mov_b32 s0, s15
	s_cbranch_scc0 .LBB55_1442
; %bb.1427:
	s_cmp_gt_i32 s19, 43
	s_mov_b32 s0, s15
	;; [unrolled: 4-line block ×3, first 2 shown]
	s_cbranch_scc0 .LBB55_1432
; %bb.1429:
	s_cmp_eq_u32 s19, 46
	s_mov_b32 s0, -1
	s_cbranch_scc0 .LBB55_1431
; %bb.1430:
	v_cvt_f32_f16_e32 v2, v3
	v_cmp_o_f16_e32 vcc_lo, v3, v3
	s_mov_b32 s0, 0
	s_delay_alu instid0(VALU_DEP_2) | instskip(NEXT) | instid1(VALU_DEP_1)
	v_bfe_u32 v4, v2, 16, 1
	v_add3_u32 v2, v2, v4, 0x7fff
	s_delay_alu instid0(VALU_DEP_1) | instskip(NEXT) | instid1(VALU_DEP_1)
	v_lshrrev_b32_e32 v2, 16, v2
	v_cndmask_b32_e32 v2, 0x7fc0, v2, vcc_lo
	global_store_b32 v[0:1], v2, off
.LBB55_1431:
	s_mov_b32 s20, 0
.LBB55_1432:
	s_delay_alu instid0(SALU_CYCLE_1)
	s_and_b32 vcc_lo, exec_lo, s20
	s_cbranch_vccz .LBB55_1437
; %bb.1433:
	s_cmp_eq_u32 s19, 44
	s_mov_b32 s0, -1
	s_cbranch_scc0 .LBB55_1437
; %bb.1434:
	s_wait_xcnt 0x0
	v_cvt_f32_f16_e32 v2, v3
	v_mov_b32_e32 v4, 0xff
	s_mov_b32 s20, exec_lo
	s_delay_alu instid0(VALU_DEP_2) | instskip(NEXT) | instid1(VALU_DEP_1)
	v_bfe_u32 v5, v2, 23, 8
	v_cmpx_ne_u32_e32 0xff, v5
	s_cbranch_execz .LBB55_1436
; %bb.1435:
	v_and_b32_e32 v4, 0x400000, v2
	v_and_or_b32 v5, 0x3fffff, v2, v5
	v_lshrrev_b32_e32 v2, 23, v2
	s_delay_alu instid0(VALU_DEP_3) | instskip(NEXT) | instid1(VALU_DEP_3)
	v_cmp_ne_u32_e32 vcc_lo, 0, v4
	v_cmp_ne_u32_e64 s0, 0, v5
	s_and_b32 s0, vcc_lo, s0
	s_delay_alu instid0(SALU_CYCLE_1) | instskip(NEXT) | instid1(VALU_DEP_1)
	v_cndmask_b32_e64 v4, 0, 1, s0
	v_add_nc_u32_e32 v4, v2, v4
.LBB55_1436:
	s_or_b32 exec_lo, exec_lo, s20
	s_mov_b32 s0, 0
	global_store_b8 v[0:1], v4, off
.LBB55_1437:
	s_mov_b32 s20, 0
.LBB55_1438:
	s_delay_alu instid0(SALU_CYCLE_1)
	s_and_b32 vcc_lo, exec_lo, s20
	s_cbranch_vccz .LBB55_1441
; %bb.1439:
	s_cmp_eq_u32 s19, 29
	s_mov_b32 s0, -1
	s_cbranch_scc0 .LBB55_1441
; %bb.1440:
	s_wait_xcnt 0x0
	v_cvt_f32_f16_e32 v2, v3
	v_mov_b32_e32 v5, 0
	s_mov_b32 s0, 0
	s_delay_alu instid0(VALU_DEP_2)
	v_cvt_u32_f32_e32 v4, v2
	global_store_b64 v[0:1], v[4:5], off
.LBB55_1441:
	s_mov_b32 s20, 0
.LBB55_1442:
	s_delay_alu instid0(SALU_CYCLE_1)
	s_and_b32 vcc_lo, exec_lo, s20
	s_cbranch_vccz .LBB55_1457
; %bb.1443:
	s_cmp_lt_i32 s19, 27
	s_mov_b32 s20, -1
	s_cbranch_scc1 .LBB55_1449
; %bb.1444:
	s_cmp_gt_i32 s19, 27
	s_cbranch_scc0 .LBB55_1446
; %bb.1445:
	s_wait_xcnt 0x0
	v_cvt_f32_f16_e32 v2, v3
	s_mov_b32 s20, 0
	s_delay_alu instid0(VALU_DEP_1)
	v_cvt_u32_f32_e32 v2, v2
	global_store_b32 v[0:1], v2, off
.LBB55_1446:
	s_and_not1_b32 vcc_lo, exec_lo, s20
	s_cbranch_vccnz .LBB55_1448
; %bb.1447:
	s_wait_xcnt 0x0
	v_cvt_u16_f16_e32 v2, v3
	global_store_b16 v[0:1], v2, off
.LBB55_1448:
	s_mov_b32 s20, 0
.LBB55_1449:
	s_delay_alu instid0(SALU_CYCLE_1)
	s_and_not1_b32 vcc_lo, exec_lo, s20
	s_cbranch_vccnz .LBB55_1457
; %bb.1450:
	s_wait_xcnt 0x0
	v_cvt_f32_f16_e32 v2, v3
	v_mov_b32_e32 v5, 0x80
	s_mov_b32 s20, exec_lo
	s_delay_alu instid0(VALU_DEP_2) | instskip(NEXT) | instid1(VALU_DEP_1)
	v_and_b32_e32 v4, 0x7fffffff, v2
	v_cmpx_gt_u32_e32 0x43800000, v4
	s_cbranch_execz .LBB55_1456
; %bb.1451:
	v_cmp_lt_u32_e32 vcc_lo, 0x3bffffff, v4
                                        ; implicit-def: $vgpr4
	s_and_saveexec_b32 s22, vcc_lo
	s_delay_alu instid0(SALU_CYCLE_1)
	s_xor_b32 s22, exec_lo, s22
	s_cbranch_execz .LBB55_1557
; %bb.1452:
	v_bfe_u32 v4, v2, 20, 1
	s_mov_b32 s21, exec_lo
	s_delay_alu instid0(VALU_DEP_1) | instskip(NEXT) | instid1(VALU_DEP_1)
	v_add3_u32 v4, v2, v4, 0x487ffff
	v_lshrrev_b32_e32 v4, 20, v4
	s_and_not1_saveexec_b32 s22, s22
	s_cbranch_execnz .LBB55_1558
.LBB55_1453:
	s_or_b32 exec_lo, exec_lo, s22
	v_mov_b32_e32 v5, 0
	s_and_saveexec_b32 s22, s21
.LBB55_1454:
	v_lshrrev_b32_e32 v2, 24, v2
	s_delay_alu instid0(VALU_DEP_1)
	v_and_or_b32 v5, 0x80, v2, v4
.LBB55_1455:
	s_or_b32 exec_lo, exec_lo, s22
.LBB55_1456:
	s_delay_alu instid0(SALU_CYCLE_1)
	s_or_b32 exec_lo, exec_lo, s20
	global_store_b8 v[0:1], v5, off
.LBB55_1457:
	s_mov_b32 s20, 0
.LBB55_1458:
	s_delay_alu instid0(SALU_CYCLE_1)
	s_and_b32 vcc_lo, exec_lo, s20
	s_mov_b32 s20, 0
	s_cbranch_vccz .LBB55_1501
; %bb.1459:
	s_cmp_gt_i32 s19, 22
	s_mov_b32 s21, -1
	s_cbranch_scc0 .LBB55_1491
; %bb.1460:
	s_cmp_lt_i32 s19, 24
	s_cbranch_scc1 .LBB55_1480
; %bb.1461:
	s_cmp_gt_i32 s19, 24
	s_cbranch_scc0 .LBB55_1469
; %bb.1462:
	s_wait_xcnt 0x0
	v_cvt_f32_f16_e32 v2, v3
	v_mov_b32_e32 v5, 0x80
	s_mov_b32 s21, exec_lo
	s_delay_alu instid0(VALU_DEP_2) | instskip(NEXT) | instid1(VALU_DEP_1)
	v_and_b32_e32 v4, 0x7fffffff, v2
	v_cmpx_gt_u32_e32 0x47800000, v4
	s_cbranch_execz .LBB55_1468
; %bb.1463:
	v_cmp_lt_u32_e32 vcc_lo, 0x37ffffff, v4
	s_mov_b32 s22, 0
                                        ; implicit-def: $vgpr4
	s_and_saveexec_b32 s23, vcc_lo
	s_delay_alu instid0(SALU_CYCLE_1)
	s_xor_b32 s23, exec_lo, s23
	s_cbranch_execz .LBB55_1683
; %bb.1464:
	v_bfe_u32 v4, v2, 21, 1
	s_mov_b32 s22, exec_lo
	s_delay_alu instid0(VALU_DEP_1) | instskip(NEXT) | instid1(VALU_DEP_1)
	v_add3_u32 v4, v2, v4, 0x88fffff
	v_lshrrev_b32_e32 v4, 21, v4
	s_and_not1_saveexec_b32 s23, s23
	s_cbranch_execnz .LBB55_1684
.LBB55_1465:
	s_or_b32 exec_lo, exec_lo, s23
	v_mov_b32_e32 v5, 0
	s_and_saveexec_b32 s23, s22
.LBB55_1466:
	v_lshrrev_b32_e32 v2, 24, v2
	s_delay_alu instid0(VALU_DEP_1)
	v_and_or_b32 v5, 0x80, v2, v4
.LBB55_1467:
	s_or_b32 exec_lo, exec_lo, s23
.LBB55_1468:
	s_delay_alu instid0(SALU_CYCLE_1)
	s_or_b32 exec_lo, exec_lo, s21
	s_mov_b32 s21, 0
	global_store_b8 v[0:1], v5, off
.LBB55_1469:
	s_and_b32 vcc_lo, exec_lo, s21
	s_cbranch_vccz .LBB55_1479
; %bb.1470:
	s_wait_xcnt 0x0
	v_cvt_f32_f16_e32 v2, v3
	s_mov_b32 s21, exec_lo
                                        ; implicit-def: $vgpr4
	s_delay_alu instid0(VALU_DEP_1) | instskip(NEXT) | instid1(VALU_DEP_1)
	v_and_b32_e32 v5, 0x7fffffff, v2
	v_cmpx_gt_u32_e32 0x43f00000, v5
	s_xor_b32 s21, exec_lo, s21
	s_cbranch_execz .LBB55_1476
; %bb.1471:
	s_mov_b32 s22, exec_lo
                                        ; implicit-def: $vgpr4
	v_cmpx_lt_u32_e32 0x3c7fffff, v5
	s_xor_b32 s22, exec_lo, s22
; %bb.1472:
	v_bfe_u32 v4, v2, 20, 1
	s_delay_alu instid0(VALU_DEP_1) | instskip(NEXT) | instid1(VALU_DEP_1)
	v_add3_u32 v4, v2, v4, 0x407ffff
	v_and_b32_e32 v5, 0xff00000, v4
	v_lshrrev_b32_e32 v4, 20, v4
	s_delay_alu instid0(VALU_DEP_2) | instskip(NEXT) | instid1(VALU_DEP_2)
	v_cmp_ne_u32_e32 vcc_lo, 0x7f00000, v5
	v_cndmask_b32_e32 v4, 0x7e, v4, vcc_lo
; %bb.1473:
	s_and_not1_saveexec_b32 s22, s22
; %bb.1474:
	v_add_f32_e64 v4, 0x46800000, |v2|
; %bb.1475:
	s_or_b32 exec_lo, exec_lo, s22
                                        ; implicit-def: $vgpr5
.LBB55_1476:
	s_and_not1_saveexec_b32 s21, s21
; %bb.1477:
	v_mov_b32_e32 v4, 0x7f
	v_cmp_lt_u32_e32 vcc_lo, 0x7f800000, v5
	s_delay_alu instid0(VALU_DEP_2)
	v_cndmask_b32_e32 v4, 0x7e, v4, vcc_lo
; %bb.1478:
	s_or_b32 exec_lo, exec_lo, s21
	v_lshrrev_b32_e32 v2, 24, v2
	s_delay_alu instid0(VALU_DEP_1)
	v_and_or_b32 v2, 0x80, v2, v4
	global_store_b8 v[0:1], v2, off
.LBB55_1479:
	s_mov_b32 s21, 0
.LBB55_1480:
	s_delay_alu instid0(SALU_CYCLE_1)
	s_and_not1_b32 vcc_lo, exec_lo, s21
	s_cbranch_vccnz .LBB55_1490
; %bb.1481:
	s_wait_xcnt 0x0
	v_cvt_f32_f16_e32 v2, v3
	s_mov_b32 s21, exec_lo
                                        ; implicit-def: $vgpr4
	s_delay_alu instid0(VALU_DEP_1) | instskip(NEXT) | instid1(VALU_DEP_1)
	v_and_b32_e32 v5, 0x7fffffff, v2
	v_cmpx_gt_u32_e32 0x47800000, v5
	s_xor_b32 s21, exec_lo, s21
	s_cbranch_execz .LBB55_1487
; %bb.1482:
	s_mov_b32 s22, exec_lo
                                        ; implicit-def: $vgpr4
	v_cmpx_lt_u32_e32 0x387fffff, v5
	s_xor_b32 s22, exec_lo, s22
; %bb.1483:
	v_bfe_u32 v4, v2, 21, 1
	s_delay_alu instid0(VALU_DEP_1) | instskip(NEXT) | instid1(VALU_DEP_1)
	v_add3_u32 v4, v2, v4, 0x80fffff
	v_lshrrev_b32_e32 v4, 21, v4
; %bb.1484:
	s_and_not1_saveexec_b32 s22, s22
; %bb.1485:
	v_add_f32_e64 v4, 0x43000000, |v2|
; %bb.1486:
	s_or_b32 exec_lo, exec_lo, s22
                                        ; implicit-def: $vgpr5
.LBB55_1487:
	s_and_not1_saveexec_b32 s21, s21
; %bb.1488:
	v_mov_b32_e32 v4, 0x7f
	v_cmp_lt_u32_e32 vcc_lo, 0x7f800000, v5
	s_delay_alu instid0(VALU_DEP_2)
	v_cndmask_b32_e32 v4, 0x7c, v4, vcc_lo
; %bb.1489:
	s_or_b32 exec_lo, exec_lo, s21
	v_lshrrev_b32_e32 v2, 24, v2
	s_delay_alu instid0(VALU_DEP_1)
	v_and_or_b32 v2, 0x80, v2, v4
	global_store_b8 v[0:1], v2, off
.LBB55_1490:
	s_mov_b32 s21, 0
.LBB55_1491:
	s_delay_alu instid0(SALU_CYCLE_1)
	s_and_not1_b32 vcc_lo, exec_lo, s21
	s_mov_b32 s21, 0
	s_cbranch_vccnz .LBB55_1502
; %bb.1492:
	s_cmp_gt_i32 s19, 14
	s_mov_b32 s21, -1
	s_cbranch_scc0 .LBB55_1496
; %bb.1493:
	s_cmp_eq_u32 s19, 15
	s_mov_b32 s0, -1
	s_cbranch_scc0 .LBB55_1495
; %bb.1494:
	s_wait_xcnt 0x0
	v_cvt_f32_f16_e32 v2, v3
	v_cmp_o_f16_e32 vcc_lo, v3, v3
	s_mov_b32 s0, 0
	s_delay_alu instid0(VALU_DEP_2) | instskip(NEXT) | instid1(VALU_DEP_1)
	v_bfe_u32 v4, v2, 16, 1
	v_add3_u32 v2, v2, v4, 0x7fff
	s_delay_alu instid0(VALU_DEP_1) | instskip(NEXT) | instid1(VALU_DEP_1)
	v_lshrrev_b32_e32 v2, 16, v2
	v_cndmask_b32_e32 v2, 0x7fc0, v2, vcc_lo
	global_store_b16 v[0:1], v2, off
.LBB55_1495:
	s_mov_b32 s21, 0
.LBB55_1496:
	s_delay_alu instid0(SALU_CYCLE_1)
	s_and_b32 vcc_lo, exec_lo, s21
	s_mov_b32 s21, 0
	s_cbranch_vccz .LBB55_1502
; %bb.1497:
	s_cmp_lg_u32 s19, 11
	s_mov_b32 s21, -1
	s_cselect_b32 s19, -1, 0
	s_and_not1_b32 s0, s0, exec_lo
	s_and_b32 s19, s19, exec_lo
	s_delay_alu instid0(SALU_CYCLE_1)
	s_or_b32 s0, s0, s19
	s_branch .LBB55_1502
.LBB55_1498:
	s_or_b32 exec_lo, exec_lo, s18
	s_and_saveexec_b32 s18, s15
	s_cbranch_execnz .LBB55_1503
.LBB55_1499:
	s_or_b32 exec_lo, exec_lo, s18
	s_and_saveexec_b32 s15, s0
	s_delay_alu instid0(SALU_CYCLE_1)
	s_xor_b32 s0, exec_lo, s15
	s_cbranch_execz .LBB55_1504
.LBB55_1500:
	s_wait_loadcnt 0x0
	v_and_b32_e32 v2, 0x7fff, v3
	s_delay_alu instid0(VALU_DEP_1)
	v_cmp_ne_u16_e32 vcc_lo, 0, v2
	v_cndmask_b32_e64 v2, 0, 1, vcc_lo
	global_store_b8 v[0:1], v2, off
	s_wait_xcnt 0x0
	s_or_b32 exec_lo, exec_lo, s0
	s_and_saveexec_b32 s0, s20
	s_delay_alu instid0(SALU_CYCLE_1)
	s_xor_b32 s0, exec_lo, s0
	s_cbranch_execz .LBB55_1542
	s_branch .LBB55_1505
.LBB55_1501:
	s_mov_b32 s21, 0
.LBB55_1502:
	s_and_not1_b32 s15, s15, exec_lo
	s_and_b32 s19, s0, exec_lo
	s_and_b32 s20, s20, exec_lo
	;; [unrolled: 1-line block ×3, first 2 shown]
	s_or_b32 s15, s15, s19
	s_wait_xcnt 0x0
	s_or_b32 exec_lo, exec_lo, s18
	s_and_saveexec_b32 s18, s15
	s_cbranch_execz .LBB55_1499
.LBB55_1503:
	s_or_b32 s16, s16, exec_lo
	s_and_not1_b32 s0, s0, exec_lo
	s_trap 2
	s_or_b32 exec_lo, exec_lo, s18
	s_and_saveexec_b32 s15, s0
	s_delay_alu instid0(SALU_CYCLE_1)
	s_xor_b32 s0, exec_lo, s15
	s_cbranch_execnz .LBB55_1500
.LBB55_1504:
	s_or_b32 exec_lo, exec_lo, s0
	s_and_saveexec_b32 s0, s20
	s_delay_alu instid0(SALU_CYCLE_1)
	s_xor_b32 s0, exec_lo, s0
	s_cbranch_execz .LBB55_1542
.LBB55_1505:
	s_sext_i32_i16 s18, s17
	s_mov_b32 s15, -1
	s_cmp_lt_i32 s18, 5
	s_cbranch_scc1 .LBB55_1526
; %bb.1506:
	s_cmp_lt_i32 s18, 8
	s_cbranch_scc1 .LBB55_1516
; %bb.1507:
	;; [unrolled: 3-line block ×3, first 2 shown]
	s_cmp_gt_i32 s18, 9
	s_cbranch_scc0 .LBB55_1510
; %bb.1509:
	s_wait_loadcnt 0x0
	v_cvt_f32_f16_e32 v2, v3
	v_mov_b32_e32 v6, 0
	s_mov_b32 s15, 0
	s_delay_alu instid0(VALU_DEP_2) | instskip(NEXT) | instid1(VALU_DEP_2)
	v_cvt_f64_f32_e32 v[4:5], v2
	v_mov_b32_e32 v7, v6
	global_store_b128 v[0:1], v[4:7], off
.LBB55_1510:
	s_and_not1_b32 vcc_lo, exec_lo, s15
	s_cbranch_vccnz .LBB55_1512
; %bb.1511:
	s_wait_loadcnt 0x0
	v_cvt_f32_f16_e32 v4, v3
	v_mov_b32_e32 v5, 0
	global_store_b64 v[0:1], v[4:5], off
.LBB55_1512:
	s_mov_b32 s15, 0
.LBB55_1513:
	s_delay_alu instid0(SALU_CYCLE_1)
	s_and_not1_b32 vcc_lo, exec_lo, s15
	s_cbranch_vccnz .LBB55_1515
; %bb.1514:
	s_wait_loadcnt 0x0
	v_and_b32_e32 v2, 0xffff, v3
	global_store_b32 v[0:1], v2, off
.LBB55_1515:
	s_mov_b32 s15, 0
.LBB55_1516:
	s_delay_alu instid0(SALU_CYCLE_1)
	s_and_not1_b32 vcc_lo, exec_lo, s15
	s_cbranch_vccnz .LBB55_1525
; %bb.1517:
	s_sext_i32_i16 s18, s17
	s_mov_b32 s15, -1
	s_cmp_lt_i32 s18, 6
	s_cbranch_scc1 .LBB55_1523
; %bb.1518:
	s_cmp_gt_i32 s18, 6
	s_cbranch_scc0 .LBB55_1520
; %bb.1519:
	s_wait_loadcnt 0x0
	v_cvt_f32_f16_e32 v2, v3
	s_mov_b32 s15, 0
	s_delay_alu instid0(VALU_DEP_1)
	v_cvt_f64_f32_e32 v[4:5], v2
	global_store_b64 v[0:1], v[4:5], off
.LBB55_1520:
	s_and_not1_b32 vcc_lo, exec_lo, s15
	s_cbranch_vccnz .LBB55_1522
; %bb.1521:
	s_wait_loadcnt 0x0
	v_cvt_f32_f16_e32 v2, v3
	global_store_b32 v[0:1], v2, off
.LBB55_1522:
	s_mov_b32 s15, 0
.LBB55_1523:
	s_delay_alu instid0(SALU_CYCLE_1)
	s_and_not1_b32 vcc_lo, exec_lo, s15
	s_cbranch_vccnz .LBB55_1525
; %bb.1524:
	s_wait_loadcnt 0x0
	global_store_b16 v[0:1], v3, off
.LBB55_1525:
	s_mov_b32 s15, 0
.LBB55_1526:
	s_delay_alu instid0(SALU_CYCLE_1)
	s_and_not1_b32 vcc_lo, exec_lo, s15
	s_cbranch_vccnz .LBB55_1542
; %bb.1527:
	s_sext_i32_i16 s18, s17
	s_mov_b32 s15, -1
	s_cmp_lt_i32 s18, 2
	s_cbranch_scc1 .LBB55_1537
; %bb.1528:
	s_cmp_lt_i32 s18, 3
	s_cbranch_scc1 .LBB55_1534
; %bb.1529:
	s_cmp_gt_i32 s18, 3
	s_cbranch_scc0 .LBB55_1531
; %bb.1530:
	s_wait_loadcnt 0x0
	v_cvt_f32_f16_e32 v2, v3
	s_mov_b32 s15, 0
	s_delay_alu instid0(VALU_DEP_1) | instskip(NEXT) | instid1(VALU_DEP_1)
	v_cvt_i32_f32_e32 v4, v2
	v_ashrrev_i32_e32 v5, 31, v4
	global_store_b64 v[0:1], v[4:5], off
.LBB55_1531:
	s_and_not1_b32 vcc_lo, exec_lo, s15
	s_cbranch_vccnz .LBB55_1533
; %bb.1532:
	s_wait_loadcnt 0x0
	v_cvt_f32_f16_e32 v2, v3
	s_delay_alu instid0(VALU_DEP_1)
	v_cvt_i32_f32_e32 v2, v2
	global_store_b32 v[0:1], v2, off
.LBB55_1533:
	s_mov_b32 s15, 0
.LBB55_1534:
	s_delay_alu instid0(SALU_CYCLE_1)
	s_and_not1_b32 vcc_lo, exec_lo, s15
	s_cbranch_vccnz .LBB55_1536
; %bb.1535:
	s_wait_loadcnt 0x0
	v_cvt_i16_f16_e32 v2, v3
	global_store_b16 v[0:1], v2, off
.LBB55_1536:
	s_mov_b32 s15, 0
.LBB55_1537:
	s_delay_alu instid0(SALU_CYCLE_1)
	s_and_not1_b32 vcc_lo, exec_lo, s15
	s_cbranch_vccnz .LBB55_1542
; %bb.1538:
	s_sext_i32_i16 s15, s17
	s_delay_alu instid0(SALU_CYCLE_1)
	s_cmp_gt_i32 s15, 0
	s_mov_b32 s15, -1
	s_cbranch_scc0 .LBB55_1540
; %bb.1539:
	s_wait_loadcnt 0x0
	v_cvt_i16_f16_e32 v2, v3
	s_mov_b32 s15, 0
	global_store_b8 v[0:1], v2, off
.LBB55_1540:
	s_and_not1_b32 vcc_lo, exec_lo, s15
	s_cbranch_vccnz .LBB55_1542
; %bb.1541:
	s_wait_loadcnt 0x0
	v_cvt_f32_f16_e32 v2, v3
	s_delay_alu instid0(VALU_DEP_1)
	v_cvt_i32_f32_e32 v2, v2
	global_store_b8 v[0:1], v2, off
.LBB55_1542:
	s_wait_xcnt 0x0
	s_or_b32 exec_lo, exec_lo, s0
	s_delay_alu instid0(SALU_CYCLE_1)
	s_and_b32 s15, s16, exec_lo
                                        ; implicit-def: $vgpr6
.LBB55_1543:
	s_or_saveexec_b32 s14, s14
	s_mov_b32 s0, 0
                                        ; implicit-def: $sgpr16
                                        ; implicit-def: $vgpr0_vgpr1
                                        ; implicit-def: $vgpr2
	s_xor_b32 exec_lo, exec_lo, s14
	s_cbranch_execz .LBB55_3018
; %bb.1544:
	v_mul_lo_u32 v0, s9, v6
	s_and_b32 s0, s13, 0xff
	s_delay_alu instid0(SALU_CYCLE_1) | instskip(NEXT) | instid1(VALU_DEP_1)
	s_cmp_lt_i32 s0, 11
	v_ashrrev_i32_e32 v1, 31, v0
	s_wait_loadcnt 0x0
	s_delay_alu instid0(VALU_DEP_1)
	v_add_nc_u64_e32 v[2:3], s[6:7], v[0:1]
	s_cbranch_scc1 .LBB55_1551
; %bb.1545:
	s_and_b32 s12, 0xffff, s0
	s_mov_b32 s16, 0
	s_cmp_gt_i32 s12, 25
	s_cbranch_scc0 .LBB55_1553
; %bb.1546:
	s_cmp_gt_i32 s12, 28
	s_cbranch_scc0 .LBB55_1554
; %bb.1547:
	;; [unrolled: 3-line block ×4, first 2 shown]
	s_cmp_eq_u32 s12, 46
	s_mov_b32 s18, 0
	s_cbranch_scc0 .LBB55_1559
; %bb.1550:
	global_load_b32 v1, v[2:3], off
	s_mov_b32 s13, 0
	s_mov_b32 s17, -1
	s_wait_loadcnt 0x0
	v_lshlrev_b32_e32 v1, 16, v1
	s_delay_alu instid0(VALU_DEP_1)
	v_cvt_f16_f32_e32 v7, v1
	s_branch .LBB55_1561
.LBB55_1551:
	s_mov_b32 s17, 0
	s_mov_b32 s12, s15
                                        ; implicit-def: $vgpr7
	s_cbranch_execnz .LBB55_1624
.LBB55_1552:
	s_and_not1_b32 vcc_lo, exec_lo, s17
	s_cbranch_vccz .LBB55_1669
	s_branch .LBB55_3016
.LBB55_1553:
	s_mov_b32 s17, 0
	s_mov_b32 s13, 0
                                        ; implicit-def: $vgpr7
	s_cbranch_execnz .LBB55_1589
	s_branch .LBB55_1620
.LBB55_1554:
	s_mov_b32 s18, -1
	s_mov_b32 s17, 0
	s_mov_b32 s13, 0
                                        ; implicit-def: $vgpr7
	s_branch .LBB55_1570
.LBB55_1555:
	s_mov_b32 s17, 0
	s_mov_b32 s13, 0
                                        ; implicit-def: $vgpr7
	s_cbranch_execnz .LBB55_1566
	s_branch .LBB55_1569
.LBB55_1556:
	s_mov_b32 s18, -1
	s_mov_b32 s17, 0
	s_mov_b32 s13, 0
	s_branch .LBB55_1560
.LBB55_1557:
	s_and_not1_saveexec_b32 s22, s22
	s_cbranch_execz .LBB55_1453
.LBB55_1558:
	v_add_f32_e64 v4, 0x46000000, |v2|
	s_and_not1_b32 s21, s21, exec_lo
	s_delay_alu instid0(VALU_DEP_1) | instskip(NEXT) | instid1(VALU_DEP_1)
	v_and_b32_e32 v4, 0xff, v4
	v_cmp_ne_u32_e32 vcc_lo, 0, v4
	s_and_b32 s23, vcc_lo, exec_lo
	s_delay_alu instid0(SALU_CYCLE_1)
	s_or_b32 s21, s21, s23
	s_or_b32 exec_lo, exec_lo, s22
	v_mov_b32_e32 v5, 0
	s_and_saveexec_b32 s22, s21
	s_cbranch_execnz .LBB55_1454
	s_branch .LBB55_1455
.LBB55_1559:
	s_mov_b32 s13, -1
	s_mov_b32 s17, 0
.LBB55_1560:
                                        ; implicit-def: $vgpr7
.LBB55_1561:
	s_and_b32 vcc_lo, exec_lo, s18
	s_cbranch_vccz .LBB55_1564
; %bb.1562:
	s_cmp_eq_u32 s12, 44
	s_cbranch_scc0 .LBB55_1565
; %bb.1563:
	global_load_u8 v1, v[2:3], off
	s_mov_b32 s13, 0
	s_mov_b32 s17, -1
	s_wait_loadcnt 0x0
	v_lshlrev_b32_e32 v4, 23, v1
	v_cmp_ne_u32_e32 vcc_lo, 0xff, v1
	s_delay_alu instid0(VALU_DEP_2) | instskip(NEXT) | instid1(VALU_DEP_1)
	v_cvt_f16_f32_e32 v4, v4
	v_cndmask_b32_e32 v4, 0x7e00, v4, vcc_lo
	v_cmp_ne_u32_e32 vcc_lo, 0, v1
	s_delay_alu instid0(VALU_DEP_2)
	v_cndmask_b32_e32 v7, 0, v4, vcc_lo
.LBB55_1564:
	s_branch .LBB55_1569
.LBB55_1565:
	s_mov_b32 s13, -1
                                        ; implicit-def: $vgpr7
	s_branch .LBB55_1569
.LBB55_1566:
	s_cmp_eq_u32 s12, 29
	s_cbranch_scc0 .LBB55_1568
; %bb.1567:
	global_load_b64 v[4:5], v[2:3], off
	s_mov_b32 s13, 0
	s_mov_b32 s17, -1
	s_mov_b32 s18, 0
	s_wait_loadcnt 0x0
	v_clz_i32_u32_e32 v1, v5
	s_delay_alu instid0(VALU_DEP_1) | instskip(NEXT) | instid1(VALU_DEP_1)
	v_min_u32_e32 v1, 32, v1
	v_lshlrev_b64_e32 v[4:5], v1, v[4:5]
	v_sub_nc_u32_e32 v1, 32, v1
	s_delay_alu instid0(VALU_DEP_2) | instskip(NEXT) | instid1(VALU_DEP_1)
	v_min_u32_e32 v4, 1, v4
	v_or_b32_e32 v4, v5, v4
	s_delay_alu instid0(VALU_DEP_1) | instskip(NEXT) | instid1(VALU_DEP_1)
	v_cvt_f32_u32_e32 v4, v4
	v_ldexp_f32 v1, v4, v1
	s_delay_alu instid0(VALU_DEP_1)
	v_cvt_f16_f32_e32 v7, v1
	s_branch .LBB55_1570
.LBB55_1568:
	s_mov_b32 s13, -1
                                        ; implicit-def: $vgpr7
.LBB55_1569:
	s_mov_b32 s18, 0
.LBB55_1570:
	s_delay_alu instid0(SALU_CYCLE_1)
	s_and_b32 vcc_lo, exec_lo, s18
	s_cbranch_vccz .LBB55_1588
; %bb.1571:
	s_cmp_lt_i32 s12, 27
	s_cbranch_scc1 .LBB55_1574
; %bb.1572:
	s_cmp_gt_i32 s12, 27
	s_cbranch_scc0 .LBB55_1575
; %bb.1573:
	global_load_b32 v1, v[2:3], off
	s_mov_b32 s17, 0
	s_wait_loadcnt 0x0
	v_cvt_f32_u32_e32 v1, v1
	s_delay_alu instid0(VALU_DEP_1)
	v_cvt_f16_f32_e32 v7, v1
	s_branch .LBB55_1576
.LBB55_1574:
	s_mov_b32 s17, -1
                                        ; implicit-def: $vgpr7
	s_branch .LBB55_1579
.LBB55_1575:
	s_mov_b32 s17, -1
                                        ; implicit-def: $vgpr7
.LBB55_1576:
	s_delay_alu instid0(SALU_CYCLE_1)
	s_and_not1_b32 vcc_lo, exec_lo, s17
	s_cbranch_vccnz .LBB55_1578
; %bb.1577:
	global_load_u16 v1, v[2:3], off
	s_wait_loadcnt 0x0
	v_cvt_f16_u16_e32 v7, v1
.LBB55_1578:
	s_mov_b32 s17, 0
.LBB55_1579:
	s_delay_alu instid0(SALU_CYCLE_1)
	s_and_not1_b32 vcc_lo, exec_lo, s17
	s_cbranch_vccnz .LBB55_1587
; %bb.1580:
	global_load_u8 v1, v[2:3], off
	s_mov_b32 s17, 0
	s_mov_b32 s18, exec_lo
	s_wait_loadcnt 0x0
	v_cmpx_lt_i16_e32 0x7f, v1
	s_xor_b32 s18, exec_lo, s18
	s_cbranch_execz .LBB55_1600
; %bb.1581:
	s_mov_b32 s17, -1
	s_mov_b32 s19, exec_lo
	v_cmpx_eq_u16_e32 0x80, v1
; %bb.1582:
	s_xor_b32 s17, exec_lo, -1
; %bb.1583:
	s_or_b32 exec_lo, exec_lo, s19
	s_delay_alu instid0(SALU_CYCLE_1)
	s_and_b32 s17, s17, exec_lo
	s_or_saveexec_b32 s18, s18
	v_mov_b32_e32 v7, 0x7e00
	s_xor_b32 exec_lo, exec_lo, s18
	s_cbranch_execnz .LBB55_1601
.LBB55_1584:
	s_or_b32 exec_lo, exec_lo, s18
	s_and_saveexec_b32 s18, s17
	s_cbranch_execz .LBB55_1586
.LBB55_1585:
	v_and_b32_e32 v4, 0xffff, v1
	s_delay_alu instid0(VALU_DEP_1) | instskip(SKIP_1) | instid1(VALU_DEP_2)
	v_and_b32_e32 v5, 7, v4
	v_bfe_u32 v9, v4, 3, 4
	v_clz_i32_u32_e32 v7, v5
	s_delay_alu instid0(VALU_DEP_2) | instskip(NEXT) | instid1(VALU_DEP_2)
	v_cmp_eq_u32_e32 vcc_lo, 0, v9
	v_min_u32_e32 v7, 32, v7
	s_delay_alu instid0(VALU_DEP_1) | instskip(NEXT) | instid1(VALU_DEP_1)
	v_subrev_nc_u32_e32 v8, 28, v7
	v_dual_lshlrev_b32 v4, v8, v4 :: v_dual_sub_nc_u32 v7, 29, v7
	s_delay_alu instid0(VALU_DEP_1) | instskip(NEXT) | instid1(VALU_DEP_2)
	v_dual_lshlrev_b32 v1, 24, v1 :: v_dual_bitop2_b32 v4, 7, v4 bitop3:0x40
	v_cndmask_b32_e32 v7, v9, v7, vcc_lo
	s_delay_alu instid0(VALU_DEP_2) | instskip(NEXT) | instid1(VALU_DEP_3)
	v_cndmask_b32_e32 v4, v5, v4, vcc_lo
	v_and_b32_e32 v1, 0x80000000, v1
	s_delay_alu instid0(VALU_DEP_3) | instskip(NEXT) | instid1(VALU_DEP_3)
	v_lshl_add_u32 v5, v7, 23, 0x3b800000
	v_lshlrev_b32_e32 v4, 20, v4
	s_delay_alu instid0(VALU_DEP_1) | instskip(NEXT) | instid1(VALU_DEP_1)
	v_or3_b32 v1, v1, v5, v4
	v_cvt_f16_f32_e32 v7, v1
.LBB55_1586:
	s_or_b32 exec_lo, exec_lo, s18
.LBB55_1587:
	s_mov_b32 s17, -1
.LBB55_1588:
	s_branch .LBB55_1620
.LBB55_1589:
	s_cmp_gt_i32 s12, 22
	s_cbranch_scc0 .LBB55_1599
; %bb.1590:
	s_cmp_lt_i32 s12, 24
	s_cbranch_scc1 .LBB55_1602
; %bb.1591:
	s_cmp_gt_i32 s12, 24
	s_cbranch_scc0 .LBB55_1603
; %bb.1592:
	global_load_u8 v1, v[2:3], off
	s_mov_b32 s17, exec_lo
	s_wait_loadcnt 0x0
	v_cmpx_lt_i16_e32 0x7f, v1
	s_xor_b32 s17, exec_lo, s17
	s_cbranch_execz .LBB55_1614
; %bb.1593:
	s_mov_b32 s16, -1
	s_mov_b32 s18, exec_lo
	v_cmpx_eq_u16_e32 0x80, v1
; %bb.1594:
	s_xor_b32 s16, exec_lo, -1
; %bb.1595:
	s_or_b32 exec_lo, exec_lo, s18
	s_delay_alu instid0(SALU_CYCLE_1)
	s_and_b32 s16, s16, exec_lo
	s_or_saveexec_b32 s17, s17
	v_mov_b32_e32 v7, 0x7e00
	s_xor_b32 exec_lo, exec_lo, s17
	s_cbranch_execnz .LBB55_1615
.LBB55_1596:
	s_or_b32 exec_lo, exec_lo, s17
	s_and_saveexec_b32 s17, s16
	s_cbranch_execz .LBB55_1598
.LBB55_1597:
	v_and_b32_e32 v4, 0xffff, v1
	s_delay_alu instid0(VALU_DEP_1) | instskip(SKIP_1) | instid1(VALU_DEP_2)
	v_and_b32_e32 v5, 3, v4
	v_bfe_u32 v9, v4, 2, 5
	v_clz_i32_u32_e32 v7, v5
	s_delay_alu instid0(VALU_DEP_2) | instskip(NEXT) | instid1(VALU_DEP_2)
	v_cmp_eq_u32_e32 vcc_lo, 0, v9
	v_min_u32_e32 v7, 32, v7
	s_delay_alu instid0(VALU_DEP_1) | instskip(NEXT) | instid1(VALU_DEP_1)
	v_subrev_nc_u32_e32 v8, 29, v7
	v_dual_lshlrev_b32 v4, v8, v4 :: v_dual_sub_nc_u32 v7, 30, v7
	s_delay_alu instid0(VALU_DEP_1) | instskip(NEXT) | instid1(VALU_DEP_2)
	v_dual_lshlrev_b32 v1, 24, v1 :: v_dual_bitop2_b32 v4, 3, v4 bitop3:0x40
	v_cndmask_b32_e32 v7, v9, v7, vcc_lo
	s_delay_alu instid0(VALU_DEP_2) | instskip(NEXT) | instid1(VALU_DEP_3)
	v_cndmask_b32_e32 v4, v5, v4, vcc_lo
	v_and_b32_e32 v1, 0x80000000, v1
	s_delay_alu instid0(VALU_DEP_3) | instskip(NEXT) | instid1(VALU_DEP_3)
	v_lshl_add_u32 v5, v7, 23, 0x37800000
	v_lshlrev_b32_e32 v4, 21, v4
	s_delay_alu instid0(VALU_DEP_1) | instskip(NEXT) | instid1(VALU_DEP_1)
	v_or3_b32 v1, v1, v5, v4
	v_cvt_f16_f32_e32 v7, v1
.LBB55_1598:
	s_or_b32 exec_lo, exec_lo, s17
	s_mov_b32 s16, 0
	s_branch .LBB55_1604
.LBB55_1599:
                                        ; implicit-def: $vgpr7
	s_mov_b32 s16, 0
	s_branch .LBB55_1610
.LBB55_1600:
	s_or_saveexec_b32 s18, s18
	v_mov_b32_e32 v7, 0x7e00
	s_xor_b32 exec_lo, exec_lo, s18
	s_cbranch_execz .LBB55_1584
.LBB55_1601:
	v_cmp_ne_u16_e32 vcc_lo, 0, v1
	v_mov_b32_e32 v7, v1
	s_and_not1_b32 s17, s17, exec_lo
	s_and_b32 s19, vcc_lo, exec_lo
	s_delay_alu instid0(SALU_CYCLE_1)
	s_or_b32 s17, s17, s19
	s_or_b32 exec_lo, exec_lo, s18
	s_and_saveexec_b32 s18, s17
	s_cbranch_execnz .LBB55_1585
	s_branch .LBB55_1586
.LBB55_1602:
	s_mov_b32 s16, -1
                                        ; implicit-def: $vgpr7
	s_branch .LBB55_1607
.LBB55_1603:
	s_mov_b32 s16, -1
                                        ; implicit-def: $vgpr7
.LBB55_1604:
	s_delay_alu instid0(SALU_CYCLE_1)
	s_and_b32 vcc_lo, exec_lo, s16
	s_cbranch_vccz .LBB55_1606
; %bb.1605:
	global_load_u8 v1, v[2:3], off
	s_wait_loadcnt 0x0
	v_lshlrev_b32_e32 v1, 24, v1
	s_delay_alu instid0(VALU_DEP_1) | instskip(NEXT) | instid1(VALU_DEP_1)
	v_and_b32_e32 v4, 0x7f000000, v1
	v_clz_i32_u32_e32 v5, v4
	v_add_nc_u32_e32 v8, 0x1000000, v4
	v_cmp_ne_u32_e32 vcc_lo, 0, v4
	s_delay_alu instid0(VALU_DEP_3) | instskip(NEXT) | instid1(VALU_DEP_1)
	v_min_u32_e32 v5, 32, v5
	v_sub_nc_u32_e64 v5, v5, 4 clamp
	s_delay_alu instid0(VALU_DEP_1) | instskip(NEXT) | instid1(VALU_DEP_1)
	v_dual_lshlrev_b32 v7, v5, v4 :: v_dual_lshlrev_b32 v5, 23, v5
	v_lshrrev_b32_e32 v7, 4, v7
	s_delay_alu instid0(VALU_DEP_1) | instskip(NEXT) | instid1(VALU_DEP_1)
	v_dual_sub_nc_u32 v5, v7, v5 :: v_dual_ashrrev_i32 v7, 8, v8
	v_add_nc_u32_e32 v5, 0x3c000000, v5
	s_delay_alu instid0(VALU_DEP_1) | instskip(NEXT) | instid1(VALU_DEP_1)
	v_and_or_b32 v5, 0x7f800000, v7, v5
	v_cndmask_b32_e32 v4, 0, v5, vcc_lo
	s_delay_alu instid0(VALU_DEP_1) | instskip(NEXT) | instid1(VALU_DEP_1)
	v_and_or_b32 v1, 0x80000000, v1, v4
	v_cvt_f16_f32_e32 v7, v1
.LBB55_1606:
	s_mov_b32 s16, 0
.LBB55_1607:
	s_delay_alu instid0(SALU_CYCLE_1)
	s_and_not1_b32 vcc_lo, exec_lo, s16
	s_cbranch_vccnz .LBB55_1609
; %bb.1608:
	global_load_u8 v1, v[2:3], off
	s_wait_loadcnt 0x0
	v_lshlrev_b32_e32 v4, 25, v1
	v_lshlrev_b16 v1, 8, v1
	s_delay_alu instid0(VALU_DEP_1) | instskip(SKIP_1) | instid1(VALU_DEP_2)
	v_and_or_b32 v7, 0x7f00, v1, 0.5
	v_bfe_i32 v1, v1, 0, 16
	v_dual_add_f32 v7, -0.5, v7 :: v_dual_lshrrev_b32 v5, 4, v4
	v_cmp_gt_u32_e32 vcc_lo, 0x8000000, v4
	s_delay_alu instid0(VALU_DEP_2) | instskip(NEXT) | instid1(VALU_DEP_1)
	v_or_b32_e32 v5, 0x70000000, v5
	v_mul_f32_e32 v5, 0x7800000, v5
	s_delay_alu instid0(VALU_DEP_1) | instskip(NEXT) | instid1(VALU_DEP_1)
	v_cndmask_b32_e32 v4, v5, v7, vcc_lo
	v_and_or_b32 v1, 0x80000000, v1, v4
	s_delay_alu instid0(VALU_DEP_1)
	v_cvt_f16_f32_e32 v7, v1
.LBB55_1609:
	s_mov_b32 s17, -1
	s_mov_b32 s16, 0
	s_cbranch_execnz .LBB55_1620
.LBB55_1610:
	s_cmp_gt_i32 s12, 14
	s_cbranch_scc0 .LBB55_1613
; %bb.1611:
	s_cmp_eq_u32 s12, 15
	s_cbranch_scc0 .LBB55_1616
; %bb.1612:
	global_load_u16 v1, v[2:3], off
	s_mov_b32 s13, 0
	s_mov_b32 s17, -1
	s_wait_loadcnt 0x0
	v_lshlrev_b32_e32 v1, 16, v1
	s_delay_alu instid0(VALU_DEP_1)
	v_cvt_f16_f32_e32 v7, v1
	s_branch .LBB55_1618
.LBB55_1613:
	s_mov_b32 s16, -1
	s_branch .LBB55_1617
.LBB55_1614:
	s_or_saveexec_b32 s17, s17
	v_mov_b32_e32 v7, 0x7e00
	s_xor_b32 exec_lo, exec_lo, s17
	s_cbranch_execz .LBB55_1596
.LBB55_1615:
	v_cmp_ne_u16_e32 vcc_lo, 0, v1
	v_mov_b32_e32 v7, v1
	s_and_not1_b32 s16, s16, exec_lo
	s_and_b32 s18, vcc_lo, exec_lo
	s_delay_alu instid0(SALU_CYCLE_1)
	s_or_b32 s16, s16, s18
	s_or_b32 exec_lo, exec_lo, s17
	s_and_saveexec_b32 s17, s16
	s_cbranch_execnz .LBB55_1597
	s_branch .LBB55_1598
.LBB55_1616:
	s_mov_b32 s13, -1
.LBB55_1617:
                                        ; implicit-def: $vgpr7
.LBB55_1618:
	s_and_b32 vcc_lo, exec_lo, s16
	s_mov_b32 s16, 0
	s_cbranch_vccz .LBB55_1620
; %bb.1619:
	s_cmp_lg_u32 s12, 11
	s_mov_b32 s16, -1
	s_cselect_b32 s13, -1, 0
.LBB55_1620:
	s_delay_alu instid0(SALU_CYCLE_1)
	s_and_b32 vcc_lo, exec_lo, s13
	s_mov_b32 s12, s15
	s_cbranch_vccnz .LBB55_1681
; %bb.1621:
	s_and_not1_b32 vcc_lo, exec_lo, s16
	s_cbranch_vccnz .LBB55_1623
.LBB55_1622:
	global_load_u8 v1, v[2:3], off
	s_mov_b32 s17, -1
	s_wait_loadcnt 0x0
	v_cmp_ne_u16_e32 vcc_lo, 0, v1
	v_cndmask_b32_e64 v7, 0, 0x3c00, vcc_lo
.LBB55_1623:
	s_branch .LBB55_1552
.LBB55_1624:
	s_and_b32 s13, 0xffff, s0
	s_delay_alu instid0(SALU_CYCLE_1)
	s_cmp_lt_i32 s13, 5
	s_cbranch_scc1 .LBB55_1629
; %bb.1625:
	s_cmp_lt_i32 s13, 8
	s_cbranch_scc1 .LBB55_1630
; %bb.1626:
	;; [unrolled: 3-line block ×3, first 2 shown]
	s_cmp_gt_i32 s13, 9
	s_cbranch_scc0 .LBB55_1632
; %bb.1628:
	global_load_b64 v[4:5], v[2:3], off
	s_mov_b32 s16, 0
	s_wait_loadcnt 0x0
	v_and_or_b32 v1, 0x1ff, v5, v4
	v_lshrrev_b32_e32 v4, 8, v5
	v_bfe_u32 v7, v5, 20, 11
	s_delay_alu instid0(VALU_DEP_3) | instskip(NEXT) | instid1(VALU_DEP_2)
	v_cmp_ne_u32_e32 vcc_lo, 0, v1
	v_sub_nc_u32_e32 v8, 0x3f1, v7
	v_cndmask_b32_e64 v1, 0, 1, vcc_lo
	s_delay_alu instid0(VALU_DEP_1) | instskip(NEXT) | instid1(VALU_DEP_3)
	v_and_or_b32 v1, 0xffe, v4, v1
	v_med3_i32 v4, v8, 0, 13
	s_delay_alu instid0(VALU_DEP_2) | instskip(NEXT) | instid1(VALU_DEP_1)
	v_or_b32_e32 v8, 0x1000, v1
	v_lshrrev_b32_e32 v9, v4, v8
	s_delay_alu instid0(VALU_DEP_1) | instskip(NEXT) | instid1(VALU_DEP_1)
	v_lshlrev_b32_e32 v4, v4, v9
	v_cmp_ne_u32_e32 vcc_lo, v4, v8
	v_cndmask_b32_e64 v4, 0, 1, vcc_lo
	s_delay_alu instid0(VALU_DEP_1) | instskip(SKIP_1) | instid1(VALU_DEP_1)
	v_or_b32_e32 v4, v9, v4
	v_add_nc_u32_e32 v7, 0xfffffc10, v7
	v_lshl_or_b32 v8, v7, 12, v1
	v_cmp_gt_i32_e32 vcc_lo, 1, v7
	s_delay_alu instid0(VALU_DEP_2) | instskip(NEXT) | instid1(VALU_DEP_1)
	v_cndmask_b32_e32 v4, v8, v4, vcc_lo
	v_dual_lshrrev_b32 v4, 2, v4 :: v_dual_bitop2_b32 v8, 7, v4 bitop3:0x40
	s_delay_alu instid0(VALU_DEP_1) | instskip(SKIP_4) | instid1(VALU_DEP_2)
	v_cmp_lt_i32_e32 vcc_lo, 5, v8
	v_cndmask_b32_e64 v9, 0, 1, vcc_lo
	v_cmp_eq_u32_e32 vcc_lo, 3, v8
	v_cndmask_b32_e64 v8, 0, 1, vcc_lo
	v_cmp_ne_u32_e32 vcc_lo, 0, v1
	v_or_b32_e32 v8, v8, v9
	s_delay_alu instid0(VALU_DEP_1) | instskip(NEXT) | instid1(VALU_DEP_1)
	v_dual_mov_b32 v9, 0x7e00 :: v_dual_add_nc_u32 v4, v4, v8
	v_cndmask_b32_e32 v1, 0x7c00, v9, vcc_lo
	v_cmp_gt_i32_e32 vcc_lo, 31, v7
	s_delay_alu instid0(VALU_DEP_3) | instskip(SKIP_1) | instid1(VALU_DEP_2)
	v_cndmask_b32_e32 v4, 0x7c00, v4, vcc_lo
	v_cmp_eq_u32_e32 vcc_lo, 0x40f, v7
	v_cndmask_b32_e32 v1, v4, v1, vcc_lo
	v_lshrrev_b32_e32 v4, 16, v5
	s_delay_alu instid0(VALU_DEP_1)
	v_and_or_b32 v7, 0x8000, v4, v1
	s_branch .LBB55_1633
.LBB55_1629:
                                        ; implicit-def: $vgpr7
	s_branch .LBB55_1650
.LBB55_1630:
                                        ; implicit-def: $vgpr7
	s_branch .LBB55_1639
.LBB55_1631:
	s_mov_b32 s16, -1
                                        ; implicit-def: $vgpr7
	s_branch .LBB55_1636
.LBB55_1632:
	s_mov_b32 s16, -1
                                        ; implicit-def: $vgpr7
.LBB55_1633:
	s_delay_alu instid0(SALU_CYCLE_1)
	s_and_not1_b32 vcc_lo, exec_lo, s16
	s_cbranch_vccnz .LBB55_1635
; %bb.1634:
	global_load_b32 v1, v[2:3], off
	s_wait_loadcnt 0x0
	v_cvt_f16_f32_e32 v7, v1
.LBB55_1635:
	s_mov_b32 s16, 0
.LBB55_1636:
	s_delay_alu instid0(SALU_CYCLE_1)
	s_and_not1_b32 vcc_lo, exec_lo, s16
	s_cbranch_vccnz .LBB55_1638
; %bb.1637:
	global_load_b32 v7, v[2:3], off
.LBB55_1638:
	s_cbranch_execnz .LBB55_1649
.LBB55_1639:
	s_cmp_lt_i32 s13, 6
	s_cbranch_scc1 .LBB55_1642
; %bb.1640:
	s_cmp_gt_i32 s13, 6
	s_cbranch_scc0 .LBB55_1643
; %bb.1641:
	global_load_b64 v[4:5], v[2:3], off
	s_mov_b32 s16, 0
	s_wait_loadcnt 0x0
	v_and_or_b32 v1, 0x1ff, v5, v4
	v_lshrrev_b32_e32 v4, 8, v5
	v_bfe_u32 v7, v5, 20, 11
	s_delay_alu instid0(VALU_DEP_3) | instskip(NEXT) | instid1(VALU_DEP_2)
	v_cmp_ne_u32_e32 vcc_lo, 0, v1
	v_sub_nc_u32_e32 v8, 0x3f1, v7
	v_cndmask_b32_e64 v1, 0, 1, vcc_lo
	s_delay_alu instid0(VALU_DEP_1) | instskip(NEXT) | instid1(VALU_DEP_3)
	v_and_or_b32 v1, 0xffe, v4, v1
	v_med3_i32 v4, v8, 0, 13
	s_delay_alu instid0(VALU_DEP_2) | instskip(NEXT) | instid1(VALU_DEP_1)
	v_or_b32_e32 v8, 0x1000, v1
	v_lshrrev_b32_e32 v9, v4, v8
	s_delay_alu instid0(VALU_DEP_1) | instskip(NEXT) | instid1(VALU_DEP_1)
	v_lshlrev_b32_e32 v4, v4, v9
	v_cmp_ne_u32_e32 vcc_lo, v4, v8
	v_cndmask_b32_e64 v4, 0, 1, vcc_lo
	s_delay_alu instid0(VALU_DEP_1) | instskip(SKIP_1) | instid1(VALU_DEP_1)
	v_or_b32_e32 v4, v9, v4
	v_add_nc_u32_e32 v7, 0xfffffc10, v7
	v_lshl_or_b32 v8, v7, 12, v1
	v_cmp_gt_i32_e32 vcc_lo, 1, v7
	s_delay_alu instid0(VALU_DEP_2) | instskip(NEXT) | instid1(VALU_DEP_1)
	v_cndmask_b32_e32 v4, v8, v4, vcc_lo
	v_dual_lshrrev_b32 v4, 2, v4 :: v_dual_bitop2_b32 v8, 7, v4 bitop3:0x40
	s_delay_alu instid0(VALU_DEP_1) | instskip(SKIP_4) | instid1(VALU_DEP_2)
	v_cmp_lt_i32_e32 vcc_lo, 5, v8
	v_cndmask_b32_e64 v9, 0, 1, vcc_lo
	v_cmp_eq_u32_e32 vcc_lo, 3, v8
	v_cndmask_b32_e64 v8, 0, 1, vcc_lo
	v_cmp_ne_u32_e32 vcc_lo, 0, v1
	v_or_b32_e32 v8, v8, v9
	s_delay_alu instid0(VALU_DEP_1) | instskip(NEXT) | instid1(VALU_DEP_1)
	v_dual_mov_b32 v9, 0x7e00 :: v_dual_add_nc_u32 v4, v4, v8
	v_cndmask_b32_e32 v1, 0x7c00, v9, vcc_lo
	v_cmp_gt_i32_e32 vcc_lo, 31, v7
	s_delay_alu instid0(VALU_DEP_3) | instskip(SKIP_1) | instid1(VALU_DEP_2)
	v_cndmask_b32_e32 v4, 0x7c00, v4, vcc_lo
	v_cmp_eq_u32_e32 vcc_lo, 0x40f, v7
	v_cndmask_b32_e32 v1, v4, v1, vcc_lo
	v_lshrrev_b32_e32 v4, 16, v5
	s_delay_alu instid0(VALU_DEP_1)
	v_and_or_b32 v7, 0x8000, v4, v1
	s_branch .LBB55_1644
.LBB55_1642:
	s_mov_b32 s16, -1
                                        ; implicit-def: $vgpr7
	s_branch .LBB55_1647
.LBB55_1643:
	s_mov_b32 s16, -1
                                        ; implicit-def: $vgpr7
.LBB55_1644:
	s_delay_alu instid0(SALU_CYCLE_1)
	s_and_not1_b32 vcc_lo, exec_lo, s16
	s_cbranch_vccnz .LBB55_1646
; %bb.1645:
	global_load_b32 v1, v[2:3], off
	s_wait_loadcnt 0x0
	v_cvt_f16_f32_e32 v7, v1
.LBB55_1646:
	s_mov_b32 s16, 0
.LBB55_1647:
	s_delay_alu instid0(SALU_CYCLE_1)
	s_and_not1_b32 vcc_lo, exec_lo, s16
	s_cbranch_vccnz .LBB55_1649
; %bb.1648:
	s_wait_loadcnt 0x0
	global_load_u16 v7, v[2:3], off
.LBB55_1649:
	s_cbranch_execnz .LBB55_1668
.LBB55_1650:
	s_cmp_lt_i32 s13, 2
	s_cbranch_scc1 .LBB55_1654
; %bb.1651:
	s_cmp_lt_i32 s13, 3
	s_cbranch_scc1 .LBB55_1655
; %bb.1652:
	s_cmp_gt_i32 s13, 3
	s_cbranch_scc0 .LBB55_1656
; %bb.1653:
	global_load_b64 v[4:5], v[2:3], off
	s_mov_b32 s16, 0
	s_wait_loadcnt 0x0
	v_xor_b32_e32 v1, v4, v5
	v_cls_i32_e32 v7, v5
	s_delay_alu instid0(VALU_DEP_2) | instskip(NEXT) | instid1(VALU_DEP_1)
	v_ashrrev_i32_e32 v1, 31, v1
	v_add_nc_u32_e32 v1, 32, v1
	s_delay_alu instid0(VALU_DEP_1) | instskip(NEXT) | instid1(VALU_DEP_1)
	v_add_min_u32_e64 v1, v7, -1, v1
	v_lshlrev_b64_e32 v[4:5], v1, v[4:5]
	v_sub_nc_u32_e32 v1, 32, v1
	s_delay_alu instid0(VALU_DEP_2) | instskip(NEXT) | instid1(VALU_DEP_1)
	v_min_u32_e32 v4, 1, v4
	v_or_b32_e32 v4, v5, v4
	s_delay_alu instid0(VALU_DEP_1) | instskip(NEXT) | instid1(VALU_DEP_1)
	v_cvt_f32_i32_e32 v4, v4
	v_ldexp_f32 v1, v4, v1
	s_delay_alu instid0(VALU_DEP_1)
	v_cvt_f16_f32_e32 v7, v1
	s_branch .LBB55_1657
.LBB55_1654:
                                        ; implicit-def: $vgpr7
	s_branch .LBB55_1663
.LBB55_1655:
	s_mov_b32 s16, -1
                                        ; implicit-def: $vgpr7
	s_branch .LBB55_1660
.LBB55_1656:
	s_mov_b32 s16, -1
                                        ; implicit-def: $vgpr7
.LBB55_1657:
	s_delay_alu instid0(SALU_CYCLE_1)
	s_and_not1_b32 vcc_lo, exec_lo, s16
	s_cbranch_vccnz .LBB55_1659
; %bb.1658:
	global_load_b32 v1, v[2:3], off
	s_wait_loadcnt 0x0
	v_cvt_f32_i32_e32 v1, v1
	s_delay_alu instid0(VALU_DEP_1)
	v_cvt_f16_f32_e32 v7, v1
.LBB55_1659:
	s_mov_b32 s16, 0
.LBB55_1660:
	s_delay_alu instid0(SALU_CYCLE_1)
	s_and_not1_b32 vcc_lo, exec_lo, s16
	s_cbranch_vccnz .LBB55_1662
; %bb.1661:
	global_load_u16 v1, v[2:3], off
	s_wait_loadcnt 0x0
	v_cvt_f16_i16_e32 v7, v1
.LBB55_1662:
	s_cbranch_execnz .LBB55_1668
.LBB55_1663:
	s_cmp_gt_i32 s13, 0
	s_mov_b32 s13, 0
	s_cbranch_scc0 .LBB55_1665
; %bb.1664:
	global_load_i8 v1, v[2:3], off
	s_wait_loadcnt 0x0
	v_cvt_f16_i16_e32 v7, v1
	s_branch .LBB55_1666
.LBB55_1665:
	s_mov_b32 s13, -1
                                        ; implicit-def: $vgpr7
.LBB55_1666:
	s_delay_alu instid0(SALU_CYCLE_1)
	s_and_not1_b32 vcc_lo, exec_lo, s13
	s_cbranch_vccnz .LBB55_1668
; %bb.1667:
	global_load_u8 v1, v[2:3], off
	s_wait_loadcnt 0x0
	v_cvt_f16_u16_e32 v7, v1
.LBB55_1668:
.LBB55_1669:
	s_wait_xcnt 0x0
	v_mul_lo_u32 v2, s10, v6
	s_and_b32 s1, s1, 0xff
	s_delay_alu instid0(SALU_CYCLE_1) | instskip(NEXT) | instid1(VALU_DEP_1)
	s_cmp_lt_i32 s1, 11
	v_ashrrev_i32_e32 v3, 31, v2
	s_delay_alu instid0(VALU_DEP_1)
	v_add_nc_u64_e32 v[4:5], s[2:3], v[2:3]
	s_cbranch_scc1 .LBB55_1676
; %bb.1670:
	s_and_b32 s13, 0xffff, s1
	s_mov_b32 s17, 0
	s_cmp_gt_i32 s13, 25
	s_cbranch_scc0 .LBB55_1678
; %bb.1671:
	s_cmp_gt_i32 s13, 28
	s_cbranch_scc0 .LBB55_1679
; %bb.1672:
	;; [unrolled: 3-line block ×4, first 2 shown]
	s_cmp_eq_u32 s13, 46
	s_mov_b32 s19, 0
	s_cbranch_scc0 .LBB55_1685
; %bb.1675:
	global_load_b32 v1, v[4:5], off
	s_mov_b32 s16, 0
	s_mov_b32 s18, -1
	s_wait_loadcnt 0x0
	v_lshlrev_b32_e32 v1, 16, v1
	s_delay_alu instid0(VALU_DEP_1)
	v_cvt_f16_f32_e32 v8, v1
	s_branch .LBB55_1687
.LBB55_1676:
	s_mov_b32 s18, 0
                                        ; implicit-def: $vgpr8
	s_cbranch_execnz .LBB55_1752
.LBB55_1677:
	s_and_not1_b32 vcc_lo, exec_lo, s18
	s_cbranch_vccz .LBB55_1799
	s_branch .LBB55_3016
.LBB55_1678:
	s_mov_b32 s18, 0
	s_mov_b32 s16, 0
                                        ; implicit-def: $vgpr8
	s_cbranch_execnz .LBB55_1716
	s_branch .LBB55_1748
.LBB55_1679:
	s_mov_b32 s19, -1
	s_mov_b32 s18, 0
	s_mov_b32 s16, 0
                                        ; implicit-def: $vgpr8
	s_branch .LBB55_1697
.LBB55_1680:
	s_mov_b32 s19, -1
	s_mov_b32 s18, 0
	s_mov_b32 s16, 0
                                        ; implicit-def: $vgpr8
	s_branch .LBB55_1692
.LBB55_1681:
	s_or_b32 s12, s15, exec_lo
	s_trap 2
	s_cbranch_execz .LBB55_1622
	s_branch .LBB55_1623
.LBB55_1682:
	s_mov_b32 s19, -1
	s_mov_b32 s18, 0
	s_mov_b32 s16, 0
	s_branch .LBB55_1686
.LBB55_1683:
	s_and_not1_saveexec_b32 s23, s23
	s_cbranch_execz .LBB55_1465
.LBB55_1684:
	v_add_f32_e64 v4, 0x42800000, |v2|
	s_and_not1_b32 s22, s22, exec_lo
	s_delay_alu instid0(VALU_DEP_1) | instskip(NEXT) | instid1(VALU_DEP_1)
	v_and_b32_e32 v4, 0xff, v4
	v_cmp_ne_u32_e32 vcc_lo, 0, v4
	s_and_b32 s24, vcc_lo, exec_lo
	s_delay_alu instid0(SALU_CYCLE_1)
	s_or_b32 s22, s22, s24
	s_or_b32 exec_lo, exec_lo, s23
	v_mov_b32_e32 v5, 0
	s_and_saveexec_b32 s23, s22
	s_cbranch_execnz .LBB55_1466
	s_branch .LBB55_1467
.LBB55_1685:
	s_mov_b32 s16, -1
	s_mov_b32 s18, 0
.LBB55_1686:
                                        ; implicit-def: $vgpr8
.LBB55_1687:
	s_and_b32 vcc_lo, exec_lo, s19
	s_cbranch_vccz .LBB55_1691
; %bb.1688:
	s_cmp_eq_u32 s13, 44
	s_cbranch_scc0 .LBB55_1690
; %bb.1689:
	global_load_u8 v1, v[4:5], off
	s_mov_b32 s16, 0
	s_mov_b32 s18, -1
	s_wait_loadcnt 0x0
	v_lshlrev_b32_e32 v3, 23, v1
	v_cmp_ne_u32_e32 vcc_lo, 0xff, v1
	s_delay_alu instid0(VALU_DEP_2) | instskip(NEXT) | instid1(VALU_DEP_1)
	v_cvt_f16_f32_e32 v3, v3
	v_cndmask_b32_e32 v3, 0x7e00, v3, vcc_lo
	v_cmp_ne_u32_e32 vcc_lo, 0, v1
	s_delay_alu instid0(VALU_DEP_2)
	v_cndmask_b32_e32 v8, 0, v3, vcc_lo
	s_branch .LBB55_1691
.LBB55_1690:
	s_mov_b32 s16, -1
                                        ; implicit-def: $vgpr8
.LBB55_1691:
	s_mov_b32 s19, 0
.LBB55_1692:
	s_delay_alu instid0(SALU_CYCLE_1)
	s_and_b32 vcc_lo, exec_lo, s19
	s_cbranch_vccz .LBB55_1696
; %bb.1693:
	s_cmp_eq_u32 s13, 29
	s_cbranch_scc0 .LBB55_1695
; %bb.1694:
	global_load_b64 v[8:9], v[4:5], off
	s_mov_b32 s16, 0
	s_mov_b32 s18, -1
	s_mov_b32 s19, 0
	s_wait_loadcnt 0x0
	v_clz_i32_u32_e32 v1, v9
	s_delay_alu instid0(VALU_DEP_1) | instskip(NEXT) | instid1(VALU_DEP_1)
	v_min_u32_e32 v1, 32, v1
	v_lshlrev_b64_e32 v[8:9], v1, v[8:9]
	v_sub_nc_u32_e32 v1, 32, v1
	s_delay_alu instid0(VALU_DEP_2) | instskip(NEXT) | instid1(VALU_DEP_1)
	v_min_u32_e32 v3, 1, v8
	v_or_b32_e32 v3, v9, v3
	s_delay_alu instid0(VALU_DEP_1) | instskip(NEXT) | instid1(VALU_DEP_1)
	v_cvt_f32_u32_e32 v3, v3
	v_ldexp_f32 v1, v3, v1
	s_delay_alu instid0(VALU_DEP_1)
	v_cvt_f16_f32_e32 v8, v1
	s_branch .LBB55_1697
.LBB55_1695:
	s_mov_b32 s16, -1
                                        ; implicit-def: $vgpr8
.LBB55_1696:
	s_mov_b32 s19, 0
.LBB55_1697:
	s_delay_alu instid0(SALU_CYCLE_1)
	s_and_b32 vcc_lo, exec_lo, s19
	s_cbranch_vccz .LBB55_1715
; %bb.1698:
	s_cmp_lt_i32 s13, 27
	s_cbranch_scc1 .LBB55_1701
; %bb.1699:
	s_cmp_gt_i32 s13, 27
	s_cbranch_scc0 .LBB55_1702
; %bb.1700:
	global_load_b32 v1, v[4:5], off
	s_mov_b32 s18, 0
	s_wait_loadcnt 0x0
	v_cvt_f32_u32_e32 v1, v1
	s_delay_alu instid0(VALU_DEP_1)
	v_cvt_f16_f32_e32 v8, v1
	s_branch .LBB55_1703
.LBB55_1701:
	s_mov_b32 s18, -1
                                        ; implicit-def: $vgpr8
	s_branch .LBB55_1706
.LBB55_1702:
	s_mov_b32 s18, -1
                                        ; implicit-def: $vgpr8
.LBB55_1703:
	s_delay_alu instid0(SALU_CYCLE_1)
	s_and_not1_b32 vcc_lo, exec_lo, s18
	s_cbranch_vccnz .LBB55_1705
; %bb.1704:
	global_load_u16 v1, v[4:5], off
	s_wait_loadcnt 0x0
	v_cvt_f16_u16_e32 v8, v1
.LBB55_1705:
	s_mov_b32 s18, 0
.LBB55_1706:
	s_delay_alu instid0(SALU_CYCLE_1)
	s_and_not1_b32 vcc_lo, exec_lo, s18
	s_cbranch_vccnz .LBB55_1714
; %bb.1707:
	global_load_u8 v1, v[4:5], off
	s_mov_b32 s18, 0
	s_mov_b32 s19, exec_lo
	s_wait_loadcnt 0x0
	v_cmpx_lt_i16_e32 0x7f, v1
	s_xor_b32 s19, exec_lo, s19
	s_cbranch_execz .LBB55_1727
; %bb.1708:
	s_mov_b32 s18, -1
	s_mov_b32 s20, exec_lo
	v_cmpx_eq_u16_e32 0x80, v1
; %bb.1709:
	s_xor_b32 s18, exec_lo, -1
; %bb.1710:
	s_or_b32 exec_lo, exec_lo, s20
	s_delay_alu instid0(SALU_CYCLE_1)
	s_and_b32 s18, s18, exec_lo
	s_or_saveexec_b32 s19, s19
	v_mov_b32_e32 v8, 0x7e00
	s_xor_b32 exec_lo, exec_lo, s19
	s_cbranch_execnz .LBB55_1728
.LBB55_1711:
	s_or_b32 exec_lo, exec_lo, s19
	s_and_saveexec_b32 s19, s18
	s_cbranch_execz .LBB55_1713
.LBB55_1712:
	v_and_b32_e32 v3, 0xffff, v1
	s_delay_alu instid0(VALU_DEP_1) | instskip(SKIP_1) | instid1(VALU_DEP_2)
	v_and_b32_e32 v8, 7, v3
	v_bfe_u32 v11, v3, 3, 4
	v_clz_i32_u32_e32 v9, v8
	s_delay_alu instid0(VALU_DEP_2) | instskip(NEXT) | instid1(VALU_DEP_2)
	v_cmp_eq_u32_e32 vcc_lo, 0, v11
	v_min_u32_e32 v9, 32, v9
	s_delay_alu instid0(VALU_DEP_1) | instskip(NEXT) | instid1(VALU_DEP_1)
	v_subrev_nc_u32_e32 v10, 28, v9
	v_dual_lshlrev_b32 v3, v10, v3 :: v_dual_sub_nc_u32 v9, 29, v9
	s_delay_alu instid0(VALU_DEP_1) | instskip(NEXT) | instid1(VALU_DEP_1)
	v_dual_lshlrev_b32 v1, 24, v1 :: v_dual_bitop2_b32 v3, 7, v3 bitop3:0x40
	v_dual_cndmask_b32 v3, v8, v3, vcc_lo :: v_dual_cndmask_b32 v9, v11, v9, vcc_lo
	s_delay_alu instid0(VALU_DEP_2) | instskip(NEXT) | instid1(VALU_DEP_2)
	v_and_b32_e32 v1, 0x80000000, v1
	v_lshlrev_b32_e32 v3, 20, v3
	s_delay_alu instid0(VALU_DEP_3) | instskip(NEXT) | instid1(VALU_DEP_1)
	v_lshl_add_u32 v8, v9, 23, 0x3b800000
	v_or3_b32 v1, v1, v8, v3
	s_delay_alu instid0(VALU_DEP_1)
	v_cvt_f16_f32_e32 v8, v1
.LBB55_1713:
	s_or_b32 exec_lo, exec_lo, s19
.LBB55_1714:
	s_mov_b32 s18, -1
.LBB55_1715:
	s_branch .LBB55_1748
.LBB55_1716:
	s_cmp_gt_i32 s13, 22
	s_cbranch_scc0 .LBB55_1726
; %bb.1717:
	s_cmp_lt_i32 s13, 24
	s_cbranch_scc1 .LBB55_1729
; %bb.1718:
	s_cmp_gt_i32 s13, 24
	s_cbranch_scc0 .LBB55_1730
; %bb.1719:
	global_load_u8 v1, v[4:5], off
	s_mov_b32 s18, exec_lo
	s_wait_loadcnt 0x0
	v_cmpx_lt_i16_e32 0x7f, v1
	s_xor_b32 s18, exec_lo, s18
	s_cbranch_execz .LBB55_1742
; %bb.1720:
	s_mov_b32 s17, -1
	s_mov_b32 s19, exec_lo
	v_cmpx_eq_u16_e32 0x80, v1
; %bb.1721:
	s_xor_b32 s17, exec_lo, -1
; %bb.1722:
	s_or_b32 exec_lo, exec_lo, s19
	s_delay_alu instid0(SALU_CYCLE_1)
	s_and_b32 s17, s17, exec_lo
	s_or_saveexec_b32 s18, s18
	v_mov_b32_e32 v8, 0x7e00
	s_xor_b32 exec_lo, exec_lo, s18
	s_cbranch_execnz .LBB55_1743
.LBB55_1723:
	s_or_b32 exec_lo, exec_lo, s18
	s_and_saveexec_b32 s18, s17
	s_cbranch_execz .LBB55_1725
.LBB55_1724:
	v_and_b32_e32 v3, 0xffff, v1
	s_delay_alu instid0(VALU_DEP_1) | instskip(SKIP_1) | instid1(VALU_DEP_2)
	v_and_b32_e32 v8, 3, v3
	v_bfe_u32 v11, v3, 2, 5
	v_clz_i32_u32_e32 v9, v8
	s_delay_alu instid0(VALU_DEP_2) | instskip(NEXT) | instid1(VALU_DEP_2)
	v_cmp_eq_u32_e32 vcc_lo, 0, v11
	v_min_u32_e32 v9, 32, v9
	s_delay_alu instid0(VALU_DEP_1) | instskip(NEXT) | instid1(VALU_DEP_1)
	v_subrev_nc_u32_e32 v10, 29, v9
	v_dual_lshlrev_b32 v3, v10, v3 :: v_dual_sub_nc_u32 v9, 30, v9
	s_delay_alu instid0(VALU_DEP_1) | instskip(NEXT) | instid1(VALU_DEP_1)
	v_dual_lshlrev_b32 v1, 24, v1 :: v_dual_bitop2_b32 v3, 3, v3 bitop3:0x40
	v_dual_cndmask_b32 v3, v8, v3, vcc_lo :: v_dual_cndmask_b32 v9, v11, v9, vcc_lo
	s_delay_alu instid0(VALU_DEP_2) | instskip(NEXT) | instid1(VALU_DEP_2)
	v_and_b32_e32 v1, 0x80000000, v1
	v_lshlrev_b32_e32 v3, 21, v3
	s_delay_alu instid0(VALU_DEP_3) | instskip(NEXT) | instid1(VALU_DEP_1)
	v_lshl_add_u32 v8, v9, 23, 0x37800000
	v_or3_b32 v1, v1, v8, v3
	s_delay_alu instid0(VALU_DEP_1)
	v_cvt_f16_f32_e32 v8, v1
.LBB55_1725:
	s_or_b32 exec_lo, exec_lo, s18
	s_mov_b32 s17, 0
	s_branch .LBB55_1731
.LBB55_1726:
	s_mov_b32 s17, -1
                                        ; implicit-def: $vgpr8
	s_branch .LBB55_1737
.LBB55_1727:
	s_or_saveexec_b32 s19, s19
	v_mov_b32_e32 v8, 0x7e00
	s_xor_b32 exec_lo, exec_lo, s19
	s_cbranch_execz .LBB55_1711
.LBB55_1728:
	v_cmp_ne_u16_e32 vcc_lo, 0, v1
	v_mov_b32_e32 v8, v1
	s_and_not1_b32 s18, s18, exec_lo
	s_and_b32 s20, vcc_lo, exec_lo
	s_delay_alu instid0(SALU_CYCLE_1)
	s_or_b32 s18, s18, s20
	s_or_b32 exec_lo, exec_lo, s19
	s_and_saveexec_b32 s19, s18
	s_cbranch_execnz .LBB55_1712
	s_branch .LBB55_1713
.LBB55_1729:
	s_mov_b32 s17, -1
                                        ; implicit-def: $vgpr8
	s_branch .LBB55_1734
.LBB55_1730:
	s_mov_b32 s17, -1
                                        ; implicit-def: $vgpr8
.LBB55_1731:
	s_delay_alu instid0(SALU_CYCLE_1)
	s_and_b32 vcc_lo, exec_lo, s17
	s_cbranch_vccz .LBB55_1733
; %bb.1732:
	global_load_u8 v1, v[4:5], off
	s_wait_loadcnt 0x0
	v_lshlrev_b32_e32 v1, 24, v1
	s_delay_alu instid0(VALU_DEP_1) | instskip(NEXT) | instid1(VALU_DEP_1)
	v_and_b32_e32 v3, 0x7f000000, v1
	v_clz_i32_u32_e32 v8, v3
	v_cmp_ne_u32_e32 vcc_lo, 0, v3
	v_add_nc_u32_e32 v10, 0x1000000, v3
	s_delay_alu instid0(VALU_DEP_3) | instskip(NEXT) | instid1(VALU_DEP_1)
	v_min_u32_e32 v8, 32, v8
	v_sub_nc_u32_e64 v8, v8, 4 clamp
	s_delay_alu instid0(VALU_DEP_1) | instskip(NEXT) | instid1(VALU_DEP_1)
	v_dual_lshlrev_b32 v9, v8, v3 :: v_dual_lshlrev_b32 v8, 23, v8
	v_lshrrev_b32_e32 v9, 4, v9
	s_delay_alu instid0(VALU_DEP_1) | instskip(NEXT) | instid1(VALU_DEP_1)
	v_dual_sub_nc_u32 v8, v9, v8 :: v_dual_ashrrev_i32 v9, 8, v10
	v_add_nc_u32_e32 v8, 0x3c000000, v8
	s_delay_alu instid0(VALU_DEP_1) | instskip(NEXT) | instid1(VALU_DEP_1)
	v_and_or_b32 v8, 0x7f800000, v9, v8
	v_cndmask_b32_e32 v3, 0, v8, vcc_lo
	s_delay_alu instid0(VALU_DEP_1) | instskip(NEXT) | instid1(VALU_DEP_1)
	v_and_or_b32 v1, 0x80000000, v1, v3
	v_cvt_f16_f32_e32 v8, v1
.LBB55_1733:
	s_mov_b32 s17, 0
.LBB55_1734:
	s_delay_alu instid0(SALU_CYCLE_1)
	s_and_not1_b32 vcc_lo, exec_lo, s17
	s_cbranch_vccnz .LBB55_1736
; %bb.1735:
	global_load_u8 v1, v[4:5], off
	s_wait_loadcnt 0x0
	v_lshlrev_b32_e32 v3, 25, v1
	v_lshlrev_b16 v1, 8, v1
	s_delay_alu instid0(VALU_DEP_1) | instskip(NEXT) | instid1(VALU_DEP_3)
	v_and_or_b32 v9, 0x7f00, v1, 0.5
	v_lshrrev_b32_e32 v8, 4, v3
	v_bfe_i32 v1, v1, 0, 16
	s_delay_alu instid0(VALU_DEP_3) | instskip(NEXT) | instid1(VALU_DEP_3)
	v_add_f32_e32 v9, -0.5, v9
	v_or_b32_e32 v8, 0x70000000, v8
	s_delay_alu instid0(VALU_DEP_1) | instskip(SKIP_1) | instid1(VALU_DEP_2)
	v_mul_f32_e32 v8, 0x7800000, v8
	v_cmp_gt_u32_e32 vcc_lo, 0x8000000, v3
	v_cndmask_b32_e32 v3, v8, v9, vcc_lo
	s_delay_alu instid0(VALU_DEP_1) | instskip(NEXT) | instid1(VALU_DEP_1)
	v_and_or_b32 v1, 0x80000000, v1, v3
	v_cvt_f16_f32_e32 v8, v1
.LBB55_1736:
	s_mov_b32 s17, 0
	s_mov_b32 s18, -1
.LBB55_1737:
	s_and_not1_b32 vcc_lo, exec_lo, s17
	s_mov_b32 s17, 0
	s_cbranch_vccnz .LBB55_1748
; %bb.1738:
	s_cmp_gt_i32 s13, 14
	s_cbranch_scc0 .LBB55_1741
; %bb.1739:
	s_cmp_eq_u32 s13, 15
	s_cbranch_scc0 .LBB55_1744
; %bb.1740:
	global_load_u16 v1, v[4:5], off
	s_mov_b32 s16, 0
	s_mov_b32 s18, -1
	s_wait_loadcnt 0x0
	v_lshlrev_b32_e32 v1, 16, v1
	s_delay_alu instid0(VALU_DEP_1)
	v_cvt_f16_f32_e32 v8, v1
	s_branch .LBB55_1746
.LBB55_1741:
	s_mov_b32 s17, -1
	s_branch .LBB55_1745
.LBB55_1742:
	s_or_saveexec_b32 s18, s18
	v_mov_b32_e32 v8, 0x7e00
	s_xor_b32 exec_lo, exec_lo, s18
	s_cbranch_execz .LBB55_1723
.LBB55_1743:
	v_cmp_ne_u16_e32 vcc_lo, 0, v1
	v_mov_b32_e32 v8, v1
	s_and_not1_b32 s17, s17, exec_lo
	s_and_b32 s19, vcc_lo, exec_lo
	s_delay_alu instid0(SALU_CYCLE_1)
	s_or_b32 s17, s17, s19
	s_or_b32 exec_lo, exec_lo, s18
	s_and_saveexec_b32 s18, s17
	s_cbranch_execnz .LBB55_1724
	s_branch .LBB55_1725
.LBB55_1744:
	s_mov_b32 s16, -1
.LBB55_1745:
                                        ; implicit-def: $vgpr8
.LBB55_1746:
	s_and_b32 vcc_lo, exec_lo, s17
	s_mov_b32 s17, 0
	s_cbranch_vccz .LBB55_1748
; %bb.1747:
	s_cmp_lg_u32 s13, 11
	s_mov_b32 s17, -1
	s_cselect_b32 s16, -1, 0
.LBB55_1748:
	s_delay_alu instid0(SALU_CYCLE_1)
	s_and_b32 vcc_lo, exec_lo, s16
	s_cbranch_vccnz .LBB55_1811
; %bb.1749:
	s_and_not1_b32 vcc_lo, exec_lo, s17
	s_cbranch_vccnz .LBB55_1751
.LBB55_1750:
	global_load_u8 v1, v[4:5], off
	s_mov_b32 s18, -1
	s_wait_loadcnt 0x0
	v_cmp_ne_u16_e32 vcc_lo, 0, v1
	v_cndmask_b32_e64 v8, 0, 0x3c00, vcc_lo
.LBB55_1751:
	s_branch .LBB55_1677
.LBB55_1752:
	s_and_b32 s13, 0xffff, s1
	s_delay_alu instid0(SALU_CYCLE_1)
	s_cmp_lt_i32 s13, 5
	s_cbranch_scc1 .LBB55_1757
; %bb.1753:
	s_cmp_lt_i32 s13, 8
	s_cbranch_scc1 .LBB55_1758
; %bb.1754:
	;; [unrolled: 3-line block ×3, first 2 shown]
	s_cmp_gt_i32 s13, 9
	s_cbranch_scc0 .LBB55_1760
; %bb.1756:
	global_load_b64 v[8:9], v[4:5], off
	s_mov_b32 s16, 0
	s_wait_loadcnt 0x0
	v_and_or_b32 v1, 0x1ff, v9, v8
	v_lshrrev_b32_e32 v3, 8, v9
	v_bfe_u32 v8, v9, 20, 11
	s_delay_alu instid0(VALU_DEP_3) | instskip(NEXT) | instid1(VALU_DEP_2)
	v_cmp_ne_u32_e32 vcc_lo, 0, v1
	v_sub_nc_u32_e32 v10, 0x3f1, v8
	v_add_nc_u32_e32 v8, 0xfffffc10, v8
	v_cndmask_b32_e64 v1, 0, 1, vcc_lo
	s_delay_alu instid0(VALU_DEP_1) | instskip(NEXT) | instid1(VALU_DEP_4)
	v_and_or_b32 v1, 0xffe, v3, v1
	v_med3_i32 v3, v10, 0, 13
	s_delay_alu instid0(VALU_DEP_2) | instskip(NEXT) | instid1(VALU_DEP_1)
	v_or_b32_e32 v10, 0x1000, v1
	v_lshrrev_b32_e32 v11, v3, v10
	s_delay_alu instid0(VALU_DEP_1) | instskip(NEXT) | instid1(VALU_DEP_1)
	v_lshlrev_b32_e32 v3, v3, v11
	v_cmp_ne_u32_e32 vcc_lo, v3, v10
	v_lshl_or_b32 v10, v8, 12, v1
	v_cndmask_b32_e64 v3, 0, 1, vcc_lo
	v_cmp_gt_i32_e32 vcc_lo, 1, v8
	s_delay_alu instid0(VALU_DEP_2) | instskip(NEXT) | instid1(VALU_DEP_1)
	v_or_b32_e32 v3, v11, v3
	v_cndmask_b32_e32 v3, v10, v3, vcc_lo
	s_delay_alu instid0(VALU_DEP_1) | instskip(NEXT) | instid1(VALU_DEP_1)
	v_dual_lshrrev_b32 v3, 2, v3 :: v_dual_bitop2_b32 v10, 7, v3 bitop3:0x40
	v_cmp_lt_i32_e32 vcc_lo, 5, v10
	v_cndmask_b32_e64 v11, 0, 1, vcc_lo
	v_cmp_eq_u32_e32 vcc_lo, 3, v10
	v_cndmask_b32_e64 v10, 0, 1, vcc_lo
	v_cmp_ne_u32_e32 vcc_lo, 0, v1
	s_delay_alu instid0(VALU_DEP_2) | instskip(SKIP_1) | instid1(VALU_DEP_2)
	v_or_b32_e32 v10, v10, v11
	v_mov_b32_e32 v11, 0x7e00
	v_add_nc_u32_e32 v3, v3, v10
	s_delay_alu instid0(VALU_DEP_2) | instskip(SKIP_1) | instid1(VALU_DEP_3)
	v_cndmask_b32_e32 v1, 0x7c00, v11, vcc_lo
	v_cmp_gt_i32_e32 vcc_lo, 31, v8
	v_cndmask_b32_e32 v3, 0x7c00, v3, vcc_lo
	v_cmp_eq_u32_e32 vcc_lo, 0x40f, v8
	s_delay_alu instid0(VALU_DEP_2) | instskip(SKIP_1) | instid1(VALU_DEP_1)
	v_cndmask_b32_e32 v1, v3, v1, vcc_lo
	v_lshrrev_b32_e32 v3, 16, v9
	v_and_or_b32 v8, 0x8000, v3, v1
	s_branch .LBB55_1761
.LBB55_1757:
                                        ; implicit-def: $vgpr8
	s_branch .LBB55_1779
.LBB55_1758:
	s_mov_b32 s16, -1
                                        ; implicit-def: $vgpr8
	s_branch .LBB55_1767
.LBB55_1759:
	s_mov_b32 s16, -1
                                        ; implicit-def: $vgpr8
	s_branch .LBB55_1764
.LBB55_1760:
	s_mov_b32 s16, -1
                                        ; implicit-def: $vgpr8
.LBB55_1761:
	s_delay_alu instid0(SALU_CYCLE_1)
	s_and_not1_b32 vcc_lo, exec_lo, s16
	s_cbranch_vccnz .LBB55_1763
; %bb.1762:
	global_load_b32 v1, v[4:5], off
	s_wait_loadcnt 0x0
	v_cvt_f16_f32_e32 v8, v1
.LBB55_1763:
	s_mov_b32 s16, 0
.LBB55_1764:
	s_delay_alu instid0(SALU_CYCLE_1)
	s_and_not1_b32 vcc_lo, exec_lo, s16
	s_cbranch_vccnz .LBB55_1766
; %bb.1765:
	global_load_b32 v8, v[4:5], off
.LBB55_1766:
	s_mov_b32 s16, 0
.LBB55_1767:
	s_delay_alu instid0(SALU_CYCLE_1)
	s_and_not1_b32 vcc_lo, exec_lo, s16
	s_cbranch_vccnz .LBB55_1778
; %bb.1768:
	s_cmp_lt_i32 s13, 6
	s_cbranch_scc1 .LBB55_1771
; %bb.1769:
	s_cmp_gt_i32 s13, 6
	s_cbranch_scc0 .LBB55_1772
; %bb.1770:
	s_wait_loadcnt 0x0
	global_load_b64 v[8:9], v[4:5], off
	s_mov_b32 s16, 0
	s_wait_loadcnt 0x0
	v_and_or_b32 v1, 0x1ff, v9, v8
	v_lshrrev_b32_e32 v3, 8, v9
	v_bfe_u32 v8, v9, 20, 11
	s_delay_alu instid0(VALU_DEP_3) | instskip(NEXT) | instid1(VALU_DEP_2)
	v_cmp_ne_u32_e32 vcc_lo, 0, v1
	v_sub_nc_u32_e32 v10, 0x3f1, v8
	v_add_nc_u32_e32 v8, 0xfffffc10, v8
	v_cndmask_b32_e64 v1, 0, 1, vcc_lo
	s_delay_alu instid0(VALU_DEP_1) | instskip(NEXT) | instid1(VALU_DEP_4)
	v_and_or_b32 v1, 0xffe, v3, v1
	v_med3_i32 v3, v10, 0, 13
	s_delay_alu instid0(VALU_DEP_2) | instskip(NEXT) | instid1(VALU_DEP_1)
	v_or_b32_e32 v10, 0x1000, v1
	v_lshrrev_b32_e32 v11, v3, v10
	s_delay_alu instid0(VALU_DEP_1) | instskip(NEXT) | instid1(VALU_DEP_1)
	v_lshlrev_b32_e32 v3, v3, v11
	v_cmp_ne_u32_e32 vcc_lo, v3, v10
	v_lshl_or_b32 v10, v8, 12, v1
	v_cndmask_b32_e64 v3, 0, 1, vcc_lo
	v_cmp_gt_i32_e32 vcc_lo, 1, v8
	s_delay_alu instid0(VALU_DEP_2) | instskip(NEXT) | instid1(VALU_DEP_1)
	v_or_b32_e32 v3, v11, v3
	v_cndmask_b32_e32 v3, v10, v3, vcc_lo
	s_delay_alu instid0(VALU_DEP_1) | instskip(NEXT) | instid1(VALU_DEP_1)
	v_dual_lshrrev_b32 v3, 2, v3 :: v_dual_bitop2_b32 v10, 7, v3 bitop3:0x40
	v_cmp_lt_i32_e32 vcc_lo, 5, v10
	v_cndmask_b32_e64 v11, 0, 1, vcc_lo
	v_cmp_eq_u32_e32 vcc_lo, 3, v10
	v_cndmask_b32_e64 v10, 0, 1, vcc_lo
	v_cmp_ne_u32_e32 vcc_lo, 0, v1
	s_delay_alu instid0(VALU_DEP_2) | instskip(SKIP_1) | instid1(VALU_DEP_2)
	v_or_b32_e32 v10, v10, v11
	v_mov_b32_e32 v11, 0x7e00
	v_add_nc_u32_e32 v3, v3, v10
	s_delay_alu instid0(VALU_DEP_2) | instskip(SKIP_1) | instid1(VALU_DEP_3)
	v_cndmask_b32_e32 v1, 0x7c00, v11, vcc_lo
	v_cmp_gt_i32_e32 vcc_lo, 31, v8
	v_cndmask_b32_e32 v3, 0x7c00, v3, vcc_lo
	v_cmp_eq_u32_e32 vcc_lo, 0x40f, v8
	s_delay_alu instid0(VALU_DEP_2) | instskip(SKIP_1) | instid1(VALU_DEP_1)
	v_cndmask_b32_e32 v1, v3, v1, vcc_lo
	v_lshrrev_b32_e32 v3, 16, v9
	v_and_or_b32 v8, 0x8000, v3, v1
	s_branch .LBB55_1773
.LBB55_1771:
	s_mov_b32 s16, -1
                                        ; implicit-def: $vgpr8
	s_branch .LBB55_1776
.LBB55_1772:
	s_mov_b32 s16, -1
                                        ; implicit-def: $vgpr8
.LBB55_1773:
	s_delay_alu instid0(SALU_CYCLE_1)
	s_and_not1_b32 vcc_lo, exec_lo, s16
	s_cbranch_vccnz .LBB55_1775
; %bb.1774:
	global_load_b32 v1, v[4:5], off
	s_wait_loadcnt 0x0
	v_cvt_f16_f32_e32 v8, v1
.LBB55_1775:
	s_mov_b32 s16, 0
.LBB55_1776:
	s_delay_alu instid0(SALU_CYCLE_1)
	s_and_not1_b32 vcc_lo, exec_lo, s16
	s_cbranch_vccnz .LBB55_1778
; %bb.1777:
	s_wait_loadcnt 0x0
	global_load_u16 v8, v[4:5], off
.LBB55_1778:
	s_cbranch_execnz .LBB55_1798
.LBB55_1779:
	s_cmp_lt_i32 s13, 2
	s_cbranch_scc1 .LBB55_1783
; %bb.1780:
	s_cmp_lt_i32 s13, 3
	s_cbranch_scc1 .LBB55_1784
; %bb.1781:
	s_cmp_gt_i32 s13, 3
	s_cbranch_scc0 .LBB55_1785
; %bb.1782:
	s_wait_loadcnt 0x0
	global_load_b64 v[8:9], v[4:5], off
	s_mov_b32 s16, 0
	s_wait_loadcnt 0x0
	v_xor_b32_e32 v1, v8, v9
	v_cls_i32_e32 v3, v9
	s_delay_alu instid0(VALU_DEP_2) | instskip(NEXT) | instid1(VALU_DEP_1)
	v_ashrrev_i32_e32 v1, 31, v1
	v_add_nc_u32_e32 v1, 32, v1
	s_delay_alu instid0(VALU_DEP_1) | instskip(NEXT) | instid1(VALU_DEP_1)
	v_add_min_u32_e64 v1, v3, -1, v1
	v_lshlrev_b64_e32 v[8:9], v1, v[8:9]
	v_sub_nc_u32_e32 v1, 32, v1
	s_delay_alu instid0(VALU_DEP_2) | instskip(NEXT) | instid1(VALU_DEP_1)
	v_min_u32_e32 v3, 1, v8
	v_or_b32_e32 v3, v9, v3
	s_delay_alu instid0(VALU_DEP_1) | instskip(NEXT) | instid1(VALU_DEP_1)
	v_cvt_f32_i32_e32 v3, v3
	v_ldexp_f32 v1, v3, v1
	s_delay_alu instid0(VALU_DEP_1)
	v_cvt_f16_f32_e32 v8, v1
	s_branch .LBB55_1786
.LBB55_1783:
	s_mov_b32 s16, -1
                                        ; implicit-def: $vgpr8
	s_branch .LBB55_1792
.LBB55_1784:
	s_mov_b32 s16, -1
                                        ; implicit-def: $vgpr8
	s_branch .LBB55_1789
.LBB55_1785:
	s_mov_b32 s16, -1
                                        ; implicit-def: $vgpr8
.LBB55_1786:
	s_delay_alu instid0(SALU_CYCLE_1)
	s_and_not1_b32 vcc_lo, exec_lo, s16
	s_cbranch_vccnz .LBB55_1788
; %bb.1787:
	global_load_b32 v1, v[4:5], off
	s_wait_loadcnt 0x0
	v_cvt_f32_i32_e32 v1, v1
	s_delay_alu instid0(VALU_DEP_1)
	v_cvt_f16_f32_e32 v8, v1
.LBB55_1788:
	s_mov_b32 s16, 0
.LBB55_1789:
	s_delay_alu instid0(SALU_CYCLE_1)
	s_and_not1_b32 vcc_lo, exec_lo, s16
	s_cbranch_vccnz .LBB55_1791
; %bb.1790:
	global_load_u16 v1, v[4:5], off
	s_wait_loadcnt 0x0
	v_cvt_f16_i16_e32 v8, v1
.LBB55_1791:
	s_mov_b32 s16, 0
.LBB55_1792:
	s_delay_alu instid0(SALU_CYCLE_1)
	s_and_not1_b32 vcc_lo, exec_lo, s16
	s_cbranch_vccnz .LBB55_1798
; %bb.1793:
	s_cmp_gt_i32 s13, 0
	s_mov_b32 s13, 0
	s_cbranch_scc0 .LBB55_1795
; %bb.1794:
	global_load_i8 v1, v[4:5], off
	s_wait_loadcnt 0x0
	v_cvt_f16_i16_e32 v8, v1
	s_branch .LBB55_1796
.LBB55_1795:
	s_mov_b32 s13, -1
                                        ; implicit-def: $vgpr8
.LBB55_1796:
	s_delay_alu instid0(SALU_CYCLE_1)
	s_and_not1_b32 vcc_lo, exec_lo, s13
	s_cbranch_vccnz .LBB55_1798
; %bb.1797:
	global_load_u8 v1, v[4:5], off
	s_wait_loadcnt 0x0
	v_cvt_f16_u16_e32 v8, v1
.LBB55_1798:
.LBB55_1799:
	s_lshl_b32 s9, s9, 7
	s_cmp_lt_i32 s0, 11
	v_add_nc_u32_e32 v0, s9, v0
	s_delay_alu instid0(VALU_DEP_1) | instskip(SKIP_1) | instid1(VALU_DEP_1)
	v_ashrrev_i32_e32 v1, 31, v0
	s_wait_xcnt 0x0
	v_add_nc_u64_e32 v[4:5], s[6:7], v[0:1]
	s_cbranch_scc1 .LBB55_1806
; %bb.1800:
	s_and_b32 s13, 0xffff, s0
	s_mov_b32 s17, 0
	s_cmp_gt_i32 s13, 25
	s_cbranch_scc0 .LBB55_1808
; %bb.1801:
	s_cmp_gt_i32 s13, 28
	s_cbranch_scc0 .LBB55_1809
; %bb.1802:
	;; [unrolled: 3-line block ×4, first 2 shown]
	s_cmp_eq_u32 s13, 46
	s_mov_b32 s19, 0
	s_cbranch_scc0 .LBB55_1813
; %bb.1805:
	global_load_b32 v1, v[4:5], off
	s_mov_b32 s16, 0
	s_mov_b32 s18, -1
	s_wait_loadcnt 0x0
	v_lshlrev_b32_e32 v1, 16, v1
	s_delay_alu instid0(VALU_DEP_1)
	v_cvt_f16_f32_e32 v9, v1
	s_branch .LBB55_1815
.LBB55_1806:
	s_mov_b32 s18, 0
                                        ; implicit-def: $vgpr9
	s_cbranch_execnz .LBB55_1881
.LBB55_1807:
	s_and_not1_b32 vcc_lo, exec_lo, s18
	s_cbranch_vccz .LBB55_1929
	s_branch .LBB55_3016
.LBB55_1808:
	s_mov_b32 s19, -1
	s_mov_b32 s18, 0
	s_mov_b32 s16, 0
                                        ; implicit-def: $vgpr9
	s_branch .LBB55_1844
.LBB55_1809:
	s_mov_b32 s19, -1
	s_mov_b32 s18, 0
	s_mov_b32 s16, 0
                                        ; implicit-def: $vgpr9
	s_branch .LBB55_1825
.LBB55_1810:
	s_mov_b32 s19, -1
	s_mov_b32 s18, 0
	s_mov_b32 s16, 0
                                        ; implicit-def: $vgpr9
	s_branch .LBB55_1820
.LBB55_1811:
	s_or_b32 s12, s12, exec_lo
	s_trap 2
	s_cbranch_execz .LBB55_1750
	s_branch .LBB55_1751
.LBB55_1812:
	s_mov_b32 s19, -1
	s_mov_b32 s18, 0
	s_mov_b32 s16, 0
	s_branch .LBB55_1814
.LBB55_1813:
	s_mov_b32 s16, -1
	s_mov_b32 s18, 0
.LBB55_1814:
                                        ; implicit-def: $vgpr9
.LBB55_1815:
	s_and_b32 vcc_lo, exec_lo, s19
	s_cbranch_vccz .LBB55_1819
; %bb.1816:
	s_cmp_eq_u32 s13, 44
	s_cbranch_scc0 .LBB55_1818
; %bb.1817:
	global_load_u8 v1, v[4:5], off
	s_mov_b32 s16, 0
	s_mov_b32 s18, -1
	s_wait_loadcnt 0x0
	v_lshlrev_b32_e32 v3, 23, v1
	v_cmp_ne_u32_e32 vcc_lo, 0xff, v1
	s_delay_alu instid0(VALU_DEP_2) | instskip(NEXT) | instid1(VALU_DEP_1)
	v_cvt_f16_f32_e32 v3, v3
	v_cndmask_b32_e32 v3, 0x7e00, v3, vcc_lo
	v_cmp_ne_u32_e32 vcc_lo, 0, v1
	s_delay_alu instid0(VALU_DEP_2)
	v_cndmask_b32_e32 v9, 0, v3, vcc_lo
	s_branch .LBB55_1819
.LBB55_1818:
	s_mov_b32 s16, -1
                                        ; implicit-def: $vgpr9
.LBB55_1819:
	s_mov_b32 s19, 0
.LBB55_1820:
	s_delay_alu instid0(SALU_CYCLE_1)
	s_and_b32 vcc_lo, exec_lo, s19
	s_cbranch_vccz .LBB55_1824
; %bb.1821:
	s_cmp_eq_u32 s13, 29
	s_cbranch_scc0 .LBB55_1823
; %bb.1822:
	global_load_b64 v[10:11], v[4:5], off
	s_mov_b32 s16, 0
	s_mov_b32 s18, -1
	s_mov_b32 s19, 0
	s_wait_loadcnt 0x0
	v_clz_i32_u32_e32 v1, v11
	s_delay_alu instid0(VALU_DEP_1) | instskip(NEXT) | instid1(VALU_DEP_1)
	v_min_u32_e32 v1, 32, v1
	v_lshlrev_b64_e32 v[10:11], v1, v[10:11]
	v_sub_nc_u32_e32 v1, 32, v1
	s_delay_alu instid0(VALU_DEP_2) | instskip(NEXT) | instid1(VALU_DEP_1)
	v_min_u32_e32 v3, 1, v10
	v_or_b32_e32 v3, v11, v3
	s_delay_alu instid0(VALU_DEP_1) | instskip(NEXT) | instid1(VALU_DEP_1)
	v_cvt_f32_u32_e32 v3, v3
	v_ldexp_f32 v1, v3, v1
	s_delay_alu instid0(VALU_DEP_1)
	v_cvt_f16_f32_e32 v9, v1
	s_branch .LBB55_1825
.LBB55_1823:
	s_mov_b32 s16, -1
                                        ; implicit-def: $vgpr9
.LBB55_1824:
	s_mov_b32 s19, 0
.LBB55_1825:
	s_delay_alu instid0(SALU_CYCLE_1)
	s_and_b32 vcc_lo, exec_lo, s19
	s_cbranch_vccz .LBB55_1843
; %bb.1826:
	s_cmp_lt_i32 s13, 27
	s_cbranch_scc1 .LBB55_1829
; %bb.1827:
	s_cmp_gt_i32 s13, 27
	s_cbranch_scc0 .LBB55_1830
; %bb.1828:
	global_load_b32 v1, v[4:5], off
	s_mov_b32 s18, 0
	s_wait_loadcnt 0x0
	v_cvt_f32_u32_e32 v1, v1
	s_delay_alu instid0(VALU_DEP_1)
	v_cvt_f16_f32_e32 v9, v1
	s_branch .LBB55_1831
.LBB55_1829:
	s_mov_b32 s18, -1
                                        ; implicit-def: $vgpr9
	s_branch .LBB55_1834
.LBB55_1830:
	s_mov_b32 s18, -1
                                        ; implicit-def: $vgpr9
.LBB55_1831:
	s_delay_alu instid0(SALU_CYCLE_1)
	s_and_not1_b32 vcc_lo, exec_lo, s18
	s_cbranch_vccnz .LBB55_1833
; %bb.1832:
	global_load_u16 v1, v[4:5], off
	s_wait_loadcnt 0x0
	v_cvt_f16_u16_e32 v9, v1
.LBB55_1833:
	s_mov_b32 s18, 0
.LBB55_1834:
	s_delay_alu instid0(SALU_CYCLE_1)
	s_and_not1_b32 vcc_lo, exec_lo, s18
	s_cbranch_vccnz .LBB55_1842
; %bb.1835:
	global_load_u8 v1, v[4:5], off
	s_mov_b32 s18, 0
	s_mov_b32 s19, exec_lo
	s_wait_loadcnt 0x0
	v_cmpx_lt_i16_e32 0x7f, v1
	s_xor_b32 s19, exec_lo, s19
	s_cbranch_execz .LBB55_1856
; %bb.1836:
	s_mov_b32 s18, -1
	s_mov_b32 s20, exec_lo
	v_cmpx_eq_u16_e32 0x80, v1
; %bb.1837:
	s_xor_b32 s18, exec_lo, -1
; %bb.1838:
	s_or_b32 exec_lo, exec_lo, s20
	s_delay_alu instid0(SALU_CYCLE_1)
	s_and_b32 s18, s18, exec_lo
	s_or_saveexec_b32 s19, s19
	v_mov_b32_e32 v9, 0x7e00
	s_xor_b32 exec_lo, exec_lo, s19
	s_cbranch_execnz .LBB55_1857
.LBB55_1839:
	s_or_b32 exec_lo, exec_lo, s19
	s_and_saveexec_b32 s19, s18
	s_cbranch_execz .LBB55_1841
.LBB55_1840:
	v_and_b32_e32 v3, 0xffff, v1
	s_delay_alu instid0(VALU_DEP_1) | instskip(SKIP_1) | instid1(VALU_DEP_2)
	v_and_b32_e32 v9, 7, v3
	v_bfe_u32 v12, v3, 3, 4
	v_clz_i32_u32_e32 v10, v9
	s_delay_alu instid0(VALU_DEP_2) | instskip(NEXT) | instid1(VALU_DEP_2)
	v_cmp_eq_u32_e32 vcc_lo, 0, v12
	v_min_u32_e32 v10, 32, v10
	s_delay_alu instid0(VALU_DEP_1) | instskip(NEXT) | instid1(VALU_DEP_1)
	v_subrev_nc_u32_e32 v11, 28, v10
	v_dual_lshlrev_b32 v3, v11, v3 :: v_dual_sub_nc_u32 v10, 29, v10
	s_delay_alu instid0(VALU_DEP_1) | instskip(NEXT) | instid1(VALU_DEP_1)
	v_dual_lshlrev_b32 v1, 24, v1 :: v_dual_bitop2_b32 v3, 7, v3 bitop3:0x40
	v_dual_cndmask_b32 v10, v12, v10 :: v_dual_cndmask_b32 v3, v9, v3
	s_delay_alu instid0(VALU_DEP_2) | instskip(NEXT) | instid1(VALU_DEP_2)
	v_and_b32_e32 v1, 0x80000000, v1
	v_lshl_add_u32 v9, v10, 23, 0x3b800000
	s_delay_alu instid0(VALU_DEP_3) | instskip(NEXT) | instid1(VALU_DEP_1)
	v_lshlrev_b32_e32 v3, 20, v3
	v_or3_b32 v1, v1, v9, v3
	s_delay_alu instid0(VALU_DEP_1)
	v_cvt_f16_f32_e32 v9, v1
.LBB55_1841:
	s_or_b32 exec_lo, exec_lo, s19
.LBB55_1842:
	s_mov_b32 s18, -1
.LBB55_1843:
	s_mov_b32 s19, 0
.LBB55_1844:
	s_delay_alu instid0(SALU_CYCLE_1)
	s_and_b32 vcc_lo, exec_lo, s19
	s_cbranch_vccz .LBB55_1877
; %bb.1845:
	s_cmp_gt_i32 s13, 22
	s_cbranch_scc0 .LBB55_1855
; %bb.1846:
	s_cmp_lt_i32 s13, 24
	s_cbranch_scc1 .LBB55_1858
; %bb.1847:
	s_cmp_gt_i32 s13, 24
	s_cbranch_scc0 .LBB55_1859
; %bb.1848:
	global_load_u8 v1, v[4:5], off
	s_mov_b32 s18, exec_lo
	s_wait_loadcnt 0x0
	v_cmpx_lt_i16_e32 0x7f, v1
	s_xor_b32 s18, exec_lo, s18
	s_cbranch_execz .LBB55_1871
; %bb.1849:
	s_mov_b32 s17, -1
	s_mov_b32 s19, exec_lo
	v_cmpx_eq_u16_e32 0x80, v1
; %bb.1850:
	s_xor_b32 s17, exec_lo, -1
; %bb.1851:
	s_or_b32 exec_lo, exec_lo, s19
	s_delay_alu instid0(SALU_CYCLE_1)
	s_and_b32 s17, s17, exec_lo
	s_or_saveexec_b32 s18, s18
	v_mov_b32_e32 v9, 0x7e00
	s_xor_b32 exec_lo, exec_lo, s18
	s_cbranch_execnz .LBB55_1872
.LBB55_1852:
	s_or_b32 exec_lo, exec_lo, s18
	s_and_saveexec_b32 s18, s17
	s_cbranch_execz .LBB55_1854
.LBB55_1853:
	v_and_b32_e32 v3, 0xffff, v1
	s_delay_alu instid0(VALU_DEP_1) | instskip(SKIP_1) | instid1(VALU_DEP_2)
	v_and_b32_e32 v9, 3, v3
	v_bfe_u32 v12, v3, 2, 5
	v_clz_i32_u32_e32 v10, v9
	s_delay_alu instid0(VALU_DEP_2) | instskip(NEXT) | instid1(VALU_DEP_2)
	v_cmp_eq_u32_e32 vcc_lo, 0, v12
	v_min_u32_e32 v10, 32, v10
	s_delay_alu instid0(VALU_DEP_1) | instskip(NEXT) | instid1(VALU_DEP_1)
	v_subrev_nc_u32_e32 v11, 29, v10
	v_dual_lshlrev_b32 v3, v11, v3 :: v_dual_sub_nc_u32 v10, 30, v10
	s_delay_alu instid0(VALU_DEP_1) | instskip(NEXT) | instid1(VALU_DEP_1)
	v_dual_lshlrev_b32 v1, 24, v1 :: v_dual_bitop2_b32 v3, 3, v3 bitop3:0x40
	v_dual_cndmask_b32 v10, v12, v10 :: v_dual_cndmask_b32 v3, v9, v3
	s_delay_alu instid0(VALU_DEP_2) | instskip(NEXT) | instid1(VALU_DEP_2)
	v_and_b32_e32 v1, 0x80000000, v1
	v_lshl_add_u32 v9, v10, 23, 0x37800000
	s_delay_alu instid0(VALU_DEP_3) | instskip(NEXT) | instid1(VALU_DEP_1)
	v_lshlrev_b32_e32 v3, 21, v3
	v_or3_b32 v1, v1, v9, v3
	s_delay_alu instid0(VALU_DEP_1)
	v_cvt_f16_f32_e32 v9, v1
.LBB55_1854:
	s_or_b32 exec_lo, exec_lo, s18
	s_mov_b32 s17, 0
	s_branch .LBB55_1860
.LBB55_1855:
	s_mov_b32 s17, -1
                                        ; implicit-def: $vgpr9
	s_branch .LBB55_1866
.LBB55_1856:
	s_or_saveexec_b32 s19, s19
	v_mov_b32_e32 v9, 0x7e00
	s_xor_b32 exec_lo, exec_lo, s19
	s_cbranch_execz .LBB55_1839
.LBB55_1857:
	v_cmp_ne_u16_e32 vcc_lo, 0, v1
	v_mov_b32_e32 v9, v1
	s_and_not1_b32 s18, s18, exec_lo
	s_and_b32 s20, vcc_lo, exec_lo
	s_delay_alu instid0(SALU_CYCLE_1)
	s_or_b32 s18, s18, s20
	s_or_b32 exec_lo, exec_lo, s19
	s_and_saveexec_b32 s19, s18
	s_cbranch_execnz .LBB55_1840
	s_branch .LBB55_1841
.LBB55_1858:
	s_mov_b32 s17, -1
                                        ; implicit-def: $vgpr9
	s_branch .LBB55_1863
.LBB55_1859:
	s_mov_b32 s17, -1
                                        ; implicit-def: $vgpr9
.LBB55_1860:
	s_delay_alu instid0(SALU_CYCLE_1)
	s_and_b32 vcc_lo, exec_lo, s17
	s_cbranch_vccz .LBB55_1862
; %bb.1861:
	global_load_u8 v1, v[4:5], off
	s_wait_loadcnt 0x0
	v_lshlrev_b32_e32 v1, 24, v1
	s_delay_alu instid0(VALU_DEP_1) | instskip(NEXT) | instid1(VALU_DEP_1)
	v_and_b32_e32 v3, 0x7f000000, v1
	v_clz_i32_u32_e32 v9, v3
	v_add_nc_u32_e32 v11, 0x1000000, v3
	v_cmp_ne_u32_e32 vcc_lo, 0, v3
	s_delay_alu instid0(VALU_DEP_3) | instskip(NEXT) | instid1(VALU_DEP_1)
	v_min_u32_e32 v9, 32, v9
	v_sub_nc_u32_e64 v9, v9, 4 clamp
	s_delay_alu instid0(VALU_DEP_1) | instskip(NEXT) | instid1(VALU_DEP_1)
	v_dual_lshlrev_b32 v10, v9, v3 :: v_dual_lshlrev_b32 v9, 23, v9
	v_lshrrev_b32_e32 v10, 4, v10
	s_delay_alu instid0(VALU_DEP_1) | instskip(NEXT) | instid1(VALU_DEP_1)
	v_dual_sub_nc_u32 v9, v10, v9 :: v_dual_ashrrev_i32 v10, 8, v11
	v_add_nc_u32_e32 v9, 0x3c000000, v9
	s_delay_alu instid0(VALU_DEP_1) | instskip(NEXT) | instid1(VALU_DEP_1)
	v_and_or_b32 v9, 0x7f800000, v10, v9
	v_cndmask_b32_e32 v3, 0, v9, vcc_lo
	s_delay_alu instid0(VALU_DEP_1) | instskip(NEXT) | instid1(VALU_DEP_1)
	v_and_or_b32 v1, 0x80000000, v1, v3
	v_cvt_f16_f32_e32 v9, v1
.LBB55_1862:
	s_mov_b32 s17, 0
.LBB55_1863:
	s_delay_alu instid0(SALU_CYCLE_1)
	s_and_not1_b32 vcc_lo, exec_lo, s17
	s_cbranch_vccnz .LBB55_1865
; %bb.1864:
	global_load_u8 v1, v[4:5], off
	s_wait_loadcnt 0x0
	v_lshlrev_b32_e32 v3, 25, v1
	v_lshlrev_b16 v1, 8, v1
	s_delay_alu instid0(VALU_DEP_1) | instskip(SKIP_1) | instid1(VALU_DEP_2)
	v_and_or_b32 v10, 0x7f00, v1, 0.5
	v_bfe_i32 v1, v1, 0, 16
	v_dual_add_f32 v10, -0.5, v10 :: v_dual_lshrrev_b32 v9, 4, v3
	v_cmp_gt_u32_e32 vcc_lo, 0x8000000, v3
	s_delay_alu instid0(VALU_DEP_2) | instskip(NEXT) | instid1(VALU_DEP_1)
	v_or_b32_e32 v9, 0x70000000, v9
	v_mul_f32_e32 v9, 0x7800000, v9
	s_delay_alu instid0(VALU_DEP_1) | instskip(NEXT) | instid1(VALU_DEP_1)
	v_cndmask_b32_e32 v3, v9, v10, vcc_lo
	v_and_or_b32 v1, 0x80000000, v1, v3
	s_delay_alu instid0(VALU_DEP_1)
	v_cvt_f16_f32_e32 v9, v1
.LBB55_1865:
	s_mov_b32 s17, 0
	s_mov_b32 s18, -1
.LBB55_1866:
	s_and_not1_b32 vcc_lo, exec_lo, s17
	s_mov_b32 s17, 0
	s_cbranch_vccnz .LBB55_1877
; %bb.1867:
	s_cmp_gt_i32 s13, 14
	s_cbranch_scc0 .LBB55_1870
; %bb.1868:
	s_cmp_eq_u32 s13, 15
	s_cbranch_scc0 .LBB55_1873
; %bb.1869:
	global_load_u16 v1, v[4:5], off
	s_mov_b32 s16, 0
	s_mov_b32 s18, -1
	s_wait_loadcnt 0x0
	v_lshlrev_b32_e32 v1, 16, v1
	s_delay_alu instid0(VALU_DEP_1)
	v_cvt_f16_f32_e32 v9, v1
	s_branch .LBB55_1875
.LBB55_1870:
	s_mov_b32 s17, -1
	s_branch .LBB55_1874
.LBB55_1871:
	s_or_saveexec_b32 s18, s18
	v_mov_b32_e32 v9, 0x7e00
	s_xor_b32 exec_lo, exec_lo, s18
	s_cbranch_execz .LBB55_1852
.LBB55_1872:
	v_cmp_ne_u16_e32 vcc_lo, 0, v1
	v_mov_b32_e32 v9, v1
	s_and_not1_b32 s17, s17, exec_lo
	s_and_b32 s19, vcc_lo, exec_lo
	s_delay_alu instid0(SALU_CYCLE_1)
	s_or_b32 s17, s17, s19
	s_or_b32 exec_lo, exec_lo, s18
	s_and_saveexec_b32 s18, s17
	s_cbranch_execnz .LBB55_1853
	s_branch .LBB55_1854
.LBB55_1873:
	s_mov_b32 s16, -1
.LBB55_1874:
                                        ; implicit-def: $vgpr9
.LBB55_1875:
	s_and_b32 vcc_lo, exec_lo, s17
	s_mov_b32 s17, 0
	s_cbranch_vccz .LBB55_1877
; %bb.1876:
	s_cmp_lg_u32 s13, 11
	s_mov_b32 s17, -1
	s_cselect_b32 s16, -1, 0
.LBB55_1877:
	s_delay_alu instid0(SALU_CYCLE_1)
	s_and_b32 vcc_lo, exec_lo, s16
	s_cbranch_vccnz .LBB55_1940
; %bb.1878:
	s_and_not1_b32 vcc_lo, exec_lo, s17
	s_cbranch_vccnz .LBB55_1880
.LBB55_1879:
	global_load_u8 v1, v[4:5], off
	s_mov_b32 s18, -1
	s_wait_loadcnt 0x0
	v_cmp_ne_u16_e32 vcc_lo, 0, v1
	v_cndmask_b32_e64 v9, 0, 0x3c00, vcc_lo
.LBB55_1880:
	s_branch .LBB55_1807
.LBB55_1881:
	s_and_b32 s13, 0xffff, s0
	s_delay_alu instid0(SALU_CYCLE_1)
	s_cmp_lt_i32 s13, 5
	s_cbranch_scc1 .LBB55_1886
; %bb.1882:
	s_cmp_lt_i32 s13, 8
	s_cbranch_scc1 .LBB55_1887
; %bb.1883:
	;; [unrolled: 3-line block ×3, first 2 shown]
	s_cmp_gt_i32 s13, 9
	s_cbranch_scc0 .LBB55_1889
; %bb.1885:
	global_load_b64 v[10:11], v[4:5], off
	s_mov_b32 s16, 0
	s_wait_loadcnt 0x0
	v_and_or_b32 v1, 0x1ff, v11, v10
	v_lshrrev_b32_e32 v3, 8, v11
	v_bfe_u32 v9, v11, 20, 11
	s_delay_alu instid0(VALU_DEP_3) | instskip(NEXT) | instid1(VALU_DEP_2)
	v_cmp_ne_u32_e32 vcc_lo, 0, v1
	v_sub_nc_u32_e32 v10, 0x3f1, v9
	v_add_nc_u32_e32 v9, 0xfffffc10, v9
	v_cndmask_b32_e64 v1, 0, 1, vcc_lo
	s_delay_alu instid0(VALU_DEP_1) | instskip(NEXT) | instid1(VALU_DEP_4)
	v_and_or_b32 v1, 0xffe, v3, v1
	v_med3_i32 v3, v10, 0, 13
	s_delay_alu instid0(VALU_DEP_2) | instskip(NEXT) | instid1(VALU_DEP_1)
	v_or_b32_e32 v10, 0x1000, v1
	v_lshrrev_b32_e32 v12, v3, v10
	s_delay_alu instid0(VALU_DEP_1) | instskip(NEXT) | instid1(VALU_DEP_1)
	v_lshlrev_b32_e32 v3, v3, v12
	v_cmp_ne_u32_e32 vcc_lo, v3, v10
	v_lshl_or_b32 v10, v9, 12, v1
	v_cndmask_b32_e64 v3, 0, 1, vcc_lo
	v_cmp_gt_i32_e32 vcc_lo, 1, v9
	s_delay_alu instid0(VALU_DEP_2) | instskip(NEXT) | instid1(VALU_DEP_1)
	v_or_b32_e32 v3, v12, v3
	v_cndmask_b32_e32 v3, v10, v3, vcc_lo
	s_delay_alu instid0(VALU_DEP_1) | instskip(NEXT) | instid1(VALU_DEP_1)
	v_dual_lshrrev_b32 v3, 2, v3 :: v_dual_bitop2_b32 v10, 7, v3 bitop3:0x40
	v_cmp_lt_i32_e32 vcc_lo, 5, v10
	v_cndmask_b32_e64 v12, 0, 1, vcc_lo
	v_cmp_eq_u32_e32 vcc_lo, 3, v10
	v_cndmask_b32_e64 v10, 0, 1, vcc_lo
	v_cmp_ne_u32_e32 vcc_lo, 0, v1
	s_delay_alu instid0(VALU_DEP_2) | instskip(NEXT) | instid1(VALU_DEP_1)
	v_or_b32_e32 v10, v10, v12
	v_dual_mov_b32 v12, 0x7e00 :: v_dual_add_nc_u32 v3, v3, v10
	s_delay_alu instid0(VALU_DEP_1) | instskip(SKIP_1) | instid1(VALU_DEP_3)
	v_cndmask_b32_e32 v1, 0x7c00, v12, vcc_lo
	v_cmp_gt_i32_e32 vcc_lo, 31, v9
	v_cndmask_b32_e32 v3, 0x7c00, v3, vcc_lo
	v_cmp_eq_u32_e32 vcc_lo, 0x40f, v9
	s_delay_alu instid0(VALU_DEP_2) | instskip(NEXT) | instid1(VALU_DEP_1)
	v_dual_cndmask_b32 v1, v3, v1, vcc_lo :: v_dual_lshrrev_b32 v3, 16, v11
	v_and_or_b32 v9, 0x8000, v3, v1
	s_branch .LBB55_1890
.LBB55_1886:
	s_mov_b32 s16, -1
                                        ; implicit-def: $vgpr9
	s_branch .LBB55_1908
.LBB55_1887:
	s_mov_b32 s16, -1
                                        ; implicit-def: $vgpr9
	s_branch .LBB55_1896
.LBB55_1888:
	s_mov_b32 s16, -1
                                        ; implicit-def: $vgpr9
	s_branch .LBB55_1893
.LBB55_1889:
	s_mov_b32 s16, -1
                                        ; implicit-def: $vgpr9
.LBB55_1890:
	s_delay_alu instid0(SALU_CYCLE_1)
	s_and_not1_b32 vcc_lo, exec_lo, s16
	s_cbranch_vccnz .LBB55_1892
; %bb.1891:
	global_load_b32 v1, v[4:5], off
	s_wait_loadcnt 0x0
	v_cvt_f16_f32_e32 v9, v1
.LBB55_1892:
	s_mov_b32 s16, 0
.LBB55_1893:
	s_delay_alu instid0(SALU_CYCLE_1)
	s_and_not1_b32 vcc_lo, exec_lo, s16
	s_cbranch_vccnz .LBB55_1895
; %bb.1894:
	global_load_b32 v9, v[4:5], off
.LBB55_1895:
	s_mov_b32 s16, 0
.LBB55_1896:
	s_delay_alu instid0(SALU_CYCLE_1)
	s_and_not1_b32 vcc_lo, exec_lo, s16
	s_cbranch_vccnz .LBB55_1907
; %bb.1897:
	s_cmp_lt_i32 s13, 6
	s_cbranch_scc1 .LBB55_1900
; %bb.1898:
	s_cmp_gt_i32 s13, 6
	s_cbranch_scc0 .LBB55_1901
; %bb.1899:
	global_load_b64 v[10:11], v[4:5], off
	s_mov_b32 s16, 0
	s_wait_loadcnt 0x0
	v_and_or_b32 v1, 0x1ff, v11, v10
	v_lshrrev_b32_e32 v3, 8, v11
	v_bfe_u32 v9, v11, 20, 11
	s_delay_alu instid0(VALU_DEP_3) | instskip(NEXT) | instid1(VALU_DEP_2)
	v_cmp_ne_u32_e32 vcc_lo, 0, v1
	v_sub_nc_u32_e32 v10, 0x3f1, v9
	v_add_nc_u32_e32 v9, 0xfffffc10, v9
	v_cndmask_b32_e64 v1, 0, 1, vcc_lo
	s_delay_alu instid0(VALU_DEP_1) | instskip(NEXT) | instid1(VALU_DEP_4)
	v_and_or_b32 v1, 0xffe, v3, v1
	v_med3_i32 v3, v10, 0, 13
	s_delay_alu instid0(VALU_DEP_2) | instskip(NEXT) | instid1(VALU_DEP_1)
	v_or_b32_e32 v10, 0x1000, v1
	v_lshrrev_b32_e32 v12, v3, v10
	s_delay_alu instid0(VALU_DEP_1) | instskip(NEXT) | instid1(VALU_DEP_1)
	v_lshlrev_b32_e32 v3, v3, v12
	v_cmp_ne_u32_e32 vcc_lo, v3, v10
	v_lshl_or_b32 v10, v9, 12, v1
	v_cndmask_b32_e64 v3, 0, 1, vcc_lo
	v_cmp_gt_i32_e32 vcc_lo, 1, v9
	s_delay_alu instid0(VALU_DEP_2) | instskip(NEXT) | instid1(VALU_DEP_1)
	v_or_b32_e32 v3, v12, v3
	v_cndmask_b32_e32 v3, v10, v3, vcc_lo
	s_delay_alu instid0(VALU_DEP_1) | instskip(NEXT) | instid1(VALU_DEP_1)
	v_dual_lshrrev_b32 v3, 2, v3 :: v_dual_bitop2_b32 v10, 7, v3 bitop3:0x40
	v_cmp_lt_i32_e32 vcc_lo, 5, v10
	v_cndmask_b32_e64 v12, 0, 1, vcc_lo
	v_cmp_eq_u32_e32 vcc_lo, 3, v10
	v_cndmask_b32_e64 v10, 0, 1, vcc_lo
	v_cmp_ne_u32_e32 vcc_lo, 0, v1
	s_delay_alu instid0(VALU_DEP_2) | instskip(NEXT) | instid1(VALU_DEP_1)
	v_or_b32_e32 v10, v10, v12
	v_dual_mov_b32 v12, 0x7e00 :: v_dual_add_nc_u32 v3, v3, v10
	s_delay_alu instid0(VALU_DEP_1) | instskip(SKIP_1) | instid1(VALU_DEP_3)
	v_cndmask_b32_e32 v1, 0x7c00, v12, vcc_lo
	v_cmp_gt_i32_e32 vcc_lo, 31, v9
	v_cndmask_b32_e32 v3, 0x7c00, v3, vcc_lo
	v_cmp_eq_u32_e32 vcc_lo, 0x40f, v9
	s_delay_alu instid0(VALU_DEP_2) | instskip(NEXT) | instid1(VALU_DEP_1)
	v_dual_cndmask_b32 v1, v3, v1, vcc_lo :: v_dual_lshrrev_b32 v3, 16, v11
	v_and_or_b32 v9, 0x8000, v3, v1
	s_branch .LBB55_1902
.LBB55_1900:
	s_mov_b32 s16, -1
                                        ; implicit-def: $vgpr9
	s_branch .LBB55_1905
.LBB55_1901:
	s_mov_b32 s16, -1
                                        ; implicit-def: $vgpr9
.LBB55_1902:
	s_delay_alu instid0(SALU_CYCLE_1)
	s_and_not1_b32 vcc_lo, exec_lo, s16
	s_cbranch_vccnz .LBB55_1904
; %bb.1903:
	global_load_b32 v1, v[4:5], off
	s_wait_loadcnt 0x0
	v_cvt_f16_f32_e32 v9, v1
.LBB55_1904:
	s_mov_b32 s16, 0
.LBB55_1905:
	s_delay_alu instid0(SALU_CYCLE_1)
	s_and_not1_b32 vcc_lo, exec_lo, s16
	s_cbranch_vccnz .LBB55_1907
; %bb.1906:
	s_wait_loadcnt 0x0
	global_load_u16 v9, v[4:5], off
.LBB55_1907:
	s_mov_b32 s16, 0
.LBB55_1908:
	s_delay_alu instid0(SALU_CYCLE_1)
	s_and_not1_b32 vcc_lo, exec_lo, s16
	s_cbranch_vccnz .LBB55_1928
; %bb.1909:
	s_cmp_lt_i32 s13, 2
	s_cbranch_scc1 .LBB55_1913
; %bb.1910:
	s_cmp_lt_i32 s13, 3
	s_cbranch_scc1 .LBB55_1914
; %bb.1911:
	s_cmp_gt_i32 s13, 3
	s_cbranch_scc0 .LBB55_1915
; %bb.1912:
	global_load_b64 v[10:11], v[4:5], off
	s_mov_b32 s16, 0
	s_wait_loadcnt 0x0
	v_xor_b32_e32 v1, v10, v11
	v_cls_i32_e32 v3, v11
	s_delay_alu instid0(VALU_DEP_2) | instskip(NEXT) | instid1(VALU_DEP_1)
	v_ashrrev_i32_e32 v1, 31, v1
	v_add_nc_u32_e32 v1, 32, v1
	s_delay_alu instid0(VALU_DEP_1) | instskip(NEXT) | instid1(VALU_DEP_1)
	v_add_min_u32_e64 v1, v3, -1, v1
	v_lshlrev_b64_e32 v[10:11], v1, v[10:11]
	v_sub_nc_u32_e32 v1, 32, v1
	s_delay_alu instid0(VALU_DEP_2) | instskip(NEXT) | instid1(VALU_DEP_1)
	v_min_u32_e32 v3, 1, v10
	v_or_b32_e32 v3, v11, v3
	s_delay_alu instid0(VALU_DEP_1) | instskip(NEXT) | instid1(VALU_DEP_1)
	v_cvt_f32_i32_e32 v3, v3
	v_ldexp_f32 v1, v3, v1
	s_delay_alu instid0(VALU_DEP_1)
	v_cvt_f16_f32_e32 v9, v1
	s_branch .LBB55_1916
.LBB55_1913:
	s_mov_b32 s16, -1
                                        ; implicit-def: $vgpr9
	s_branch .LBB55_1922
.LBB55_1914:
	s_mov_b32 s16, -1
                                        ; implicit-def: $vgpr9
	s_branch .LBB55_1919
.LBB55_1915:
	s_mov_b32 s16, -1
                                        ; implicit-def: $vgpr9
.LBB55_1916:
	s_delay_alu instid0(SALU_CYCLE_1)
	s_and_not1_b32 vcc_lo, exec_lo, s16
	s_cbranch_vccnz .LBB55_1918
; %bb.1917:
	global_load_b32 v1, v[4:5], off
	s_wait_loadcnt 0x0
	v_cvt_f32_i32_e32 v1, v1
	s_delay_alu instid0(VALU_DEP_1)
	v_cvt_f16_f32_e32 v9, v1
.LBB55_1918:
	s_mov_b32 s16, 0
.LBB55_1919:
	s_delay_alu instid0(SALU_CYCLE_1)
	s_and_not1_b32 vcc_lo, exec_lo, s16
	s_cbranch_vccnz .LBB55_1921
; %bb.1920:
	global_load_u16 v1, v[4:5], off
	s_wait_loadcnt 0x0
	v_cvt_f16_i16_e32 v9, v1
.LBB55_1921:
	s_mov_b32 s16, 0
.LBB55_1922:
	s_delay_alu instid0(SALU_CYCLE_1)
	s_and_not1_b32 vcc_lo, exec_lo, s16
	s_cbranch_vccnz .LBB55_1928
; %bb.1923:
	s_cmp_gt_i32 s13, 0
	s_mov_b32 s13, 0
	s_cbranch_scc0 .LBB55_1925
; %bb.1924:
	global_load_i8 v1, v[4:5], off
	s_wait_loadcnt 0x0
	v_cvt_f16_i16_e32 v9, v1
	s_branch .LBB55_1926
.LBB55_1925:
	s_mov_b32 s13, -1
                                        ; implicit-def: $vgpr9
.LBB55_1926:
	s_delay_alu instid0(SALU_CYCLE_1)
	s_and_not1_b32 vcc_lo, exec_lo, s13
	s_cbranch_vccnz .LBB55_1928
; %bb.1927:
	global_load_u8 v1, v[4:5], off
	s_wait_loadcnt 0x0
	v_cvt_f16_u16_e32 v9, v1
.LBB55_1928:
.LBB55_1929:
	s_lshl_b32 s10, s10, 7
	s_cmp_lt_i32 s1, 11
	v_add_nc_u32_e32 v2, s10, v2
	s_delay_alu instid0(VALU_DEP_1) | instskip(SKIP_1) | instid1(VALU_DEP_1)
	v_ashrrev_i32_e32 v3, 31, v2
	s_wait_xcnt 0x0
	v_add_nc_u64_e32 v[4:5], s[2:3], v[2:3]
	s_cbranch_scc1 .LBB55_1936
; %bb.1930:
	s_and_b32 s13, 0xffff, s1
	s_mov_b32 s17, 0
	s_cmp_gt_i32 s13, 25
	s_cbranch_scc0 .LBB55_1937
; %bb.1931:
	s_cmp_gt_i32 s13, 28
	s_cbranch_scc0 .LBB55_1938
; %bb.1932:
	;; [unrolled: 3-line block ×4, first 2 shown]
	s_cmp_eq_u32 s13, 46
	s_mov_b32 s19, 0
	s_cbranch_scc0 .LBB55_1942
; %bb.1935:
	global_load_b32 v1, v[4:5], off
	s_mov_b32 s16, 0
	s_mov_b32 s18, -1
	s_wait_loadcnt 0x0
	v_lshlrev_b32_e32 v1, 16, v1
	s_delay_alu instid0(VALU_DEP_1)
	v_cvt_f16_f32_e32 v10, v1
	s_branch .LBB55_1944
.LBB55_1936:
	s_mov_b32 s13, -1
	s_mov_b32 s18, 0
                                        ; implicit-def: $vgpr10
	s_branch .LBB55_2010
.LBB55_1937:
	s_mov_b32 s19, -1
	s_mov_b32 s18, 0
	s_mov_b32 s16, 0
                                        ; implicit-def: $vgpr10
	s_branch .LBB55_1973
.LBB55_1938:
	s_mov_b32 s19, -1
	s_mov_b32 s18, 0
	s_mov_b32 s16, 0
                                        ; implicit-def: $vgpr10
	s_branch .LBB55_1954
.LBB55_1939:
	s_mov_b32 s19, -1
	s_mov_b32 s18, 0
	s_mov_b32 s16, 0
                                        ; implicit-def: $vgpr10
	s_branch .LBB55_1949
.LBB55_1940:
	s_or_b32 s12, s12, exec_lo
	s_trap 2
	s_cbranch_execz .LBB55_1879
	s_branch .LBB55_1880
.LBB55_1941:
	s_mov_b32 s19, -1
	s_mov_b32 s18, 0
	s_mov_b32 s16, 0
	s_branch .LBB55_1943
.LBB55_1942:
	s_mov_b32 s16, -1
	s_mov_b32 s18, 0
.LBB55_1943:
                                        ; implicit-def: $vgpr10
.LBB55_1944:
	s_and_b32 vcc_lo, exec_lo, s19
	s_cbranch_vccz .LBB55_1948
; %bb.1945:
	s_cmp_eq_u32 s13, 44
	s_cbranch_scc0 .LBB55_1947
; %bb.1946:
	global_load_u8 v1, v[4:5], off
	s_mov_b32 s16, 0
	s_mov_b32 s18, -1
	s_wait_loadcnt 0x0
	v_lshlrev_b32_e32 v3, 23, v1
	v_cmp_ne_u32_e32 vcc_lo, 0xff, v1
	s_delay_alu instid0(VALU_DEP_2) | instskip(NEXT) | instid1(VALU_DEP_1)
	v_cvt_f16_f32_e32 v3, v3
	v_cndmask_b32_e32 v3, 0x7e00, v3, vcc_lo
	v_cmp_ne_u32_e32 vcc_lo, 0, v1
	s_delay_alu instid0(VALU_DEP_2)
	v_cndmask_b32_e32 v10, 0, v3, vcc_lo
	s_branch .LBB55_1948
.LBB55_1947:
	s_mov_b32 s16, -1
                                        ; implicit-def: $vgpr10
.LBB55_1948:
	s_mov_b32 s19, 0
.LBB55_1949:
	s_delay_alu instid0(SALU_CYCLE_1)
	s_and_b32 vcc_lo, exec_lo, s19
	s_cbranch_vccz .LBB55_1953
; %bb.1950:
	s_cmp_eq_u32 s13, 29
	s_cbranch_scc0 .LBB55_1952
; %bb.1951:
	global_load_b64 v[10:11], v[4:5], off
	s_mov_b32 s16, 0
	s_mov_b32 s18, -1
	s_mov_b32 s19, 0
	s_wait_loadcnt 0x0
	v_clz_i32_u32_e32 v1, v11
	s_delay_alu instid0(VALU_DEP_1) | instskip(NEXT) | instid1(VALU_DEP_1)
	v_min_u32_e32 v1, 32, v1
	v_lshlrev_b64_e32 v[10:11], v1, v[10:11]
	v_sub_nc_u32_e32 v1, 32, v1
	s_delay_alu instid0(VALU_DEP_2) | instskip(NEXT) | instid1(VALU_DEP_1)
	v_min_u32_e32 v3, 1, v10
	v_or_b32_e32 v3, v11, v3
	s_delay_alu instid0(VALU_DEP_1) | instskip(NEXT) | instid1(VALU_DEP_1)
	v_cvt_f32_u32_e32 v3, v3
	v_ldexp_f32 v1, v3, v1
	s_delay_alu instid0(VALU_DEP_1)
	v_cvt_f16_f32_e32 v10, v1
	s_branch .LBB55_1954
.LBB55_1952:
	s_mov_b32 s16, -1
                                        ; implicit-def: $vgpr10
.LBB55_1953:
	s_mov_b32 s19, 0
.LBB55_1954:
	s_delay_alu instid0(SALU_CYCLE_1)
	s_and_b32 vcc_lo, exec_lo, s19
	s_cbranch_vccz .LBB55_1972
; %bb.1955:
	s_cmp_lt_i32 s13, 27
	s_cbranch_scc1 .LBB55_1958
; %bb.1956:
	s_cmp_gt_i32 s13, 27
	s_cbranch_scc0 .LBB55_1959
; %bb.1957:
	global_load_b32 v1, v[4:5], off
	s_mov_b32 s18, 0
	s_wait_loadcnt 0x0
	v_cvt_f32_u32_e32 v1, v1
	s_delay_alu instid0(VALU_DEP_1)
	v_cvt_f16_f32_e32 v10, v1
	s_branch .LBB55_1960
.LBB55_1958:
	s_mov_b32 s18, -1
                                        ; implicit-def: $vgpr10
	s_branch .LBB55_1963
.LBB55_1959:
	s_mov_b32 s18, -1
                                        ; implicit-def: $vgpr10
.LBB55_1960:
	s_delay_alu instid0(SALU_CYCLE_1)
	s_and_not1_b32 vcc_lo, exec_lo, s18
	s_cbranch_vccnz .LBB55_1962
; %bb.1961:
	global_load_u16 v1, v[4:5], off
	s_wait_loadcnt 0x0
	v_cvt_f16_u16_e32 v10, v1
.LBB55_1962:
	s_mov_b32 s18, 0
.LBB55_1963:
	s_delay_alu instid0(SALU_CYCLE_1)
	s_and_not1_b32 vcc_lo, exec_lo, s18
	s_cbranch_vccnz .LBB55_1971
; %bb.1964:
	global_load_u8 v1, v[4:5], off
	s_mov_b32 s18, 0
	s_mov_b32 s19, exec_lo
	s_wait_loadcnt 0x0
	v_cmpx_lt_i16_e32 0x7f, v1
	s_xor_b32 s19, exec_lo, s19
	s_cbranch_execz .LBB55_1985
; %bb.1965:
	s_mov_b32 s18, -1
	s_mov_b32 s20, exec_lo
	v_cmpx_eq_u16_e32 0x80, v1
; %bb.1966:
	s_xor_b32 s18, exec_lo, -1
; %bb.1967:
	s_or_b32 exec_lo, exec_lo, s20
	s_delay_alu instid0(SALU_CYCLE_1)
	s_and_b32 s18, s18, exec_lo
	s_or_saveexec_b32 s19, s19
	v_mov_b32_e32 v10, 0x7e00
	s_xor_b32 exec_lo, exec_lo, s19
	s_cbranch_execnz .LBB55_1986
.LBB55_1968:
	s_or_b32 exec_lo, exec_lo, s19
	s_and_saveexec_b32 s19, s18
	s_cbranch_execz .LBB55_1970
.LBB55_1969:
	v_and_b32_e32 v3, 0xffff, v1
	s_delay_alu instid0(VALU_DEP_1) | instskip(SKIP_1) | instid1(VALU_DEP_2)
	v_dual_lshlrev_b32 v1, 24, v1 :: v_dual_bitop2_b32 v10, 7, v3 bitop3:0x40
	v_bfe_u32 v13, v3, 3, 4
	v_and_b32_e32 v1, 0x80000000, v1
	s_delay_alu instid0(VALU_DEP_3) | instskip(NEXT) | instid1(VALU_DEP_3)
	v_clz_i32_u32_e32 v11, v10
	v_cmp_eq_u32_e32 vcc_lo, 0, v13
	s_delay_alu instid0(VALU_DEP_2) | instskip(NEXT) | instid1(VALU_DEP_1)
	v_min_u32_e32 v11, 32, v11
	v_subrev_nc_u32_e32 v12, 28, v11
	v_sub_nc_u32_e32 v11, 29, v11
	s_delay_alu instid0(VALU_DEP_2) | instskip(NEXT) | instid1(VALU_DEP_2)
	v_lshlrev_b32_e32 v3, v12, v3
	v_cndmask_b32_e32 v11, v13, v11, vcc_lo
	s_delay_alu instid0(VALU_DEP_2) | instskip(NEXT) | instid1(VALU_DEP_1)
	v_and_b32_e32 v3, 7, v3
	v_cndmask_b32_e32 v3, v10, v3, vcc_lo
	s_delay_alu instid0(VALU_DEP_3) | instskip(NEXT) | instid1(VALU_DEP_2)
	v_lshl_add_u32 v10, v11, 23, 0x3b800000
	v_lshlrev_b32_e32 v3, 20, v3
	s_delay_alu instid0(VALU_DEP_1) | instskip(NEXT) | instid1(VALU_DEP_1)
	v_or3_b32 v1, v1, v10, v3
	v_cvt_f16_f32_e32 v10, v1
.LBB55_1970:
	s_or_b32 exec_lo, exec_lo, s19
.LBB55_1971:
	s_mov_b32 s18, -1
.LBB55_1972:
	s_mov_b32 s19, 0
.LBB55_1973:
	s_delay_alu instid0(SALU_CYCLE_1)
	s_and_b32 vcc_lo, exec_lo, s19
	s_cbranch_vccz .LBB55_2006
; %bb.1974:
	s_cmp_gt_i32 s13, 22
	s_cbranch_scc0 .LBB55_1984
; %bb.1975:
	s_cmp_lt_i32 s13, 24
	s_cbranch_scc1 .LBB55_1987
; %bb.1976:
	s_cmp_gt_i32 s13, 24
	s_cbranch_scc0 .LBB55_1988
; %bb.1977:
	global_load_u8 v1, v[4:5], off
	s_mov_b32 s18, exec_lo
	s_wait_loadcnt 0x0
	v_cmpx_lt_i16_e32 0x7f, v1
	s_xor_b32 s18, exec_lo, s18
	s_cbranch_execz .LBB55_2000
; %bb.1978:
	s_mov_b32 s17, -1
	s_mov_b32 s19, exec_lo
	v_cmpx_eq_u16_e32 0x80, v1
; %bb.1979:
	s_xor_b32 s17, exec_lo, -1
; %bb.1980:
	s_or_b32 exec_lo, exec_lo, s19
	s_delay_alu instid0(SALU_CYCLE_1)
	s_and_b32 s17, s17, exec_lo
	s_or_saveexec_b32 s18, s18
	v_mov_b32_e32 v10, 0x7e00
	s_xor_b32 exec_lo, exec_lo, s18
	s_cbranch_execnz .LBB55_2001
.LBB55_1981:
	s_or_b32 exec_lo, exec_lo, s18
	s_and_saveexec_b32 s18, s17
	s_cbranch_execz .LBB55_1983
.LBB55_1982:
	v_and_b32_e32 v3, 0xffff, v1
	s_delay_alu instid0(VALU_DEP_1) | instskip(SKIP_1) | instid1(VALU_DEP_2)
	v_dual_lshlrev_b32 v1, 24, v1 :: v_dual_bitop2_b32 v10, 3, v3 bitop3:0x40
	v_bfe_u32 v13, v3, 2, 5
	v_and_b32_e32 v1, 0x80000000, v1
	s_delay_alu instid0(VALU_DEP_3) | instskip(NEXT) | instid1(VALU_DEP_3)
	v_clz_i32_u32_e32 v11, v10
	v_cmp_eq_u32_e32 vcc_lo, 0, v13
	s_delay_alu instid0(VALU_DEP_2) | instskip(NEXT) | instid1(VALU_DEP_1)
	v_min_u32_e32 v11, 32, v11
	v_subrev_nc_u32_e32 v12, 29, v11
	v_sub_nc_u32_e32 v11, 30, v11
	s_delay_alu instid0(VALU_DEP_2) | instskip(NEXT) | instid1(VALU_DEP_2)
	v_lshlrev_b32_e32 v3, v12, v3
	v_cndmask_b32_e32 v11, v13, v11, vcc_lo
	s_delay_alu instid0(VALU_DEP_2) | instskip(NEXT) | instid1(VALU_DEP_1)
	v_and_b32_e32 v3, 3, v3
	v_cndmask_b32_e32 v3, v10, v3, vcc_lo
	s_delay_alu instid0(VALU_DEP_3) | instskip(NEXT) | instid1(VALU_DEP_2)
	v_lshl_add_u32 v10, v11, 23, 0x37800000
	v_lshlrev_b32_e32 v3, 21, v3
	s_delay_alu instid0(VALU_DEP_1) | instskip(NEXT) | instid1(VALU_DEP_1)
	v_or3_b32 v1, v1, v10, v3
	v_cvt_f16_f32_e32 v10, v1
.LBB55_1983:
	s_or_b32 exec_lo, exec_lo, s18
	s_mov_b32 s17, 0
	s_branch .LBB55_1989
.LBB55_1984:
	s_mov_b32 s17, -1
                                        ; implicit-def: $vgpr10
	s_branch .LBB55_1995
.LBB55_1985:
	s_or_saveexec_b32 s19, s19
	v_mov_b32_e32 v10, 0x7e00
	s_xor_b32 exec_lo, exec_lo, s19
	s_cbranch_execz .LBB55_1968
.LBB55_1986:
	v_cmp_ne_u16_e32 vcc_lo, 0, v1
	v_mov_b32_e32 v10, v1
	s_and_not1_b32 s18, s18, exec_lo
	s_and_b32 s20, vcc_lo, exec_lo
	s_delay_alu instid0(SALU_CYCLE_1)
	s_or_b32 s18, s18, s20
	s_or_b32 exec_lo, exec_lo, s19
	s_and_saveexec_b32 s19, s18
	s_cbranch_execnz .LBB55_1969
	s_branch .LBB55_1970
.LBB55_1987:
	s_mov_b32 s17, -1
                                        ; implicit-def: $vgpr10
	s_branch .LBB55_1992
.LBB55_1988:
	s_mov_b32 s17, -1
                                        ; implicit-def: $vgpr10
.LBB55_1989:
	s_delay_alu instid0(SALU_CYCLE_1)
	s_and_b32 vcc_lo, exec_lo, s17
	s_cbranch_vccz .LBB55_1991
; %bb.1990:
	global_load_u8 v1, v[4:5], off
	s_wait_loadcnt 0x0
	v_lshlrev_b32_e32 v1, 24, v1
	s_delay_alu instid0(VALU_DEP_1) | instskip(NEXT) | instid1(VALU_DEP_1)
	v_and_b32_e32 v3, 0x7f000000, v1
	v_clz_i32_u32_e32 v10, v3
	v_cmp_ne_u32_e32 vcc_lo, 0, v3
	v_add_nc_u32_e32 v12, 0x1000000, v3
	s_delay_alu instid0(VALU_DEP_3) | instskip(NEXT) | instid1(VALU_DEP_1)
	v_min_u32_e32 v10, 32, v10
	v_sub_nc_u32_e64 v10, v10, 4 clamp
	s_delay_alu instid0(VALU_DEP_1) | instskip(NEXT) | instid1(VALU_DEP_1)
	v_dual_lshlrev_b32 v11, v10, v3 :: v_dual_lshlrev_b32 v10, 23, v10
	v_lshrrev_b32_e32 v11, 4, v11
	s_delay_alu instid0(VALU_DEP_1) | instskip(NEXT) | instid1(VALU_DEP_1)
	v_dual_sub_nc_u32 v10, v11, v10 :: v_dual_ashrrev_i32 v11, 8, v12
	v_add_nc_u32_e32 v10, 0x3c000000, v10
	s_delay_alu instid0(VALU_DEP_1) | instskip(NEXT) | instid1(VALU_DEP_1)
	v_and_or_b32 v10, 0x7f800000, v11, v10
	v_cndmask_b32_e32 v3, 0, v10, vcc_lo
	s_delay_alu instid0(VALU_DEP_1) | instskip(NEXT) | instid1(VALU_DEP_1)
	v_and_or_b32 v1, 0x80000000, v1, v3
	v_cvt_f16_f32_e32 v10, v1
.LBB55_1991:
	s_mov_b32 s17, 0
.LBB55_1992:
	s_delay_alu instid0(SALU_CYCLE_1)
	s_and_not1_b32 vcc_lo, exec_lo, s17
	s_cbranch_vccnz .LBB55_1994
; %bb.1993:
	global_load_u8 v1, v[4:5], off
	s_wait_loadcnt 0x0
	v_lshlrev_b32_e32 v3, 25, v1
	v_lshlrev_b16 v1, 8, v1
	s_delay_alu instid0(VALU_DEP_1) | instskip(SKIP_1) | instid1(VALU_DEP_2)
	v_and_or_b32 v11, 0x7f00, v1, 0.5
	v_bfe_i32 v1, v1, 0, 16
	v_add_f32_e32 v11, -0.5, v11
	v_lshrrev_b32_e32 v10, 4, v3
	v_cmp_gt_u32_e32 vcc_lo, 0x8000000, v3
	s_delay_alu instid0(VALU_DEP_2) | instskip(NEXT) | instid1(VALU_DEP_1)
	v_or_b32_e32 v10, 0x70000000, v10
	v_mul_f32_e32 v10, 0x7800000, v10
	s_delay_alu instid0(VALU_DEP_1) | instskip(NEXT) | instid1(VALU_DEP_1)
	v_cndmask_b32_e32 v3, v10, v11, vcc_lo
	v_and_or_b32 v1, 0x80000000, v1, v3
	s_delay_alu instid0(VALU_DEP_1)
	v_cvt_f16_f32_e32 v10, v1
.LBB55_1994:
	s_mov_b32 s17, 0
	s_mov_b32 s18, -1
.LBB55_1995:
	s_and_not1_b32 vcc_lo, exec_lo, s17
	s_mov_b32 s17, 0
	s_cbranch_vccnz .LBB55_2006
; %bb.1996:
	s_cmp_gt_i32 s13, 14
	s_cbranch_scc0 .LBB55_1999
; %bb.1997:
	s_cmp_eq_u32 s13, 15
	s_cbranch_scc0 .LBB55_2002
; %bb.1998:
	global_load_u16 v1, v[4:5], off
	s_mov_b32 s16, 0
	s_mov_b32 s18, -1
	s_wait_loadcnt 0x0
	v_lshlrev_b32_e32 v1, 16, v1
	s_delay_alu instid0(VALU_DEP_1)
	v_cvt_f16_f32_e32 v10, v1
	s_branch .LBB55_2004
.LBB55_1999:
	s_mov_b32 s17, -1
	s_branch .LBB55_2003
.LBB55_2000:
	s_or_saveexec_b32 s18, s18
	v_mov_b32_e32 v10, 0x7e00
	s_xor_b32 exec_lo, exec_lo, s18
	s_cbranch_execz .LBB55_1981
.LBB55_2001:
	v_cmp_ne_u16_e32 vcc_lo, 0, v1
	v_mov_b32_e32 v10, v1
	s_and_not1_b32 s17, s17, exec_lo
	s_and_b32 s19, vcc_lo, exec_lo
	s_delay_alu instid0(SALU_CYCLE_1)
	s_or_b32 s17, s17, s19
	s_or_b32 exec_lo, exec_lo, s18
	s_and_saveexec_b32 s18, s17
	s_cbranch_execnz .LBB55_1982
	s_branch .LBB55_1983
.LBB55_2002:
	s_mov_b32 s16, -1
.LBB55_2003:
                                        ; implicit-def: $vgpr10
.LBB55_2004:
	s_and_b32 vcc_lo, exec_lo, s17
	s_mov_b32 s17, 0
	s_cbranch_vccz .LBB55_2006
; %bb.2005:
	s_cmp_lg_u32 s13, 11
	s_mov_b32 s17, -1
	s_cselect_b32 s16, -1, 0
.LBB55_2006:
	s_delay_alu instid0(SALU_CYCLE_1)
	s_and_b32 vcc_lo, exec_lo, s16
	s_cbranch_vccnz .LBB55_2071
; %bb.2007:
	s_and_not1_b32 vcc_lo, exec_lo, s17
	s_cbranch_vccnz .LBB55_2009
.LBB55_2008:
	global_load_u8 v1, v[4:5], off
	s_mov_b32 s18, -1
	s_wait_loadcnt 0x0
	v_cmp_ne_u16_e32 vcc_lo, 0, v1
	v_cndmask_b32_e64 v10, 0, 0x3c00, vcc_lo
.LBB55_2009:
	s_mov_b32 s13, 0
.LBB55_2010:
	s_delay_alu instid0(SALU_CYCLE_1)
	s_and_b32 vcc_lo, exec_lo, s13
	s_cbranch_vccz .LBB55_2059
; %bb.2011:
	s_and_b32 s13, 0xffff, s1
	s_delay_alu instid0(SALU_CYCLE_1)
	s_cmp_lt_i32 s13, 5
	s_cbranch_scc1 .LBB55_2016
; %bb.2012:
	s_cmp_lt_i32 s13, 8
	s_cbranch_scc1 .LBB55_2017
; %bb.2013:
	;; [unrolled: 3-line block ×3, first 2 shown]
	s_cmp_gt_i32 s13, 9
	s_cbranch_scc0 .LBB55_2019
; %bb.2015:
	global_load_b64 v[10:11], v[4:5], off
	s_mov_b32 s16, 0
	s_wait_loadcnt 0x0
	v_and_or_b32 v1, 0x1ff, v11, v10
	v_lshrrev_b32_e32 v3, 8, v11
	v_bfe_u32 v10, v11, 20, 11
	s_delay_alu instid0(VALU_DEP_3) | instskip(NEXT) | instid1(VALU_DEP_2)
	v_cmp_ne_u32_e32 vcc_lo, 0, v1
	v_sub_nc_u32_e32 v12, 0x3f1, v10
	v_add_nc_u32_e32 v10, 0xfffffc10, v10
	v_cndmask_b32_e64 v1, 0, 1, vcc_lo
	s_delay_alu instid0(VALU_DEP_1) | instskip(NEXT) | instid1(VALU_DEP_4)
	v_and_or_b32 v1, 0xffe, v3, v1
	v_med3_i32 v3, v12, 0, 13
	s_delay_alu instid0(VALU_DEP_2) | instskip(NEXT) | instid1(VALU_DEP_1)
	v_or_b32_e32 v12, 0x1000, v1
	v_lshrrev_b32_e32 v13, v3, v12
	s_delay_alu instid0(VALU_DEP_1) | instskip(NEXT) | instid1(VALU_DEP_1)
	v_lshlrev_b32_e32 v3, v3, v13
	v_cmp_ne_u32_e32 vcc_lo, v3, v12
	v_lshl_or_b32 v12, v10, 12, v1
	v_cndmask_b32_e64 v3, 0, 1, vcc_lo
	v_cmp_gt_i32_e32 vcc_lo, 1, v10
	s_delay_alu instid0(VALU_DEP_2) | instskip(NEXT) | instid1(VALU_DEP_1)
	v_or_b32_e32 v3, v13, v3
	v_cndmask_b32_e32 v3, v12, v3, vcc_lo
	s_delay_alu instid0(VALU_DEP_1) | instskip(NEXT) | instid1(VALU_DEP_1)
	v_dual_lshrrev_b32 v3, 2, v3 :: v_dual_bitop2_b32 v12, 7, v3 bitop3:0x40
	v_cmp_lt_i32_e32 vcc_lo, 5, v12
	v_cndmask_b32_e64 v13, 0, 1, vcc_lo
	v_cmp_eq_u32_e32 vcc_lo, 3, v12
	v_cndmask_b32_e64 v12, 0, 1, vcc_lo
	v_cmp_ne_u32_e32 vcc_lo, 0, v1
	s_delay_alu instid0(VALU_DEP_2) | instskip(SKIP_1) | instid1(VALU_DEP_2)
	v_or_b32_e32 v12, v12, v13
	v_mov_b32_e32 v13, 0x7e00
	v_add_nc_u32_e32 v3, v3, v12
	s_delay_alu instid0(VALU_DEP_2) | instskip(SKIP_1) | instid1(VALU_DEP_3)
	v_cndmask_b32_e32 v1, 0x7c00, v13, vcc_lo
	v_cmp_gt_i32_e32 vcc_lo, 31, v10
	v_cndmask_b32_e32 v3, 0x7c00, v3, vcc_lo
	v_cmp_eq_u32_e32 vcc_lo, 0x40f, v10
	s_delay_alu instid0(VALU_DEP_2) | instskip(NEXT) | instid1(VALU_DEP_1)
	v_dual_cndmask_b32 v1, v3, v1, vcc_lo :: v_dual_lshrrev_b32 v3, 16, v11
	v_and_or_b32 v10, 0x8000, v3, v1
	s_branch .LBB55_2020
.LBB55_2016:
	s_mov_b32 s16, -1
                                        ; implicit-def: $vgpr10
	s_branch .LBB55_2038
.LBB55_2017:
	s_mov_b32 s16, -1
                                        ; implicit-def: $vgpr10
	s_branch .LBB55_2026
.LBB55_2018:
	s_mov_b32 s16, -1
                                        ; implicit-def: $vgpr10
	s_branch .LBB55_2023
.LBB55_2019:
	s_mov_b32 s16, -1
                                        ; implicit-def: $vgpr10
.LBB55_2020:
	s_delay_alu instid0(SALU_CYCLE_1)
	s_and_not1_b32 vcc_lo, exec_lo, s16
	s_cbranch_vccnz .LBB55_2022
; %bb.2021:
	global_load_b32 v1, v[4:5], off
	s_wait_loadcnt 0x0
	v_cvt_f16_f32_e32 v10, v1
.LBB55_2022:
	s_mov_b32 s16, 0
.LBB55_2023:
	s_delay_alu instid0(SALU_CYCLE_1)
	s_and_not1_b32 vcc_lo, exec_lo, s16
	s_cbranch_vccnz .LBB55_2025
; %bb.2024:
	global_load_b32 v10, v[4:5], off
.LBB55_2025:
	s_mov_b32 s16, 0
.LBB55_2026:
	s_delay_alu instid0(SALU_CYCLE_1)
	s_and_not1_b32 vcc_lo, exec_lo, s16
	s_cbranch_vccnz .LBB55_2037
; %bb.2027:
	s_cmp_lt_i32 s13, 6
	s_cbranch_scc1 .LBB55_2030
; %bb.2028:
	s_cmp_gt_i32 s13, 6
	s_cbranch_scc0 .LBB55_2031
; %bb.2029:
	s_wait_loadcnt 0x0
	global_load_b64 v[10:11], v[4:5], off
	s_mov_b32 s16, 0
	s_wait_loadcnt 0x0
	v_and_or_b32 v1, 0x1ff, v11, v10
	v_lshrrev_b32_e32 v3, 8, v11
	v_bfe_u32 v10, v11, 20, 11
	s_delay_alu instid0(VALU_DEP_3) | instskip(NEXT) | instid1(VALU_DEP_2)
	v_cmp_ne_u32_e32 vcc_lo, 0, v1
	v_sub_nc_u32_e32 v12, 0x3f1, v10
	v_add_nc_u32_e32 v10, 0xfffffc10, v10
	v_cndmask_b32_e64 v1, 0, 1, vcc_lo
	s_delay_alu instid0(VALU_DEP_1) | instskip(NEXT) | instid1(VALU_DEP_4)
	v_and_or_b32 v1, 0xffe, v3, v1
	v_med3_i32 v3, v12, 0, 13
	s_delay_alu instid0(VALU_DEP_2) | instskip(NEXT) | instid1(VALU_DEP_1)
	v_or_b32_e32 v12, 0x1000, v1
	v_lshrrev_b32_e32 v13, v3, v12
	s_delay_alu instid0(VALU_DEP_1) | instskip(NEXT) | instid1(VALU_DEP_1)
	v_lshlrev_b32_e32 v3, v3, v13
	v_cmp_ne_u32_e32 vcc_lo, v3, v12
	v_lshl_or_b32 v12, v10, 12, v1
	v_cndmask_b32_e64 v3, 0, 1, vcc_lo
	v_cmp_gt_i32_e32 vcc_lo, 1, v10
	s_delay_alu instid0(VALU_DEP_2) | instskip(NEXT) | instid1(VALU_DEP_1)
	v_or_b32_e32 v3, v13, v3
	v_cndmask_b32_e32 v3, v12, v3, vcc_lo
	s_delay_alu instid0(VALU_DEP_1) | instskip(NEXT) | instid1(VALU_DEP_1)
	v_dual_lshrrev_b32 v3, 2, v3 :: v_dual_bitop2_b32 v12, 7, v3 bitop3:0x40
	v_cmp_lt_i32_e32 vcc_lo, 5, v12
	v_cndmask_b32_e64 v13, 0, 1, vcc_lo
	v_cmp_eq_u32_e32 vcc_lo, 3, v12
	v_cndmask_b32_e64 v12, 0, 1, vcc_lo
	v_cmp_ne_u32_e32 vcc_lo, 0, v1
	s_delay_alu instid0(VALU_DEP_2) | instskip(SKIP_1) | instid1(VALU_DEP_2)
	v_or_b32_e32 v12, v12, v13
	v_mov_b32_e32 v13, 0x7e00
	v_add_nc_u32_e32 v3, v3, v12
	s_delay_alu instid0(VALU_DEP_2) | instskip(SKIP_1) | instid1(VALU_DEP_3)
	v_cndmask_b32_e32 v1, 0x7c00, v13, vcc_lo
	v_cmp_gt_i32_e32 vcc_lo, 31, v10
	v_cndmask_b32_e32 v3, 0x7c00, v3, vcc_lo
	v_cmp_eq_u32_e32 vcc_lo, 0x40f, v10
	s_delay_alu instid0(VALU_DEP_2) | instskip(NEXT) | instid1(VALU_DEP_1)
	v_dual_cndmask_b32 v1, v3, v1, vcc_lo :: v_dual_lshrrev_b32 v3, 16, v11
	v_and_or_b32 v10, 0x8000, v3, v1
	s_branch .LBB55_2032
.LBB55_2030:
	s_mov_b32 s16, -1
                                        ; implicit-def: $vgpr10
	s_branch .LBB55_2035
.LBB55_2031:
	s_mov_b32 s16, -1
                                        ; implicit-def: $vgpr10
.LBB55_2032:
	s_delay_alu instid0(SALU_CYCLE_1)
	s_and_not1_b32 vcc_lo, exec_lo, s16
	s_cbranch_vccnz .LBB55_2034
; %bb.2033:
	global_load_b32 v1, v[4:5], off
	s_wait_loadcnt 0x0
	v_cvt_f16_f32_e32 v10, v1
.LBB55_2034:
	s_mov_b32 s16, 0
.LBB55_2035:
	s_delay_alu instid0(SALU_CYCLE_1)
	s_and_not1_b32 vcc_lo, exec_lo, s16
	s_cbranch_vccnz .LBB55_2037
; %bb.2036:
	s_wait_loadcnt 0x0
	global_load_u16 v10, v[4:5], off
.LBB55_2037:
	s_mov_b32 s16, 0
.LBB55_2038:
	s_delay_alu instid0(SALU_CYCLE_1)
	s_and_not1_b32 vcc_lo, exec_lo, s16
	s_cbranch_vccnz .LBB55_2058
; %bb.2039:
	s_cmp_lt_i32 s13, 2
	s_cbranch_scc1 .LBB55_2043
; %bb.2040:
	s_cmp_lt_i32 s13, 3
	s_cbranch_scc1 .LBB55_2044
; %bb.2041:
	s_cmp_gt_i32 s13, 3
	s_cbranch_scc0 .LBB55_2045
; %bb.2042:
	s_wait_loadcnt 0x0
	global_load_b64 v[10:11], v[4:5], off
	s_mov_b32 s16, 0
	s_wait_loadcnt 0x0
	v_xor_b32_e32 v1, v10, v11
	v_cls_i32_e32 v3, v11
	s_delay_alu instid0(VALU_DEP_2) | instskip(NEXT) | instid1(VALU_DEP_1)
	v_ashrrev_i32_e32 v1, 31, v1
	v_add_nc_u32_e32 v1, 32, v1
	s_delay_alu instid0(VALU_DEP_1) | instskip(NEXT) | instid1(VALU_DEP_1)
	v_add_min_u32_e64 v1, v3, -1, v1
	v_lshlrev_b64_e32 v[10:11], v1, v[10:11]
	v_sub_nc_u32_e32 v1, 32, v1
	s_delay_alu instid0(VALU_DEP_2) | instskip(NEXT) | instid1(VALU_DEP_1)
	v_min_u32_e32 v3, 1, v10
	v_or_b32_e32 v3, v11, v3
	s_delay_alu instid0(VALU_DEP_1) | instskip(NEXT) | instid1(VALU_DEP_1)
	v_cvt_f32_i32_e32 v3, v3
	v_ldexp_f32 v1, v3, v1
	s_delay_alu instid0(VALU_DEP_1)
	v_cvt_f16_f32_e32 v10, v1
	s_branch .LBB55_2046
.LBB55_2043:
	s_mov_b32 s16, -1
                                        ; implicit-def: $vgpr10
	s_branch .LBB55_2052
.LBB55_2044:
	s_mov_b32 s16, -1
                                        ; implicit-def: $vgpr10
	s_branch .LBB55_2049
.LBB55_2045:
	s_mov_b32 s16, -1
                                        ; implicit-def: $vgpr10
.LBB55_2046:
	s_delay_alu instid0(SALU_CYCLE_1)
	s_and_not1_b32 vcc_lo, exec_lo, s16
	s_cbranch_vccnz .LBB55_2048
; %bb.2047:
	global_load_b32 v1, v[4:5], off
	s_wait_loadcnt 0x0
	v_cvt_f32_i32_e32 v1, v1
	s_delay_alu instid0(VALU_DEP_1)
	v_cvt_f16_f32_e32 v10, v1
.LBB55_2048:
	s_mov_b32 s16, 0
.LBB55_2049:
	s_delay_alu instid0(SALU_CYCLE_1)
	s_and_not1_b32 vcc_lo, exec_lo, s16
	s_cbranch_vccnz .LBB55_2051
; %bb.2050:
	global_load_u16 v1, v[4:5], off
	s_wait_loadcnt 0x0
	v_cvt_f16_i16_e32 v10, v1
.LBB55_2051:
	s_mov_b32 s16, 0
.LBB55_2052:
	s_delay_alu instid0(SALU_CYCLE_1)
	s_and_not1_b32 vcc_lo, exec_lo, s16
	s_cbranch_vccnz .LBB55_2058
; %bb.2053:
	s_cmp_gt_i32 s13, 0
	s_mov_b32 s13, 0
	s_cbranch_scc0 .LBB55_2055
; %bb.2054:
	global_load_i8 v1, v[4:5], off
	s_wait_loadcnt 0x0
	v_cvt_f16_i16_e32 v10, v1
	s_branch .LBB55_2056
.LBB55_2055:
	s_mov_b32 s13, -1
                                        ; implicit-def: $vgpr10
.LBB55_2056:
	s_delay_alu instid0(SALU_CYCLE_1)
	s_and_not1_b32 vcc_lo, exec_lo, s13
	s_cbranch_vccnz .LBB55_2058
; %bb.2057:
	global_load_u8 v1, v[4:5], off
	s_wait_loadcnt 0x0
	v_cvt_f16_u16_e32 v10, v1
.LBB55_2058:
	s_mov_b32 s18, -1
.LBB55_2059:
	s_delay_alu instid0(SALU_CYCLE_1)
	s_and_not1_b32 vcc_lo, exec_lo, s18
	s_cbranch_vccnz .LBB55_3016
; %bb.2060:
	v_add_nc_u32_e32 v0, s9, v0
	s_cmp_lt_i32 s0, 11
	s_delay_alu instid0(VALU_DEP_1) | instskip(SKIP_1) | instid1(VALU_DEP_1)
	v_ashrrev_i32_e32 v1, 31, v0
	s_wait_xcnt 0x0
	v_add_nc_u64_e32 v[4:5], s[6:7], v[0:1]
	s_cbranch_scc1 .LBB55_2067
; %bb.2061:
	s_and_b32 s13, 0xffff, s0
	s_mov_b32 s17, 0
	s_cmp_gt_i32 s13, 25
	s_cbranch_scc0 .LBB55_2068
; %bb.2062:
	s_cmp_gt_i32 s13, 28
	s_cbranch_scc0 .LBB55_2069
; %bb.2063:
	;; [unrolled: 3-line block ×4, first 2 shown]
	s_cmp_eq_u32 s13, 46
	s_mov_b32 s19, 0
	s_cbranch_scc0 .LBB55_2073
; %bb.2066:
	global_load_b32 v1, v[4:5], off
	s_mov_b32 s16, 0
	s_mov_b32 s18, -1
	s_wait_loadcnt 0x0
	v_lshlrev_b32_e32 v1, 16, v1
	s_delay_alu instid0(VALU_DEP_1)
	v_cvt_f16_f32_e32 v11, v1
	s_branch .LBB55_2075
.LBB55_2067:
	s_mov_b32 s13, -1
	s_mov_b32 s18, 0
                                        ; implicit-def: $vgpr11
	s_branch .LBB55_2141
.LBB55_2068:
	s_mov_b32 s19, -1
	s_mov_b32 s18, 0
	s_mov_b32 s16, 0
                                        ; implicit-def: $vgpr11
	s_branch .LBB55_2104
.LBB55_2069:
	s_mov_b32 s19, -1
	s_mov_b32 s18, 0
	s_mov_b32 s16, 0
                                        ; implicit-def: $vgpr11
	s_branch .LBB55_2085
.LBB55_2070:
	s_mov_b32 s19, -1
	s_mov_b32 s18, 0
	s_mov_b32 s16, 0
                                        ; implicit-def: $vgpr11
	s_branch .LBB55_2080
.LBB55_2071:
	s_or_b32 s12, s12, exec_lo
	s_trap 2
	s_cbranch_execz .LBB55_2008
	s_branch .LBB55_2009
.LBB55_2072:
	s_mov_b32 s19, -1
	s_mov_b32 s18, 0
	s_mov_b32 s16, 0
	s_branch .LBB55_2074
.LBB55_2073:
	s_mov_b32 s16, -1
	s_mov_b32 s18, 0
.LBB55_2074:
                                        ; implicit-def: $vgpr11
.LBB55_2075:
	s_and_b32 vcc_lo, exec_lo, s19
	s_cbranch_vccz .LBB55_2079
; %bb.2076:
	s_cmp_eq_u32 s13, 44
	s_cbranch_scc0 .LBB55_2078
; %bb.2077:
	global_load_u8 v1, v[4:5], off
	s_mov_b32 s16, 0
	s_mov_b32 s18, -1
	s_wait_loadcnt 0x0
	v_lshlrev_b32_e32 v3, 23, v1
	v_cmp_ne_u32_e32 vcc_lo, 0xff, v1
	s_delay_alu instid0(VALU_DEP_2) | instskip(NEXT) | instid1(VALU_DEP_1)
	v_cvt_f16_f32_e32 v3, v3
	v_cndmask_b32_e32 v3, 0x7e00, v3, vcc_lo
	v_cmp_ne_u32_e32 vcc_lo, 0, v1
	s_delay_alu instid0(VALU_DEP_2)
	v_cndmask_b32_e32 v11, 0, v3, vcc_lo
	s_branch .LBB55_2079
.LBB55_2078:
	s_mov_b32 s16, -1
                                        ; implicit-def: $vgpr11
.LBB55_2079:
	s_mov_b32 s19, 0
.LBB55_2080:
	s_delay_alu instid0(SALU_CYCLE_1)
	s_and_b32 vcc_lo, exec_lo, s19
	s_cbranch_vccz .LBB55_2084
; %bb.2081:
	s_cmp_eq_u32 s13, 29
	s_cbranch_scc0 .LBB55_2083
; %bb.2082:
	global_load_b64 v[12:13], v[4:5], off
	s_mov_b32 s16, 0
	s_mov_b32 s18, -1
	s_mov_b32 s19, 0
	s_wait_loadcnt 0x0
	v_clz_i32_u32_e32 v1, v13
	s_delay_alu instid0(VALU_DEP_1) | instskip(NEXT) | instid1(VALU_DEP_1)
	v_min_u32_e32 v1, 32, v1
	v_lshlrev_b64_e32 v[12:13], v1, v[12:13]
	v_sub_nc_u32_e32 v1, 32, v1
	s_delay_alu instid0(VALU_DEP_2) | instskip(NEXT) | instid1(VALU_DEP_1)
	v_min_u32_e32 v3, 1, v12
	v_or_b32_e32 v3, v13, v3
	s_delay_alu instid0(VALU_DEP_1) | instskip(NEXT) | instid1(VALU_DEP_1)
	v_cvt_f32_u32_e32 v3, v3
	v_ldexp_f32 v1, v3, v1
	s_delay_alu instid0(VALU_DEP_1)
	v_cvt_f16_f32_e32 v11, v1
	s_branch .LBB55_2085
.LBB55_2083:
	s_mov_b32 s16, -1
                                        ; implicit-def: $vgpr11
.LBB55_2084:
	s_mov_b32 s19, 0
.LBB55_2085:
	s_delay_alu instid0(SALU_CYCLE_1)
	s_and_b32 vcc_lo, exec_lo, s19
	s_cbranch_vccz .LBB55_2103
; %bb.2086:
	s_cmp_lt_i32 s13, 27
	s_cbranch_scc1 .LBB55_2089
; %bb.2087:
	s_cmp_gt_i32 s13, 27
	s_cbranch_scc0 .LBB55_2090
; %bb.2088:
	global_load_b32 v1, v[4:5], off
	s_mov_b32 s18, 0
	s_wait_loadcnt 0x0
	v_cvt_f32_u32_e32 v1, v1
	s_delay_alu instid0(VALU_DEP_1)
	v_cvt_f16_f32_e32 v11, v1
	s_branch .LBB55_2091
.LBB55_2089:
	s_mov_b32 s18, -1
                                        ; implicit-def: $vgpr11
	s_branch .LBB55_2094
.LBB55_2090:
	s_mov_b32 s18, -1
                                        ; implicit-def: $vgpr11
.LBB55_2091:
	s_delay_alu instid0(SALU_CYCLE_1)
	s_and_not1_b32 vcc_lo, exec_lo, s18
	s_cbranch_vccnz .LBB55_2093
; %bb.2092:
	global_load_u16 v1, v[4:5], off
	s_wait_loadcnt 0x0
	v_cvt_f16_u16_e32 v11, v1
.LBB55_2093:
	s_mov_b32 s18, 0
.LBB55_2094:
	s_delay_alu instid0(SALU_CYCLE_1)
	s_and_not1_b32 vcc_lo, exec_lo, s18
	s_cbranch_vccnz .LBB55_2102
; %bb.2095:
	global_load_u8 v1, v[4:5], off
	s_mov_b32 s18, 0
	s_mov_b32 s19, exec_lo
	s_wait_loadcnt 0x0
	v_cmpx_lt_i16_e32 0x7f, v1
	s_xor_b32 s19, exec_lo, s19
	s_cbranch_execz .LBB55_2116
; %bb.2096:
	s_mov_b32 s18, -1
	s_mov_b32 s20, exec_lo
	v_cmpx_eq_u16_e32 0x80, v1
; %bb.2097:
	s_xor_b32 s18, exec_lo, -1
; %bb.2098:
	s_or_b32 exec_lo, exec_lo, s20
	s_delay_alu instid0(SALU_CYCLE_1)
	s_and_b32 s18, s18, exec_lo
	s_or_saveexec_b32 s19, s19
	v_mov_b32_e32 v11, 0x7e00
	s_xor_b32 exec_lo, exec_lo, s19
	s_cbranch_execnz .LBB55_2117
.LBB55_2099:
	s_or_b32 exec_lo, exec_lo, s19
	s_and_saveexec_b32 s19, s18
	s_cbranch_execz .LBB55_2101
.LBB55_2100:
	v_and_b32_e32 v3, 0xffff, v1
	s_delay_alu instid0(VALU_DEP_1) | instskip(SKIP_1) | instid1(VALU_DEP_2)
	v_and_b32_e32 v11, 7, v3
	v_bfe_u32 v14, v3, 3, 4
	v_clz_i32_u32_e32 v12, v11
	s_delay_alu instid0(VALU_DEP_2) | instskip(NEXT) | instid1(VALU_DEP_2)
	v_cmp_eq_u32_e32 vcc_lo, 0, v14
	v_min_u32_e32 v12, 32, v12
	s_delay_alu instid0(VALU_DEP_1) | instskip(NEXT) | instid1(VALU_DEP_1)
	v_subrev_nc_u32_e32 v13, 28, v12
	v_dual_lshlrev_b32 v3, v13, v3 :: v_dual_sub_nc_u32 v12, 29, v12
	s_delay_alu instid0(VALU_DEP_1) | instskip(NEXT) | instid1(VALU_DEP_1)
	v_dual_lshlrev_b32 v1, 24, v1 :: v_dual_bitop2_b32 v3, 7, v3 bitop3:0x40
	v_dual_cndmask_b32 v12, v14, v12 :: v_dual_cndmask_b32 v3, v11, v3
	s_delay_alu instid0(VALU_DEP_2) | instskip(NEXT) | instid1(VALU_DEP_2)
	v_and_b32_e32 v1, 0x80000000, v1
	v_lshl_add_u32 v11, v12, 23, 0x3b800000
	s_delay_alu instid0(VALU_DEP_3) | instskip(NEXT) | instid1(VALU_DEP_1)
	v_lshlrev_b32_e32 v3, 20, v3
	v_or3_b32 v1, v1, v11, v3
	s_delay_alu instid0(VALU_DEP_1)
	v_cvt_f16_f32_e32 v11, v1
.LBB55_2101:
	s_or_b32 exec_lo, exec_lo, s19
.LBB55_2102:
	s_mov_b32 s18, -1
.LBB55_2103:
	s_mov_b32 s19, 0
.LBB55_2104:
	s_delay_alu instid0(SALU_CYCLE_1)
	s_and_b32 vcc_lo, exec_lo, s19
	s_cbranch_vccz .LBB55_2137
; %bb.2105:
	s_cmp_gt_i32 s13, 22
	s_cbranch_scc0 .LBB55_2115
; %bb.2106:
	s_cmp_lt_i32 s13, 24
	s_cbranch_scc1 .LBB55_2118
; %bb.2107:
	s_cmp_gt_i32 s13, 24
	s_cbranch_scc0 .LBB55_2119
; %bb.2108:
	global_load_u8 v1, v[4:5], off
	s_mov_b32 s18, exec_lo
	s_wait_loadcnt 0x0
	v_cmpx_lt_i16_e32 0x7f, v1
	s_xor_b32 s18, exec_lo, s18
	s_cbranch_execz .LBB55_2131
; %bb.2109:
	s_mov_b32 s17, -1
	s_mov_b32 s19, exec_lo
	v_cmpx_eq_u16_e32 0x80, v1
; %bb.2110:
	s_xor_b32 s17, exec_lo, -1
; %bb.2111:
	s_or_b32 exec_lo, exec_lo, s19
	s_delay_alu instid0(SALU_CYCLE_1)
	s_and_b32 s17, s17, exec_lo
	s_or_saveexec_b32 s18, s18
	v_mov_b32_e32 v11, 0x7e00
	s_xor_b32 exec_lo, exec_lo, s18
	s_cbranch_execnz .LBB55_2132
.LBB55_2112:
	s_or_b32 exec_lo, exec_lo, s18
	s_and_saveexec_b32 s18, s17
	s_cbranch_execz .LBB55_2114
.LBB55_2113:
	v_and_b32_e32 v3, 0xffff, v1
	s_delay_alu instid0(VALU_DEP_1) | instskip(SKIP_1) | instid1(VALU_DEP_2)
	v_and_b32_e32 v11, 3, v3
	v_bfe_u32 v14, v3, 2, 5
	v_clz_i32_u32_e32 v12, v11
	s_delay_alu instid0(VALU_DEP_2) | instskip(NEXT) | instid1(VALU_DEP_2)
	v_cmp_eq_u32_e32 vcc_lo, 0, v14
	v_min_u32_e32 v12, 32, v12
	s_delay_alu instid0(VALU_DEP_1) | instskip(NEXT) | instid1(VALU_DEP_1)
	v_subrev_nc_u32_e32 v13, 29, v12
	v_dual_lshlrev_b32 v3, v13, v3 :: v_dual_sub_nc_u32 v12, 30, v12
	s_delay_alu instid0(VALU_DEP_1) | instskip(NEXT) | instid1(VALU_DEP_1)
	v_dual_lshlrev_b32 v1, 24, v1 :: v_dual_bitop2_b32 v3, 3, v3 bitop3:0x40
	v_dual_cndmask_b32 v12, v14, v12 :: v_dual_cndmask_b32 v3, v11, v3
	s_delay_alu instid0(VALU_DEP_2) | instskip(NEXT) | instid1(VALU_DEP_2)
	v_and_b32_e32 v1, 0x80000000, v1
	v_lshl_add_u32 v11, v12, 23, 0x37800000
	s_delay_alu instid0(VALU_DEP_3) | instskip(NEXT) | instid1(VALU_DEP_1)
	v_lshlrev_b32_e32 v3, 21, v3
	v_or3_b32 v1, v1, v11, v3
	s_delay_alu instid0(VALU_DEP_1)
	v_cvt_f16_f32_e32 v11, v1
.LBB55_2114:
	s_or_b32 exec_lo, exec_lo, s18
	s_mov_b32 s17, 0
	s_branch .LBB55_2120
.LBB55_2115:
	s_mov_b32 s17, -1
                                        ; implicit-def: $vgpr11
	s_branch .LBB55_2126
.LBB55_2116:
	s_or_saveexec_b32 s19, s19
	v_mov_b32_e32 v11, 0x7e00
	s_xor_b32 exec_lo, exec_lo, s19
	s_cbranch_execz .LBB55_2099
.LBB55_2117:
	v_cmp_ne_u16_e32 vcc_lo, 0, v1
	v_mov_b32_e32 v11, v1
	s_and_not1_b32 s18, s18, exec_lo
	s_and_b32 s20, vcc_lo, exec_lo
	s_delay_alu instid0(SALU_CYCLE_1)
	s_or_b32 s18, s18, s20
	s_or_b32 exec_lo, exec_lo, s19
	s_and_saveexec_b32 s19, s18
	s_cbranch_execnz .LBB55_2100
	s_branch .LBB55_2101
.LBB55_2118:
	s_mov_b32 s17, -1
                                        ; implicit-def: $vgpr11
	s_branch .LBB55_2123
.LBB55_2119:
	s_mov_b32 s17, -1
                                        ; implicit-def: $vgpr11
.LBB55_2120:
	s_delay_alu instid0(SALU_CYCLE_1)
	s_and_b32 vcc_lo, exec_lo, s17
	s_cbranch_vccz .LBB55_2122
; %bb.2121:
	global_load_u8 v1, v[4:5], off
	s_wait_loadcnt 0x0
	v_lshlrev_b32_e32 v1, 24, v1
	s_delay_alu instid0(VALU_DEP_1) | instskip(NEXT) | instid1(VALU_DEP_1)
	v_and_b32_e32 v3, 0x7f000000, v1
	v_clz_i32_u32_e32 v11, v3
	v_add_nc_u32_e32 v13, 0x1000000, v3
	v_cmp_ne_u32_e32 vcc_lo, 0, v3
	s_delay_alu instid0(VALU_DEP_3) | instskip(NEXT) | instid1(VALU_DEP_1)
	v_min_u32_e32 v11, 32, v11
	v_sub_nc_u32_e64 v11, v11, 4 clamp
	s_delay_alu instid0(VALU_DEP_1) | instskip(NEXT) | instid1(VALU_DEP_1)
	v_lshlrev_b32_e32 v12, v11, v3
	v_dual_lshlrev_b32 v11, 23, v11 :: v_dual_lshrrev_b32 v12, 4, v12
	s_delay_alu instid0(VALU_DEP_1) | instskip(NEXT) | instid1(VALU_DEP_1)
	v_dual_sub_nc_u32 v11, v12, v11 :: v_dual_ashrrev_i32 v12, 8, v13
	v_add_nc_u32_e32 v11, 0x3c000000, v11
	s_delay_alu instid0(VALU_DEP_1) | instskip(NEXT) | instid1(VALU_DEP_1)
	v_and_or_b32 v11, 0x7f800000, v12, v11
	v_cndmask_b32_e32 v3, 0, v11, vcc_lo
	s_delay_alu instid0(VALU_DEP_1) | instskip(NEXT) | instid1(VALU_DEP_1)
	v_and_or_b32 v1, 0x80000000, v1, v3
	v_cvt_f16_f32_e32 v11, v1
.LBB55_2122:
	s_mov_b32 s17, 0
.LBB55_2123:
	s_delay_alu instid0(SALU_CYCLE_1)
	s_and_not1_b32 vcc_lo, exec_lo, s17
	s_cbranch_vccnz .LBB55_2125
; %bb.2124:
	global_load_u8 v1, v[4:5], off
	s_wait_loadcnt 0x0
	v_lshlrev_b32_e32 v3, 25, v1
	v_lshlrev_b16 v1, 8, v1
	s_delay_alu instid0(VALU_DEP_1) | instskip(SKIP_1) | instid1(VALU_DEP_2)
	v_and_or_b32 v12, 0x7f00, v1, 0.5
	v_bfe_i32 v1, v1, 0, 16
	v_dual_add_f32 v12, -0.5, v12 :: v_dual_lshrrev_b32 v11, 4, v3
	v_cmp_gt_u32_e32 vcc_lo, 0x8000000, v3
	s_delay_alu instid0(VALU_DEP_2) | instskip(NEXT) | instid1(VALU_DEP_1)
	v_or_b32_e32 v11, 0x70000000, v11
	v_mul_f32_e32 v11, 0x7800000, v11
	s_delay_alu instid0(VALU_DEP_1) | instskip(NEXT) | instid1(VALU_DEP_1)
	v_cndmask_b32_e32 v3, v11, v12, vcc_lo
	v_and_or_b32 v1, 0x80000000, v1, v3
	s_delay_alu instid0(VALU_DEP_1)
	v_cvt_f16_f32_e32 v11, v1
.LBB55_2125:
	s_mov_b32 s17, 0
	s_mov_b32 s18, -1
.LBB55_2126:
	s_and_not1_b32 vcc_lo, exec_lo, s17
	s_mov_b32 s17, 0
	s_cbranch_vccnz .LBB55_2137
; %bb.2127:
	s_cmp_gt_i32 s13, 14
	s_cbranch_scc0 .LBB55_2130
; %bb.2128:
	s_cmp_eq_u32 s13, 15
	s_cbranch_scc0 .LBB55_2133
; %bb.2129:
	global_load_u16 v1, v[4:5], off
	s_mov_b32 s16, 0
	s_mov_b32 s18, -1
	s_wait_loadcnt 0x0
	v_lshlrev_b32_e32 v1, 16, v1
	s_delay_alu instid0(VALU_DEP_1)
	v_cvt_f16_f32_e32 v11, v1
	s_branch .LBB55_2135
.LBB55_2130:
	s_mov_b32 s17, -1
	s_branch .LBB55_2134
.LBB55_2131:
	s_or_saveexec_b32 s18, s18
	v_mov_b32_e32 v11, 0x7e00
	s_xor_b32 exec_lo, exec_lo, s18
	s_cbranch_execz .LBB55_2112
.LBB55_2132:
	v_cmp_ne_u16_e32 vcc_lo, 0, v1
	v_mov_b32_e32 v11, v1
	s_and_not1_b32 s17, s17, exec_lo
	s_and_b32 s19, vcc_lo, exec_lo
	s_delay_alu instid0(SALU_CYCLE_1)
	s_or_b32 s17, s17, s19
	s_or_b32 exec_lo, exec_lo, s18
	s_and_saveexec_b32 s18, s17
	s_cbranch_execnz .LBB55_2113
	s_branch .LBB55_2114
.LBB55_2133:
	s_mov_b32 s16, -1
.LBB55_2134:
                                        ; implicit-def: $vgpr11
.LBB55_2135:
	s_and_b32 vcc_lo, exec_lo, s17
	s_mov_b32 s17, 0
	s_cbranch_vccz .LBB55_2137
; %bb.2136:
	s_cmp_lg_u32 s13, 11
	s_mov_b32 s17, -1
	s_cselect_b32 s16, -1, 0
.LBB55_2137:
	s_delay_alu instid0(SALU_CYCLE_1)
	s_and_b32 vcc_lo, exec_lo, s16
	s_cbranch_vccnz .LBB55_2202
; %bb.2138:
	s_and_not1_b32 vcc_lo, exec_lo, s17
	s_cbranch_vccnz .LBB55_2140
.LBB55_2139:
	global_load_u8 v1, v[4:5], off
	s_mov_b32 s18, -1
	s_wait_loadcnt 0x0
	v_cmp_ne_u16_e32 vcc_lo, 0, v1
	v_cndmask_b32_e64 v11, 0, 0x3c00, vcc_lo
.LBB55_2140:
	s_mov_b32 s13, 0
.LBB55_2141:
	s_delay_alu instid0(SALU_CYCLE_1)
	s_and_b32 vcc_lo, exec_lo, s13
	s_cbranch_vccz .LBB55_2190
; %bb.2142:
	s_and_b32 s13, 0xffff, s0
	s_delay_alu instid0(SALU_CYCLE_1)
	s_cmp_lt_i32 s13, 5
	s_cbranch_scc1 .LBB55_2147
; %bb.2143:
	s_cmp_lt_i32 s13, 8
	s_cbranch_scc1 .LBB55_2148
; %bb.2144:
	;; [unrolled: 3-line block ×3, first 2 shown]
	s_cmp_gt_i32 s13, 9
	s_cbranch_scc0 .LBB55_2150
; %bb.2146:
	global_load_b64 v[12:13], v[4:5], off
	s_mov_b32 s16, 0
	s_wait_loadcnt 0x0
	v_and_or_b32 v1, 0x1ff, v13, v12
	v_lshrrev_b32_e32 v3, 8, v13
	v_bfe_u32 v11, v13, 20, 11
	s_delay_alu instid0(VALU_DEP_3) | instskip(NEXT) | instid1(VALU_DEP_2)
	v_cmp_ne_u32_e32 vcc_lo, 0, v1
	v_sub_nc_u32_e32 v12, 0x3f1, v11
	v_add_nc_u32_e32 v11, 0xfffffc10, v11
	v_cndmask_b32_e64 v1, 0, 1, vcc_lo
	s_delay_alu instid0(VALU_DEP_1) | instskip(NEXT) | instid1(VALU_DEP_4)
	v_and_or_b32 v1, 0xffe, v3, v1
	v_med3_i32 v3, v12, 0, 13
	s_delay_alu instid0(VALU_DEP_2) | instskip(NEXT) | instid1(VALU_DEP_1)
	v_or_b32_e32 v12, 0x1000, v1
	v_lshrrev_b32_e32 v14, v3, v12
	s_delay_alu instid0(VALU_DEP_1) | instskip(NEXT) | instid1(VALU_DEP_1)
	v_lshlrev_b32_e32 v3, v3, v14
	v_cmp_ne_u32_e32 vcc_lo, v3, v12
	v_lshl_or_b32 v12, v11, 12, v1
	v_cndmask_b32_e64 v3, 0, 1, vcc_lo
	v_cmp_gt_i32_e32 vcc_lo, 1, v11
	s_delay_alu instid0(VALU_DEP_2) | instskip(NEXT) | instid1(VALU_DEP_1)
	v_or_b32_e32 v3, v14, v3
	v_cndmask_b32_e32 v3, v12, v3, vcc_lo
	s_delay_alu instid0(VALU_DEP_1) | instskip(NEXT) | instid1(VALU_DEP_1)
	v_dual_lshrrev_b32 v3, 2, v3 :: v_dual_bitop2_b32 v12, 7, v3 bitop3:0x40
	v_cmp_lt_i32_e32 vcc_lo, 5, v12
	v_cndmask_b32_e64 v14, 0, 1, vcc_lo
	v_cmp_eq_u32_e32 vcc_lo, 3, v12
	v_cndmask_b32_e64 v12, 0, 1, vcc_lo
	v_cmp_ne_u32_e32 vcc_lo, 0, v1
	s_delay_alu instid0(VALU_DEP_2) | instskip(NEXT) | instid1(VALU_DEP_1)
	v_or_b32_e32 v12, v12, v14
	v_dual_mov_b32 v14, 0x7e00 :: v_dual_add_nc_u32 v3, v3, v12
	s_delay_alu instid0(VALU_DEP_1) | instskip(SKIP_1) | instid1(VALU_DEP_3)
	v_cndmask_b32_e32 v1, 0x7c00, v14, vcc_lo
	v_cmp_gt_i32_e32 vcc_lo, 31, v11
	v_cndmask_b32_e32 v3, 0x7c00, v3, vcc_lo
	v_cmp_eq_u32_e32 vcc_lo, 0x40f, v11
	s_delay_alu instid0(VALU_DEP_2) | instskip(SKIP_1) | instid1(VALU_DEP_1)
	v_cndmask_b32_e32 v1, v3, v1, vcc_lo
	v_lshrrev_b32_e32 v3, 16, v13
	v_and_or_b32 v11, 0x8000, v3, v1
	s_branch .LBB55_2151
.LBB55_2147:
	s_mov_b32 s16, -1
                                        ; implicit-def: $vgpr11
	s_branch .LBB55_2169
.LBB55_2148:
	s_mov_b32 s16, -1
                                        ; implicit-def: $vgpr11
	s_branch .LBB55_2157
.LBB55_2149:
	s_mov_b32 s16, -1
                                        ; implicit-def: $vgpr11
	s_branch .LBB55_2154
.LBB55_2150:
	s_mov_b32 s16, -1
                                        ; implicit-def: $vgpr11
.LBB55_2151:
	s_delay_alu instid0(SALU_CYCLE_1)
	s_and_not1_b32 vcc_lo, exec_lo, s16
	s_cbranch_vccnz .LBB55_2153
; %bb.2152:
	global_load_b32 v1, v[4:5], off
	s_wait_loadcnt 0x0
	v_cvt_f16_f32_e32 v11, v1
.LBB55_2153:
	s_mov_b32 s16, 0
.LBB55_2154:
	s_delay_alu instid0(SALU_CYCLE_1)
	s_and_not1_b32 vcc_lo, exec_lo, s16
	s_cbranch_vccnz .LBB55_2156
; %bb.2155:
	global_load_b32 v11, v[4:5], off
.LBB55_2156:
	s_mov_b32 s16, 0
.LBB55_2157:
	s_delay_alu instid0(SALU_CYCLE_1)
	s_and_not1_b32 vcc_lo, exec_lo, s16
	s_cbranch_vccnz .LBB55_2168
; %bb.2158:
	s_cmp_lt_i32 s13, 6
	s_cbranch_scc1 .LBB55_2161
; %bb.2159:
	s_cmp_gt_i32 s13, 6
	s_cbranch_scc0 .LBB55_2162
; %bb.2160:
	global_load_b64 v[12:13], v[4:5], off
	s_mov_b32 s16, 0
	s_wait_loadcnt 0x0
	v_and_or_b32 v1, 0x1ff, v13, v12
	v_lshrrev_b32_e32 v3, 8, v13
	v_bfe_u32 v11, v13, 20, 11
	s_delay_alu instid0(VALU_DEP_3) | instskip(NEXT) | instid1(VALU_DEP_2)
	v_cmp_ne_u32_e32 vcc_lo, 0, v1
	v_sub_nc_u32_e32 v12, 0x3f1, v11
	v_add_nc_u32_e32 v11, 0xfffffc10, v11
	v_cndmask_b32_e64 v1, 0, 1, vcc_lo
	s_delay_alu instid0(VALU_DEP_1) | instskip(NEXT) | instid1(VALU_DEP_4)
	v_and_or_b32 v1, 0xffe, v3, v1
	v_med3_i32 v3, v12, 0, 13
	s_delay_alu instid0(VALU_DEP_2) | instskip(NEXT) | instid1(VALU_DEP_1)
	v_or_b32_e32 v12, 0x1000, v1
	v_lshrrev_b32_e32 v14, v3, v12
	s_delay_alu instid0(VALU_DEP_1) | instskip(NEXT) | instid1(VALU_DEP_1)
	v_lshlrev_b32_e32 v3, v3, v14
	v_cmp_ne_u32_e32 vcc_lo, v3, v12
	v_lshl_or_b32 v12, v11, 12, v1
	v_cndmask_b32_e64 v3, 0, 1, vcc_lo
	v_cmp_gt_i32_e32 vcc_lo, 1, v11
	s_delay_alu instid0(VALU_DEP_2) | instskip(NEXT) | instid1(VALU_DEP_1)
	v_or_b32_e32 v3, v14, v3
	v_cndmask_b32_e32 v3, v12, v3, vcc_lo
	s_delay_alu instid0(VALU_DEP_1) | instskip(NEXT) | instid1(VALU_DEP_1)
	v_dual_lshrrev_b32 v3, 2, v3 :: v_dual_bitop2_b32 v12, 7, v3 bitop3:0x40
	v_cmp_lt_i32_e32 vcc_lo, 5, v12
	v_cndmask_b32_e64 v14, 0, 1, vcc_lo
	v_cmp_eq_u32_e32 vcc_lo, 3, v12
	v_cndmask_b32_e64 v12, 0, 1, vcc_lo
	v_cmp_ne_u32_e32 vcc_lo, 0, v1
	s_delay_alu instid0(VALU_DEP_2) | instskip(NEXT) | instid1(VALU_DEP_1)
	v_or_b32_e32 v12, v12, v14
	v_dual_mov_b32 v14, 0x7e00 :: v_dual_add_nc_u32 v3, v3, v12
	s_delay_alu instid0(VALU_DEP_1) | instskip(SKIP_1) | instid1(VALU_DEP_3)
	v_cndmask_b32_e32 v1, 0x7c00, v14, vcc_lo
	v_cmp_gt_i32_e32 vcc_lo, 31, v11
	v_cndmask_b32_e32 v3, 0x7c00, v3, vcc_lo
	v_cmp_eq_u32_e32 vcc_lo, 0x40f, v11
	s_delay_alu instid0(VALU_DEP_2) | instskip(SKIP_1) | instid1(VALU_DEP_1)
	v_cndmask_b32_e32 v1, v3, v1, vcc_lo
	v_lshrrev_b32_e32 v3, 16, v13
	v_and_or_b32 v11, 0x8000, v3, v1
	s_branch .LBB55_2163
.LBB55_2161:
	s_mov_b32 s16, -1
                                        ; implicit-def: $vgpr11
	s_branch .LBB55_2166
.LBB55_2162:
	s_mov_b32 s16, -1
                                        ; implicit-def: $vgpr11
.LBB55_2163:
	s_delay_alu instid0(SALU_CYCLE_1)
	s_and_not1_b32 vcc_lo, exec_lo, s16
	s_cbranch_vccnz .LBB55_2165
; %bb.2164:
	global_load_b32 v1, v[4:5], off
	s_wait_loadcnt 0x0
	v_cvt_f16_f32_e32 v11, v1
.LBB55_2165:
	s_mov_b32 s16, 0
.LBB55_2166:
	s_delay_alu instid0(SALU_CYCLE_1)
	s_and_not1_b32 vcc_lo, exec_lo, s16
	s_cbranch_vccnz .LBB55_2168
; %bb.2167:
	s_wait_loadcnt 0x0
	global_load_u16 v11, v[4:5], off
.LBB55_2168:
	s_mov_b32 s16, 0
.LBB55_2169:
	s_delay_alu instid0(SALU_CYCLE_1)
	s_and_not1_b32 vcc_lo, exec_lo, s16
	s_cbranch_vccnz .LBB55_2189
; %bb.2170:
	s_cmp_lt_i32 s13, 2
	s_cbranch_scc1 .LBB55_2174
; %bb.2171:
	s_cmp_lt_i32 s13, 3
	s_cbranch_scc1 .LBB55_2175
; %bb.2172:
	s_cmp_gt_i32 s13, 3
	s_cbranch_scc0 .LBB55_2176
; %bb.2173:
	global_load_b64 v[12:13], v[4:5], off
	s_mov_b32 s16, 0
	s_wait_loadcnt 0x0
	v_xor_b32_e32 v1, v12, v13
	v_cls_i32_e32 v3, v13
	s_delay_alu instid0(VALU_DEP_2) | instskip(NEXT) | instid1(VALU_DEP_1)
	v_ashrrev_i32_e32 v1, 31, v1
	v_add_nc_u32_e32 v1, 32, v1
	s_delay_alu instid0(VALU_DEP_1) | instskip(NEXT) | instid1(VALU_DEP_1)
	v_add_min_u32_e64 v1, v3, -1, v1
	v_lshlrev_b64_e32 v[12:13], v1, v[12:13]
	v_sub_nc_u32_e32 v1, 32, v1
	s_delay_alu instid0(VALU_DEP_2) | instskip(NEXT) | instid1(VALU_DEP_1)
	v_min_u32_e32 v3, 1, v12
	v_or_b32_e32 v3, v13, v3
	s_delay_alu instid0(VALU_DEP_1) | instskip(NEXT) | instid1(VALU_DEP_1)
	v_cvt_f32_i32_e32 v3, v3
	v_ldexp_f32 v1, v3, v1
	s_delay_alu instid0(VALU_DEP_1)
	v_cvt_f16_f32_e32 v11, v1
	s_branch .LBB55_2177
.LBB55_2174:
	s_mov_b32 s16, -1
                                        ; implicit-def: $vgpr11
	s_branch .LBB55_2183
.LBB55_2175:
	s_mov_b32 s16, -1
                                        ; implicit-def: $vgpr11
	s_branch .LBB55_2180
.LBB55_2176:
	s_mov_b32 s16, -1
                                        ; implicit-def: $vgpr11
.LBB55_2177:
	s_delay_alu instid0(SALU_CYCLE_1)
	s_and_not1_b32 vcc_lo, exec_lo, s16
	s_cbranch_vccnz .LBB55_2179
; %bb.2178:
	global_load_b32 v1, v[4:5], off
	s_wait_loadcnt 0x0
	v_cvt_f32_i32_e32 v1, v1
	s_delay_alu instid0(VALU_DEP_1)
	v_cvt_f16_f32_e32 v11, v1
.LBB55_2179:
	s_mov_b32 s16, 0
.LBB55_2180:
	s_delay_alu instid0(SALU_CYCLE_1)
	s_and_not1_b32 vcc_lo, exec_lo, s16
	s_cbranch_vccnz .LBB55_2182
; %bb.2181:
	global_load_u16 v1, v[4:5], off
	s_wait_loadcnt 0x0
	v_cvt_f16_i16_e32 v11, v1
.LBB55_2182:
	s_mov_b32 s16, 0
.LBB55_2183:
	s_delay_alu instid0(SALU_CYCLE_1)
	s_and_not1_b32 vcc_lo, exec_lo, s16
	s_cbranch_vccnz .LBB55_2189
; %bb.2184:
	s_cmp_gt_i32 s13, 0
	s_mov_b32 s13, 0
	s_cbranch_scc0 .LBB55_2186
; %bb.2185:
	global_load_i8 v1, v[4:5], off
	s_wait_loadcnt 0x0
	v_cvt_f16_i16_e32 v11, v1
	s_branch .LBB55_2187
.LBB55_2186:
	s_mov_b32 s13, -1
                                        ; implicit-def: $vgpr11
.LBB55_2187:
	s_delay_alu instid0(SALU_CYCLE_1)
	s_and_not1_b32 vcc_lo, exec_lo, s13
	s_cbranch_vccnz .LBB55_2189
; %bb.2188:
	global_load_u8 v1, v[4:5], off
	s_wait_loadcnt 0x0
	v_cvt_f16_u16_e32 v11, v1
.LBB55_2189:
	s_mov_b32 s18, -1
.LBB55_2190:
	s_delay_alu instid0(SALU_CYCLE_1)
	s_and_not1_b32 vcc_lo, exec_lo, s18
	s_cbranch_vccnz .LBB55_3016
; %bb.2191:
	v_add_nc_u32_e32 v2, s10, v2
	s_cmp_lt_i32 s1, 11
	s_delay_alu instid0(VALU_DEP_1) | instskip(SKIP_1) | instid1(VALU_DEP_1)
	v_ashrrev_i32_e32 v3, 31, v2
	s_wait_xcnt 0x0
	v_add_nc_u64_e32 v[4:5], s[2:3], v[2:3]
	s_cbranch_scc1 .LBB55_2198
; %bb.2192:
	s_and_b32 s13, 0xffff, s1
	s_mov_b32 s17, 0
	s_cmp_gt_i32 s13, 25
	s_cbranch_scc0 .LBB55_2199
; %bb.2193:
	s_cmp_gt_i32 s13, 28
	s_cbranch_scc0 .LBB55_2200
; %bb.2194:
	;; [unrolled: 3-line block ×4, first 2 shown]
	s_cmp_eq_u32 s13, 46
	s_mov_b32 s19, 0
	s_cbranch_scc0 .LBB55_2206
; %bb.2197:
	global_load_b32 v1, v[4:5], off
	s_mov_b32 s16, 0
	s_mov_b32 s18, -1
	s_wait_loadcnt 0x0
	v_lshlrev_b32_e32 v1, 16, v1
	s_delay_alu instid0(VALU_DEP_1)
	v_cvt_f16_f32_e32 v12, v1
	s_branch .LBB55_2208
.LBB55_2198:
	s_mov_b32 s13, -1
	s_mov_b32 s18, 0
                                        ; implicit-def: $vgpr12
	s_branch .LBB55_2274
.LBB55_2199:
	s_mov_b32 s19, -1
	s_mov_b32 s18, 0
	s_mov_b32 s16, 0
                                        ; implicit-def: $vgpr12
	s_branch .LBB55_2237
.LBB55_2200:
	s_mov_b32 s19, -1
	s_mov_b32 s18, 0
	s_mov_b32 s16, 0
                                        ; implicit-def: $vgpr12
	s_branch .LBB55_2218
.LBB55_2201:
	s_mov_b32 s19, -1
	s_mov_b32 s18, 0
	s_mov_b32 s16, 0
                                        ; implicit-def: $vgpr12
	s_branch .LBB55_2213
.LBB55_2202:
	s_or_b32 s12, s12, exec_lo
	s_trap 2
	s_cbranch_execz .LBB55_2139
	s_branch .LBB55_2140
.LBB55_2203:
	s_mov_b32 s19, -1
	s_mov_b32 s18, 0
	s_mov_b32 s16, 0
	s_branch .LBB55_2207
.LBB55_2204:
	s_and_not1_saveexec_b32 s31, s31
	s_cbranch_execz .LBB55_1140
.LBB55_2205:
	v_add_f32_e64 v4, 0x42800000, |v3|
	s_and_not1_b32 s30, s30, exec_lo
	s_delay_alu instid0(VALU_DEP_1) | instskip(NEXT) | instid1(VALU_DEP_1)
	v_and_b32_e32 v4, 0xff, v4
	v_cmp_ne_u32_e32 vcc_lo, 0, v4
	s_and_b32 s33, vcc_lo, exec_lo
	s_delay_alu instid0(SALU_CYCLE_1)
	s_or_b32 s30, s30, s33
	s_or_b32 exec_lo, exec_lo, s31
	v_mov_b32_e32 v5, 0
	s_and_saveexec_b32 s31, s30
	s_cbranch_execnz .LBB55_1141
	s_branch .LBB55_1142
.LBB55_2206:
	s_mov_b32 s16, -1
	s_mov_b32 s18, 0
.LBB55_2207:
                                        ; implicit-def: $vgpr12
.LBB55_2208:
	s_and_b32 vcc_lo, exec_lo, s19
	s_cbranch_vccz .LBB55_2212
; %bb.2209:
	s_cmp_eq_u32 s13, 44
	s_cbranch_scc0 .LBB55_2211
; %bb.2210:
	global_load_u8 v1, v[4:5], off
	s_mov_b32 s16, 0
	s_mov_b32 s18, -1
	s_wait_loadcnt 0x0
	v_lshlrev_b32_e32 v3, 23, v1
	v_cmp_ne_u32_e32 vcc_lo, 0xff, v1
	s_delay_alu instid0(VALU_DEP_2) | instskip(NEXT) | instid1(VALU_DEP_1)
	v_cvt_f16_f32_e32 v3, v3
	v_cndmask_b32_e32 v3, 0x7e00, v3, vcc_lo
	v_cmp_ne_u32_e32 vcc_lo, 0, v1
	s_delay_alu instid0(VALU_DEP_2)
	v_cndmask_b32_e32 v12, 0, v3, vcc_lo
	s_branch .LBB55_2212
.LBB55_2211:
	s_mov_b32 s16, -1
                                        ; implicit-def: $vgpr12
.LBB55_2212:
	s_mov_b32 s19, 0
.LBB55_2213:
	s_delay_alu instid0(SALU_CYCLE_1)
	s_and_b32 vcc_lo, exec_lo, s19
	s_cbranch_vccz .LBB55_2217
; %bb.2214:
	s_cmp_eq_u32 s13, 29
	s_cbranch_scc0 .LBB55_2216
; %bb.2215:
	global_load_b64 v[12:13], v[4:5], off
	s_mov_b32 s16, 0
	s_mov_b32 s18, -1
	s_mov_b32 s19, 0
	s_wait_loadcnt 0x0
	v_clz_i32_u32_e32 v1, v13
	s_delay_alu instid0(VALU_DEP_1) | instskip(NEXT) | instid1(VALU_DEP_1)
	v_min_u32_e32 v1, 32, v1
	v_lshlrev_b64_e32 v[12:13], v1, v[12:13]
	v_sub_nc_u32_e32 v1, 32, v1
	s_delay_alu instid0(VALU_DEP_2) | instskip(NEXT) | instid1(VALU_DEP_1)
	v_min_u32_e32 v3, 1, v12
	v_or_b32_e32 v3, v13, v3
	s_delay_alu instid0(VALU_DEP_1) | instskip(NEXT) | instid1(VALU_DEP_1)
	v_cvt_f32_u32_e32 v3, v3
	v_ldexp_f32 v1, v3, v1
	s_delay_alu instid0(VALU_DEP_1)
	v_cvt_f16_f32_e32 v12, v1
	s_branch .LBB55_2218
.LBB55_2216:
	s_mov_b32 s16, -1
                                        ; implicit-def: $vgpr12
.LBB55_2217:
	s_mov_b32 s19, 0
.LBB55_2218:
	s_delay_alu instid0(SALU_CYCLE_1)
	s_and_b32 vcc_lo, exec_lo, s19
	s_cbranch_vccz .LBB55_2236
; %bb.2219:
	s_cmp_lt_i32 s13, 27
	s_cbranch_scc1 .LBB55_2222
; %bb.2220:
	s_cmp_gt_i32 s13, 27
	s_cbranch_scc0 .LBB55_2223
; %bb.2221:
	global_load_b32 v1, v[4:5], off
	s_mov_b32 s18, 0
	s_wait_loadcnt 0x0
	v_cvt_f32_u32_e32 v1, v1
	s_delay_alu instid0(VALU_DEP_1)
	v_cvt_f16_f32_e32 v12, v1
	s_branch .LBB55_2224
.LBB55_2222:
	s_mov_b32 s18, -1
                                        ; implicit-def: $vgpr12
	s_branch .LBB55_2227
.LBB55_2223:
	s_mov_b32 s18, -1
                                        ; implicit-def: $vgpr12
.LBB55_2224:
	s_delay_alu instid0(SALU_CYCLE_1)
	s_and_not1_b32 vcc_lo, exec_lo, s18
	s_cbranch_vccnz .LBB55_2226
; %bb.2225:
	global_load_u16 v1, v[4:5], off
	s_wait_loadcnt 0x0
	v_cvt_f16_u16_e32 v12, v1
.LBB55_2226:
	s_mov_b32 s18, 0
.LBB55_2227:
	s_delay_alu instid0(SALU_CYCLE_1)
	s_and_not1_b32 vcc_lo, exec_lo, s18
	s_cbranch_vccnz .LBB55_2235
; %bb.2228:
	global_load_u8 v1, v[4:5], off
	s_mov_b32 s18, 0
	s_mov_b32 s19, exec_lo
	s_wait_loadcnt 0x0
	v_cmpx_lt_i16_e32 0x7f, v1
	s_xor_b32 s19, exec_lo, s19
	s_cbranch_execz .LBB55_2249
; %bb.2229:
	s_mov_b32 s18, -1
	s_mov_b32 s20, exec_lo
	v_cmpx_eq_u16_e32 0x80, v1
; %bb.2230:
	s_xor_b32 s18, exec_lo, -1
; %bb.2231:
	s_or_b32 exec_lo, exec_lo, s20
	s_delay_alu instid0(SALU_CYCLE_1)
	s_and_b32 s18, s18, exec_lo
	s_or_saveexec_b32 s19, s19
	v_mov_b32_e32 v12, 0x7e00
	s_xor_b32 exec_lo, exec_lo, s19
	s_cbranch_execnz .LBB55_2250
.LBB55_2232:
	s_or_b32 exec_lo, exec_lo, s19
	s_and_saveexec_b32 s19, s18
	s_cbranch_execz .LBB55_2234
.LBB55_2233:
	v_and_b32_e32 v3, 0xffff, v1
	s_delay_alu instid0(VALU_DEP_1) | instskip(SKIP_1) | instid1(VALU_DEP_2)
	v_and_b32_e32 v12, 7, v3
	v_bfe_u32 v15, v3, 3, 4
	v_clz_i32_u32_e32 v13, v12
	s_delay_alu instid0(VALU_DEP_2) | instskip(NEXT) | instid1(VALU_DEP_2)
	v_cmp_eq_u32_e32 vcc_lo, 0, v15
	v_min_u32_e32 v13, 32, v13
	s_delay_alu instid0(VALU_DEP_1) | instskip(NEXT) | instid1(VALU_DEP_1)
	v_subrev_nc_u32_e32 v14, 28, v13
	v_dual_lshlrev_b32 v3, v14, v3 :: v_dual_sub_nc_u32 v13, 29, v13
	s_delay_alu instid0(VALU_DEP_1) | instskip(NEXT) | instid1(VALU_DEP_1)
	v_dual_lshlrev_b32 v1, 24, v1 :: v_dual_bitop2_b32 v3, 7, v3 bitop3:0x40
	v_dual_cndmask_b32 v3, v12, v3, vcc_lo :: v_dual_cndmask_b32 v13, v15, v13, vcc_lo
	s_delay_alu instid0(VALU_DEP_2) | instskip(NEXT) | instid1(VALU_DEP_2)
	v_and_b32_e32 v1, 0x80000000, v1
	v_lshlrev_b32_e32 v3, 20, v3
	s_delay_alu instid0(VALU_DEP_3) | instskip(NEXT) | instid1(VALU_DEP_1)
	v_lshl_add_u32 v12, v13, 23, 0x3b800000
	v_or3_b32 v1, v1, v12, v3
	s_delay_alu instid0(VALU_DEP_1)
	v_cvt_f16_f32_e32 v12, v1
.LBB55_2234:
	s_or_b32 exec_lo, exec_lo, s19
.LBB55_2235:
	s_mov_b32 s18, -1
.LBB55_2236:
	s_mov_b32 s19, 0
.LBB55_2237:
	s_delay_alu instid0(SALU_CYCLE_1)
	s_and_b32 vcc_lo, exec_lo, s19
	s_cbranch_vccz .LBB55_2270
; %bb.2238:
	s_cmp_gt_i32 s13, 22
	s_cbranch_scc0 .LBB55_2248
; %bb.2239:
	s_cmp_lt_i32 s13, 24
	s_cbranch_scc1 .LBB55_2251
; %bb.2240:
	s_cmp_gt_i32 s13, 24
	s_cbranch_scc0 .LBB55_2252
; %bb.2241:
	global_load_u8 v1, v[4:5], off
	s_mov_b32 s18, exec_lo
	s_wait_loadcnt 0x0
	v_cmpx_lt_i16_e32 0x7f, v1
	s_xor_b32 s18, exec_lo, s18
	s_cbranch_execz .LBB55_2264
; %bb.2242:
	s_mov_b32 s17, -1
	s_mov_b32 s19, exec_lo
	v_cmpx_eq_u16_e32 0x80, v1
; %bb.2243:
	s_xor_b32 s17, exec_lo, -1
; %bb.2244:
	s_or_b32 exec_lo, exec_lo, s19
	s_delay_alu instid0(SALU_CYCLE_1)
	s_and_b32 s17, s17, exec_lo
	s_or_saveexec_b32 s18, s18
	v_mov_b32_e32 v12, 0x7e00
	s_xor_b32 exec_lo, exec_lo, s18
	s_cbranch_execnz .LBB55_2265
.LBB55_2245:
	s_or_b32 exec_lo, exec_lo, s18
	s_and_saveexec_b32 s18, s17
	s_cbranch_execz .LBB55_2247
.LBB55_2246:
	v_and_b32_e32 v3, 0xffff, v1
	s_delay_alu instid0(VALU_DEP_1) | instskip(SKIP_1) | instid1(VALU_DEP_2)
	v_and_b32_e32 v12, 3, v3
	v_bfe_u32 v15, v3, 2, 5
	v_clz_i32_u32_e32 v13, v12
	s_delay_alu instid0(VALU_DEP_2) | instskip(NEXT) | instid1(VALU_DEP_2)
	v_cmp_eq_u32_e32 vcc_lo, 0, v15
	v_min_u32_e32 v13, 32, v13
	s_delay_alu instid0(VALU_DEP_1) | instskip(NEXT) | instid1(VALU_DEP_1)
	v_subrev_nc_u32_e32 v14, 29, v13
	v_dual_lshlrev_b32 v3, v14, v3 :: v_dual_sub_nc_u32 v13, 30, v13
	s_delay_alu instid0(VALU_DEP_1) | instskip(NEXT) | instid1(VALU_DEP_1)
	v_dual_lshlrev_b32 v1, 24, v1 :: v_dual_bitop2_b32 v3, 3, v3 bitop3:0x40
	v_dual_cndmask_b32 v3, v12, v3, vcc_lo :: v_dual_cndmask_b32 v13, v15, v13, vcc_lo
	s_delay_alu instid0(VALU_DEP_2) | instskip(NEXT) | instid1(VALU_DEP_2)
	v_and_b32_e32 v1, 0x80000000, v1
	v_lshlrev_b32_e32 v3, 21, v3
	s_delay_alu instid0(VALU_DEP_3) | instskip(NEXT) | instid1(VALU_DEP_1)
	v_lshl_add_u32 v12, v13, 23, 0x37800000
	v_or3_b32 v1, v1, v12, v3
	s_delay_alu instid0(VALU_DEP_1)
	v_cvt_f16_f32_e32 v12, v1
.LBB55_2247:
	s_or_b32 exec_lo, exec_lo, s18
	s_mov_b32 s17, 0
	s_branch .LBB55_2253
.LBB55_2248:
	s_mov_b32 s17, -1
                                        ; implicit-def: $vgpr12
	s_branch .LBB55_2259
.LBB55_2249:
	s_or_saveexec_b32 s19, s19
	v_mov_b32_e32 v12, 0x7e00
	s_xor_b32 exec_lo, exec_lo, s19
	s_cbranch_execz .LBB55_2232
.LBB55_2250:
	v_cmp_ne_u16_e32 vcc_lo, 0, v1
	v_mov_b32_e32 v12, v1
	s_and_not1_b32 s18, s18, exec_lo
	s_and_b32 s20, vcc_lo, exec_lo
	s_delay_alu instid0(SALU_CYCLE_1)
	s_or_b32 s18, s18, s20
	s_or_b32 exec_lo, exec_lo, s19
	s_and_saveexec_b32 s19, s18
	s_cbranch_execnz .LBB55_2233
	s_branch .LBB55_2234
.LBB55_2251:
	s_mov_b32 s17, -1
                                        ; implicit-def: $vgpr12
	s_branch .LBB55_2256
.LBB55_2252:
	s_mov_b32 s17, -1
                                        ; implicit-def: $vgpr12
.LBB55_2253:
	s_delay_alu instid0(SALU_CYCLE_1)
	s_and_b32 vcc_lo, exec_lo, s17
	s_cbranch_vccz .LBB55_2255
; %bb.2254:
	global_load_u8 v1, v[4:5], off
	s_wait_loadcnt 0x0
	v_lshlrev_b32_e32 v1, 24, v1
	s_delay_alu instid0(VALU_DEP_1) | instskip(NEXT) | instid1(VALU_DEP_1)
	v_and_b32_e32 v3, 0x7f000000, v1
	v_clz_i32_u32_e32 v12, v3
	v_cmp_ne_u32_e32 vcc_lo, 0, v3
	v_add_nc_u32_e32 v14, 0x1000000, v3
	s_delay_alu instid0(VALU_DEP_3) | instskip(NEXT) | instid1(VALU_DEP_1)
	v_min_u32_e32 v12, 32, v12
	v_sub_nc_u32_e64 v12, v12, 4 clamp
	s_delay_alu instid0(VALU_DEP_1) | instskip(NEXT) | instid1(VALU_DEP_1)
	v_dual_lshlrev_b32 v13, v12, v3 :: v_dual_lshlrev_b32 v12, 23, v12
	v_lshrrev_b32_e32 v13, 4, v13
	s_delay_alu instid0(VALU_DEP_1) | instskip(NEXT) | instid1(VALU_DEP_1)
	v_dual_sub_nc_u32 v12, v13, v12 :: v_dual_ashrrev_i32 v13, 8, v14
	v_add_nc_u32_e32 v12, 0x3c000000, v12
	s_delay_alu instid0(VALU_DEP_1) | instskip(NEXT) | instid1(VALU_DEP_1)
	v_and_or_b32 v12, 0x7f800000, v13, v12
	v_cndmask_b32_e32 v3, 0, v12, vcc_lo
	s_delay_alu instid0(VALU_DEP_1) | instskip(NEXT) | instid1(VALU_DEP_1)
	v_and_or_b32 v1, 0x80000000, v1, v3
	v_cvt_f16_f32_e32 v12, v1
.LBB55_2255:
	s_mov_b32 s17, 0
.LBB55_2256:
	s_delay_alu instid0(SALU_CYCLE_1)
	s_and_not1_b32 vcc_lo, exec_lo, s17
	s_cbranch_vccnz .LBB55_2258
; %bb.2257:
	global_load_u8 v1, v[4:5], off
	s_wait_loadcnt 0x0
	v_lshlrev_b32_e32 v3, 25, v1
	v_lshlrev_b16 v1, 8, v1
	s_delay_alu instid0(VALU_DEP_1) | instskip(NEXT) | instid1(VALU_DEP_3)
	v_and_or_b32 v13, 0x7f00, v1, 0.5
	v_lshrrev_b32_e32 v12, 4, v3
	v_bfe_i32 v1, v1, 0, 16
	s_delay_alu instid0(VALU_DEP_3) | instskip(NEXT) | instid1(VALU_DEP_3)
	v_add_f32_e32 v13, -0.5, v13
	v_or_b32_e32 v12, 0x70000000, v12
	s_delay_alu instid0(VALU_DEP_1) | instskip(SKIP_1) | instid1(VALU_DEP_2)
	v_mul_f32_e32 v12, 0x7800000, v12
	v_cmp_gt_u32_e32 vcc_lo, 0x8000000, v3
	v_cndmask_b32_e32 v3, v12, v13, vcc_lo
	s_delay_alu instid0(VALU_DEP_1) | instskip(NEXT) | instid1(VALU_DEP_1)
	v_and_or_b32 v1, 0x80000000, v1, v3
	v_cvt_f16_f32_e32 v12, v1
.LBB55_2258:
	s_mov_b32 s17, 0
	s_mov_b32 s18, -1
.LBB55_2259:
	s_and_not1_b32 vcc_lo, exec_lo, s17
	s_mov_b32 s17, 0
	s_cbranch_vccnz .LBB55_2270
; %bb.2260:
	s_cmp_gt_i32 s13, 14
	s_cbranch_scc0 .LBB55_2263
; %bb.2261:
	s_cmp_eq_u32 s13, 15
	s_cbranch_scc0 .LBB55_2266
; %bb.2262:
	global_load_u16 v1, v[4:5], off
	s_mov_b32 s16, 0
	s_mov_b32 s18, -1
	s_wait_loadcnt 0x0
	v_lshlrev_b32_e32 v1, 16, v1
	s_delay_alu instid0(VALU_DEP_1)
	v_cvt_f16_f32_e32 v12, v1
	s_branch .LBB55_2268
.LBB55_2263:
	s_mov_b32 s17, -1
	s_branch .LBB55_2267
.LBB55_2264:
	s_or_saveexec_b32 s18, s18
	v_mov_b32_e32 v12, 0x7e00
	s_xor_b32 exec_lo, exec_lo, s18
	s_cbranch_execz .LBB55_2245
.LBB55_2265:
	v_cmp_ne_u16_e32 vcc_lo, 0, v1
	v_mov_b32_e32 v12, v1
	s_and_not1_b32 s17, s17, exec_lo
	s_and_b32 s19, vcc_lo, exec_lo
	s_delay_alu instid0(SALU_CYCLE_1)
	s_or_b32 s17, s17, s19
	s_or_b32 exec_lo, exec_lo, s18
	s_and_saveexec_b32 s18, s17
	s_cbranch_execnz .LBB55_2246
	s_branch .LBB55_2247
.LBB55_2266:
	s_mov_b32 s16, -1
.LBB55_2267:
                                        ; implicit-def: $vgpr12
.LBB55_2268:
	s_and_b32 vcc_lo, exec_lo, s17
	s_mov_b32 s17, 0
	s_cbranch_vccz .LBB55_2270
; %bb.2269:
	s_cmp_lg_u32 s13, 11
	s_mov_b32 s17, -1
	s_cselect_b32 s16, -1, 0
.LBB55_2270:
	s_delay_alu instid0(SALU_CYCLE_1)
	s_and_b32 vcc_lo, exec_lo, s16
	s_cbranch_vccnz .LBB55_2335
; %bb.2271:
	s_and_not1_b32 vcc_lo, exec_lo, s17
	s_cbranch_vccnz .LBB55_2273
.LBB55_2272:
	global_load_u8 v1, v[4:5], off
	s_mov_b32 s18, -1
	s_wait_loadcnt 0x0
	v_cmp_ne_u16_e32 vcc_lo, 0, v1
	v_cndmask_b32_e64 v12, 0, 0x3c00, vcc_lo
.LBB55_2273:
	s_mov_b32 s13, 0
.LBB55_2274:
	s_delay_alu instid0(SALU_CYCLE_1)
	s_and_b32 vcc_lo, exec_lo, s13
	s_cbranch_vccz .LBB55_2323
; %bb.2275:
	s_and_b32 s13, 0xffff, s1
	s_delay_alu instid0(SALU_CYCLE_1)
	s_cmp_lt_i32 s13, 5
	s_cbranch_scc1 .LBB55_2280
; %bb.2276:
	s_cmp_lt_i32 s13, 8
	s_cbranch_scc1 .LBB55_2281
; %bb.2277:
	s_cmp_lt_i32 s13, 9
	s_cbranch_scc1 .LBB55_2282
; %bb.2278:
	s_cmp_gt_i32 s13, 9
	s_cbranch_scc0 .LBB55_2283
; %bb.2279:
	global_load_b64 v[12:13], v[4:5], off
	s_mov_b32 s16, 0
	s_wait_loadcnt 0x0
	v_and_or_b32 v1, 0x1ff, v13, v12
	v_lshrrev_b32_e32 v3, 8, v13
	v_bfe_u32 v12, v13, 20, 11
	s_delay_alu instid0(VALU_DEP_3) | instskip(NEXT) | instid1(VALU_DEP_2)
	v_cmp_ne_u32_e32 vcc_lo, 0, v1
	v_sub_nc_u32_e32 v14, 0x3f1, v12
	v_add_nc_u32_e32 v12, 0xfffffc10, v12
	v_cndmask_b32_e64 v1, 0, 1, vcc_lo
	s_delay_alu instid0(VALU_DEP_1) | instskip(NEXT) | instid1(VALU_DEP_4)
	v_and_or_b32 v1, 0xffe, v3, v1
	v_med3_i32 v3, v14, 0, 13
	s_delay_alu instid0(VALU_DEP_2) | instskip(NEXT) | instid1(VALU_DEP_1)
	v_or_b32_e32 v14, 0x1000, v1
	v_lshrrev_b32_e32 v15, v3, v14
	s_delay_alu instid0(VALU_DEP_1) | instskip(NEXT) | instid1(VALU_DEP_1)
	v_lshlrev_b32_e32 v3, v3, v15
	v_cmp_ne_u32_e32 vcc_lo, v3, v14
	v_lshl_or_b32 v14, v12, 12, v1
	v_cndmask_b32_e64 v3, 0, 1, vcc_lo
	v_cmp_gt_i32_e32 vcc_lo, 1, v12
	s_delay_alu instid0(VALU_DEP_2) | instskip(NEXT) | instid1(VALU_DEP_1)
	v_or_b32_e32 v3, v15, v3
	v_cndmask_b32_e32 v3, v14, v3, vcc_lo
	s_delay_alu instid0(VALU_DEP_1) | instskip(NEXT) | instid1(VALU_DEP_1)
	v_dual_lshrrev_b32 v3, 2, v3 :: v_dual_bitop2_b32 v14, 7, v3 bitop3:0x40
	v_cmp_lt_i32_e32 vcc_lo, 5, v14
	v_cndmask_b32_e64 v15, 0, 1, vcc_lo
	v_cmp_eq_u32_e32 vcc_lo, 3, v14
	v_cndmask_b32_e64 v14, 0, 1, vcc_lo
	v_cmp_ne_u32_e32 vcc_lo, 0, v1
	s_delay_alu instid0(VALU_DEP_2) | instskip(SKIP_1) | instid1(VALU_DEP_2)
	v_or_b32_e32 v14, v14, v15
	v_mov_b32_e32 v15, 0x7e00
	v_add_nc_u32_e32 v3, v3, v14
	s_delay_alu instid0(VALU_DEP_2) | instskip(SKIP_1) | instid1(VALU_DEP_3)
	v_cndmask_b32_e32 v1, 0x7c00, v15, vcc_lo
	v_cmp_gt_i32_e32 vcc_lo, 31, v12
	v_cndmask_b32_e32 v3, 0x7c00, v3, vcc_lo
	v_cmp_eq_u32_e32 vcc_lo, 0x40f, v12
	s_delay_alu instid0(VALU_DEP_2) | instskip(SKIP_1) | instid1(VALU_DEP_1)
	v_cndmask_b32_e32 v1, v3, v1, vcc_lo
	v_lshrrev_b32_e32 v3, 16, v13
	v_and_or_b32 v12, 0x8000, v3, v1
	s_branch .LBB55_2284
.LBB55_2280:
	s_mov_b32 s16, -1
                                        ; implicit-def: $vgpr12
	s_branch .LBB55_2302
.LBB55_2281:
	s_mov_b32 s16, -1
                                        ; implicit-def: $vgpr12
	s_branch .LBB55_2290
.LBB55_2282:
	s_mov_b32 s16, -1
                                        ; implicit-def: $vgpr12
	s_branch .LBB55_2287
.LBB55_2283:
	s_mov_b32 s16, -1
                                        ; implicit-def: $vgpr12
.LBB55_2284:
	s_delay_alu instid0(SALU_CYCLE_1)
	s_and_not1_b32 vcc_lo, exec_lo, s16
	s_cbranch_vccnz .LBB55_2286
; %bb.2285:
	global_load_b32 v1, v[4:5], off
	s_wait_loadcnt 0x0
	v_cvt_f16_f32_e32 v12, v1
.LBB55_2286:
	s_mov_b32 s16, 0
.LBB55_2287:
	s_delay_alu instid0(SALU_CYCLE_1)
	s_and_not1_b32 vcc_lo, exec_lo, s16
	s_cbranch_vccnz .LBB55_2289
; %bb.2288:
	global_load_b32 v12, v[4:5], off
.LBB55_2289:
	s_mov_b32 s16, 0
.LBB55_2290:
	s_delay_alu instid0(SALU_CYCLE_1)
	s_and_not1_b32 vcc_lo, exec_lo, s16
	s_cbranch_vccnz .LBB55_2301
; %bb.2291:
	s_cmp_lt_i32 s13, 6
	s_cbranch_scc1 .LBB55_2294
; %bb.2292:
	s_cmp_gt_i32 s13, 6
	s_cbranch_scc0 .LBB55_2295
; %bb.2293:
	s_wait_loadcnt 0x0
	global_load_b64 v[12:13], v[4:5], off
	s_mov_b32 s16, 0
	s_wait_loadcnt 0x0
	v_and_or_b32 v1, 0x1ff, v13, v12
	v_lshrrev_b32_e32 v3, 8, v13
	v_bfe_u32 v12, v13, 20, 11
	s_delay_alu instid0(VALU_DEP_3) | instskip(NEXT) | instid1(VALU_DEP_2)
	v_cmp_ne_u32_e32 vcc_lo, 0, v1
	v_sub_nc_u32_e32 v14, 0x3f1, v12
	v_add_nc_u32_e32 v12, 0xfffffc10, v12
	v_cndmask_b32_e64 v1, 0, 1, vcc_lo
	s_delay_alu instid0(VALU_DEP_1) | instskip(NEXT) | instid1(VALU_DEP_4)
	v_and_or_b32 v1, 0xffe, v3, v1
	v_med3_i32 v3, v14, 0, 13
	s_delay_alu instid0(VALU_DEP_2) | instskip(NEXT) | instid1(VALU_DEP_1)
	v_or_b32_e32 v14, 0x1000, v1
	v_lshrrev_b32_e32 v15, v3, v14
	s_delay_alu instid0(VALU_DEP_1) | instskip(NEXT) | instid1(VALU_DEP_1)
	v_lshlrev_b32_e32 v3, v3, v15
	v_cmp_ne_u32_e32 vcc_lo, v3, v14
	v_lshl_or_b32 v14, v12, 12, v1
	v_cndmask_b32_e64 v3, 0, 1, vcc_lo
	v_cmp_gt_i32_e32 vcc_lo, 1, v12
	s_delay_alu instid0(VALU_DEP_2) | instskip(NEXT) | instid1(VALU_DEP_1)
	v_or_b32_e32 v3, v15, v3
	v_cndmask_b32_e32 v3, v14, v3, vcc_lo
	s_delay_alu instid0(VALU_DEP_1) | instskip(NEXT) | instid1(VALU_DEP_1)
	v_dual_lshrrev_b32 v3, 2, v3 :: v_dual_bitop2_b32 v14, 7, v3 bitop3:0x40
	v_cmp_lt_i32_e32 vcc_lo, 5, v14
	v_cndmask_b32_e64 v15, 0, 1, vcc_lo
	v_cmp_eq_u32_e32 vcc_lo, 3, v14
	v_cndmask_b32_e64 v14, 0, 1, vcc_lo
	v_cmp_ne_u32_e32 vcc_lo, 0, v1
	s_delay_alu instid0(VALU_DEP_2) | instskip(SKIP_1) | instid1(VALU_DEP_2)
	v_or_b32_e32 v14, v14, v15
	v_mov_b32_e32 v15, 0x7e00
	v_add_nc_u32_e32 v3, v3, v14
	s_delay_alu instid0(VALU_DEP_2) | instskip(SKIP_1) | instid1(VALU_DEP_3)
	v_cndmask_b32_e32 v1, 0x7c00, v15, vcc_lo
	v_cmp_gt_i32_e32 vcc_lo, 31, v12
	v_cndmask_b32_e32 v3, 0x7c00, v3, vcc_lo
	v_cmp_eq_u32_e32 vcc_lo, 0x40f, v12
	s_delay_alu instid0(VALU_DEP_2) | instskip(SKIP_1) | instid1(VALU_DEP_1)
	v_cndmask_b32_e32 v1, v3, v1, vcc_lo
	v_lshrrev_b32_e32 v3, 16, v13
	v_and_or_b32 v12, 0x8000, v3, v1
	s_branch .LBB55_2296
.LBB55_2294:
	s_mov_b32 s16, -1
                                        ; implicit-def: $vgpr12
	s_branch .LBB55_2299
.LBB55_2295:
	s_mov_b32 s16, -1
                                        ; implicit-def: $vgpr12
.LBB55_2296:
	s_delay_alu instid0(SALU_CYCLE_1)
	s_and_not1_b32 vcc_lo, exec_lo, s16
	s_cbranch_vccnz .LBB55_2298
; %bb.2297:
	global_load_b32 v1, v[4:5], off
	s_wait_loadcnt 0x0
	v_cvt_f16_f32_e32 v12, v1
.LBB55_2298:
	s_mov_b32 s16, 0
.LBB55_2299:
	s_delay_alu instid0(SALU_CYCLE_1)
	s_and_not1_b32 vcc_lo, exec_lo, s16
	s_cbranch_vccnz .LBB55_2301
; %bb.2300:
	s_wait_loadcnt 0x0
	global_load_u16 v12, v[4:5], off
.LBB55_2301:
	s_mov_b32 s16, 0
.LBB55_2302:
	s_delay_alu instid0(SALU_CYCLE_1)
	s_and_not1_b32 vcc_lo, exec_lo, s16
	s_cbranch_vccnz .LBB55_2322
; %bb.2303:
	s_cmp_lt_i32 s13, 2
	s_cbranch_scc1 .LBB55_2307
; %bb.2304:
	s_cmp_lt_i32 s13, 3
	s_cbranch_scc1 .LBB55_2308
; %bb.2305:
	s_cmp_gt_i32 s13, 3
	s_cbranch_scc0 .LBB55_2309
; %bb.2306:
	s_wait_loadcnt 0x0
	global_load_b64 v[12:13], v[4:5], off
	s_mov_b32 s16, 0
	s_wait_loadcnt 0x0
	v_xor_b32_e32 v1, v12, v13
	v_cls_i32_e32 v3, v13
	s_delay_alu instid0(VALU_DEP_2) | instskip(NEXT) | instid1(VALU_DEP_1)
	v_ashrrev_i32_e32 v1, 31, v1
	v_add_nc_u32_e32 v1, 32, v1
	s_delay_alu instid0(VALU_DEP_1) | instskip(NEXT) | instid1(VALU_DEP_1)
	v_add_min_u32_e64 v1, v3, -1, v1
	v_lshlrev_b64_e32 v[12:13], v1, v[12:13]
	v_sub_nc_u32_e32 v1, 32, v1
	s_delay_alu instid0(VALU_DEP_2) | instskip(NEXT) | instid1(VALU_DEP_1)
	v_min_u32_e32 v3, 1, v12
	v_or_b32_e32 v3, v13, v3
	s_delay_alu instid0(VALU_DEP_1) | instskip(NEXT) | instid1(VALU_DEP_1)
	v_cvt_f32_i32_e32 v3, v3
	v_ldexp_f32 v1, v3, v1
	s_delay_alu instid0(VALU_DEP_1)
	v_cvt_f16_f32_e32 v12, v1
	s_branch .LBB55_2310
.LBB55_2307:
	s_mov_b32 s16, -1
                                        ; implicit-def: $vgpr12
	s_branch .LBB55_2316
.LBB55_2308:
	s_mov_b32 s16, -1
                                        ; implicit-def: $vgpr12
	s_branch .LBB55_2313
.LBB55_2309:
	s_mov_b32 s16, -1
                                        ; implicit-def: $vgpr12
.LBB55_2310:
	s_delay_alu instid0(SALU_CYCLE_1)
	s_and_not1_b32 vcc_lo, exec_lo, s16
	s_cbranch_vccnz .LBB55_2312
; %bb.2311:
	global_load_b32 v1, v[4:5], off
	s_wait_loadcnt 0x0
	v_cvt_f32_i32_e32 v1, v1
	s_delay_alu instid0(VALU_DEP_1)
	v_cvt_f16_f32_e32 v12, v1
.LBB55_2312:
	s_mov_b32 s16, 0
.LBB55_2313:
	s_delay_alu instid0(SALU_CYCLE_1)
	s_and_not1_b32 vcc_lo, exec_lo, s16
	s_cbranch_vccnz .LBB55_2315
; %bb.2314:
	global_load_u16 v1, v[4:5], off
	s_wait_loadcnt 0x0
	v_cvt_f16_i16_e32 v12, v1
.LBB55_2315:
	s_mov_b32 s16, 0
.LBB55_2316:
	s_delay_alu instid0(SALU_CYCLE_1)
	s_and_not1_b32 vcc_lo, exec_lo, s16
	s_cbranch_vccnz .LBB55_2322
; %bb.2317:
	s_cmp_gt_i32 s13, 0
	s_mov_b32 s13, 0
	s_cbranch_scc0 .LBB55_2319
; %bb.2318:
	global_load_i8 v1, v[4:5], off
	s_wait_loadcnt 0x0
	v_cvt_f16_i16_e32 v12, v1
	s_branch .LBB55_2320
.LBB55_2319:
	s_mov_b32 s13, -1
                                        ; implicit-def: $vgpr12
.LBB55_2320:
	s_delay_alu instid0(SALU_CYCLE_1)
	s_and_not1_b32 vcc_lo, exec_lo, s13
	s_cbranch_vccnz .LBB55_2322
; %bb.2321:
	global_load_u8 v1, v[4:5], off
	s_wait_loadcnt 0x0
	v_cvt_f16_u16_e32 v12, v1
.LBB55_2322:
	s_mov_b32 s18, -1
.LBB55_2323:
	s_delay_alu instid0(SALU_CYCLE_1)
	s_and_not1_b32 vcc_lo, exec_lo, s18
	s_cbranch_vccnz .LBB55_3016
; %bb.2324:
	v_add_nc_u32_e32 v0, s9, v0
	s_cmp_lt_i32 s0, 11
	s_delay_alu instid0(VALU_DEP_1) | instskip(NEXT) | instid1(VALU_DEP_1)
	v_ashrrev_i32_e32 v1, 31, v0
	v_add_nc_u64_e32 v[0:1], s[6:7], v[0:1]
	s_cbranch_scc1 .LBB55_2331
; %bb.2325:
	s_and_b32 s6, 0xffff, s0
	s_mov_b32 s9, 0
	s_cmp_gt_i32 s6, 25
	s_cbranch_scc0 .LBB55_2332
; %bb.2326:
	s_cmp_gt_i32 s6, 28
	s_cbranch_scc0 .LBB55_2333
; %bb.2327:
	;; [unrolled: 3-line block ×4, first 2 shown]
	s_cmp_eq_u32 s6, 46
	s_mov_b32 s16, 0
	s_cbranch_scc0 .LBB55_2337
; %bb.2330:
	global_load_b32 v3, v[0:1], off
	s_mov_b32 s7, 0
	s_mov_b32 s13, -1
	s_wait_loadcnt 0x0
	v_lshlrev_b32_e32 v3, 16, v3
	s_wait_xcnt 0x1
	s_delay_alu instid0(VALU_DEP_1)
	v_cvt_f16_f32_e32 v4, v3
	s_branch .LBB55_2339
.LBB55_2331:
	s_mov_b32 s6, -1
	s_mov_b32 s13, 0
                                        ; implicit-def: $vgpr4
	s_branch .LBB55_2405
.LBB55_2332:
	s_mov_b32 s16, -1
	s_mov_b32 s13, 0
	s_mov_b32 s7, 0
                                        ; implicit-def: $vgpr4
	s_branch .LBB55_2368
.LBB55_2333:
	s_mov_b32 s16, -1
	s_mov_b32 s13, 0
	s_mov_b32 s7, 0
                                        ; implicit-def: $vgpr4
	s_branch .LBB55_2349
.LBB55_2334:
	s_mov_b32 s16, -1
	s_mov_b32 s13, 0
	s_mov_b32 s7, 0
                                        ; implicit-def: $vgpr4
	s_branch .LBB55_2344
.LBB55_2335:
	s_or_b32 s12, s12, exec_lo
	s_trap 2
	s_cbranch_execz .LBB55_2272
	s_branch .LBB55_2273
.LBB55_2336:
	s_mov_b32 s16, -1
	s_mov_b32 s13, 0
	s_mov_b32 s7, 0
	s_branch .LBB55_2338
.LBB55_2337:
	s_mov_b32 s7, -1
	s_mov_b32 s13, 0
.LBB55_2338:
                                        ; implicit-def: $vgpr4
.LBB55_2339:
	s_and_b32 vcc_lo, exec_lo, s16
	s_cbranch_vccz .LBB55_2343
; %bb.2340:
	s_cmp_eq_u32 s6, 44
	s_cbranch_scc0 .LBB55_2342
; %bb.2341:
	global_load_u8 v3, v[0:1], off
	s_mov_b32 s7, 0
	s_mov_b32 s13, -1
	s_wait_loadcnt 0x0
	s_wait_xcnt 0x1
	v_lshlrev_b32_e32 v4, 23, v3
	v_cmp_ne_u32_e32 vcc_lo, 0xff, v3
	s_delay_alu instid0(VALU_DEP_2) | instskip(NEXT) | instid1(VALU_DEP_1)
	v_cvt_f16_f32_e32 v4, v4
	v_cndmask_b32_e32 v4, 0x7e00, v4, vcc_lo
	v_cmp_ne_u32_e32 vcc_lo, 0, v3
	s_delay_alu instid0(VALU_DEP_2)
	v_cndmask_b32_e32 v4, 0, v4, vcc_lo
	s_branch .LBB55_2343
.LBB55_2342:
	s_mov_b32 s7, -1
                                        ; implicit-def: $vgpr4
.LBB55_2343:
	s_mov_b32 s16, 0
.LBB55_2344:
	s_delay_alu instid0(SALU_CYCLE_1)
	s_and_b32 vcc_lo, exec_lo, s16
	s_cbranch_vccz .LBB55_2348
; %bb.2345:
	s_cmp_eq_u32 s6, 29
	s_cbranch_scc0 .LBB55_2347
; %bb.2346:
	global_load_b64 v[4:5], v[0:1], off
	s_mov_b32 s7, 0
	s_mov_b32 s13, -1
	s_mov_b32 s16, 0
	s_wait_loadcnt 0x0
	v_clz_i32_u32_e32 v3, v5
	s_delay_alu instid0(VALU_DEP_1) | instskip(NEXT) | instid1(VALU_DEP_1)
	v_min_u32_e32 v3, 32, v3
	v_lshlrev_b64_e32 v[4:5], v3, v[4:5]
	v_sub_nc_u32_e32 v3, 32, v3
	s_delay_alu instid0(VALU_DEP_2) | instskip(NEXT) | instid1(VALU_DEP_1)
	v_min_u32_e32 v4, 1, v4
	v_or_b32_e32 v4, v5, v4
	s_delay_alu instid0(VALU_DEP_1) | instskip(NEXT) | instid1(VALU_DEP_1)
	v_cvt_f32_u32_e32 v4, v4
	v_ldexp_f32 v3, v4, v3
	s_delay_alu instid0(VALU_DEP_1)
	v_cvt_f16_f32_e32 v4, v3
	s_branch .LBB55_2349
.LBB55_2347:
	s_mov_b32 s7, -1
                                        ; implicit-def: $vgpr4
.LBB55_2348:
	s_mov_b32 s16, 0
.LBB55_2349:
	s_delay_alu instid0(SALU_CYCLE_1)
	s_and_b32 vcc_lo, exec_lo, s16
	s_cbranch_vccz .LBB55_2367
; %bb.2350:
	s_cmp_lt_i32 s6, 27
	s_cbranch_scc1 .LBB55_2353
; %bb.2351:
	s_cmp_gt_i32 s6, 27
	s_cbranch_scc0 .LBB55_2354
; %bb.2352:
	global_load_b32 v3, v[0:1], off
	s_mov_b32 s13, 0
	s_wait_loadcnt 0x0
	v_cvt_f32_u32_e32 v3, v3
	s_wait_xcnt 0x1
	s_delay_alu instid0(VALU_DEP_1)
	v_cvt_f16_f32_e32 v4, v3
	s_branch .LBB55_2355
.LBB55_2353:
	s_mov_b32 s13, -1
                                        ; implicit-def: $vgpr4
	s_branch .LBB55_2358
.LBB55_2354:
	s_mov_b32 s13, -1
                                        ; implicit-def: $vgpr4
.LBB55_2355:
	s_delay_alu instid0(SALU_CYCLE_1)
	s_and_not1_b32 vcc_lo, exec_lo, s13
	s_cbranch_vccnz .LBB55_2357
; %bb.2356:
	global_load_u16 v3, v[0:1], off
	s_wait_loadcnt 0x0
	s_wait_xcnt 0x1
	v_cvt_f16_u16_e32 v4, v3
.LBB55_2357:
	s_mov_b32 s13, 0
.LBB55_2358:
	s_delay_alu instid0(SALU_CYCLE_1)
	s_and_not1_b32 vcc_lo, exec_lo, s13
	s_cbranch_vccnz .LBB55_2366
; %bb.2359:
	global_load_u8 v3, v[0:1], off
	s_mov_b32 s13, 0
	s_mov_b32 s16, exec_lo
	s_wait_loadcnt 0x0
	v_cmpx_lt_i16_e32 0x7f, v3
	s_xor_b32 s16, exec_lo, s16
	s_cbranch_execz .LBB55_2380
; %bb.2360:
	s_mov_b32 s13, -1
	s_mov_b32 s17, exec_lo
	v_cmpx_eq_u16_e32 0x80, v3
; %bb.2361:
	s_xor_b32 s13, exec_lo, -1
; %bb.2362:
	s_or_b32 exec_lo, exec_lo, s17
	s_delay_alu instid0(SALU_CYCLE_1)
	s_and_b32 s13, s13, exec_lo
	s_or_saveexec_b32 s16, s16
	v_mov_b32_e32 v4, 0x7e00
	s_xor_b32 exec_lo, exec_lo, s16
	s_cbranch_execnz .LBB55_2381
.LBB55_2363:
	s_or_b32 exec_lo, exec_lo, s16
	s_and_saveexec_b32 s16, s13
	s_cbranch_execz .LBB55_2365
.LBB55_2364:
	v_and_b32_e32 v4, 0xffff, v3
	s_delay_alu instid0(VALU_DEP_1) | instskip(SKIP_1) | instid1(VALU_DEP_2)
	v_and_b32_e32 v5, 7, v4
	v_bfe_u32 v15, v4, 3, 4
	v_clz_i32_u32_e32 v13, v5
	s_delay_alu instid0(VALU_DEP_2) | instskip(NEXT) | instid1(VALU_DEP_2)
	v_cmp_eq_u32_e32 vcc_lo, 0, v15
	v_min_u32_e32 v13, 32, v13
	s_delay_alu instid0(VALU_DEP_1) | instskip(NEXT) | instid1(VALU_DEP_1)
	v_subrev_nc_u32_e32 v14, 28, v13
	v_dual_lshlrev_b32 v4, v14, v4 :: v_dual_sub_nc_u32 v13, 29, v13
	s_delay_alu instid0(VALU_DEP_1) | instskip(NEXT) | instid1(VALU_DEP_1)
	v_dual_lshlrev_b32 v3, 24, v3 :: v_dual_bitop2_b32 v4, 7, v4 bitop3:0x40
	v_dual_cndmask_b32 v13, v15, v13 :: v_dual_cndmask_b32 v4, v5, v4
	s_delay_alu instid0(VALU_DEP_2) | instskip(NEXT) | instid1(VALU_DEP_2)
	v_and_b32_e32 v3, 0x80000000, v3
	v_lshl_add_u32 v5, v13, 23, 0x3b800000
	s_delay_alu instid0(VALU_DEP_3) | instskip(NEXT) | instid1(VALU_DEP_1)
	v_lshlrev_b32_e32 v4, 20, v4
	v_or3_b32 v3, v3, v5, v4
	s_delay_alu instid0(VALU_DEP_1)
	v_cvt_f16_f32_e32 v4, v3
.LBB55_2365:
	s_or_b32 exec_lo, exec_lo, s16
.LBB55_2366:
	s_mov_b32 s13, -1
.LBB55_2367:
	s_mov_b32 s16, 0
.LBB55_2368:
	s_delay_alu instid0(SALU_CYCLE_1)
	s_and_b32 vcc_lo, exec_lo, s16
	s_cbranch_vccz .LBB55_2401
; %bb.2369:
	s_cmp_gt_i32 s6, 22
	s_cbranch_scc0 .LBB55_2379
; %bb.2370:
	s_cmp_lt_i32 s6, 24
	s_cbranch_scc1 .LBB55_2382
; %bb.2371:
	s_cmp_gt_i32 s6, 24
	s_cbranch_scc0 .LBB55_2383
; %bb.2372:
	global_load_u8 v3, v[0:1], off
	s_mov_b32 s13, exec_lo
	s_wait_loadcnt 0x0
	v_cmpx_lt_i16_e32 0x7f, v3
	s_xor_b32 s13, exec_lo, s13
	s_cbranch_execz .LBB55_2395
; %bb.2373:
	s_mov_b32 s9, -1
	s_mov_b32 s16, exec_lo
	v_cmpx_eq_u16_e32 0x80, v3
; %bb.2374:
	s_xor_b32 s9, exec_lo, -1
; %bb.2375:
	s_or_b32 exec_lo, exec_lo, s16
	s_delay_alu instid0(SALU_CYCLE_1)
	s_and_b32 s9, s9, exec_lo
	s_or_saveexec_b32 s13, s13
	v_mov_b32_e32 v4, 0x7e00
	s_xor_b32 exec_lo, exec_lo, s13
	s_cbranch_execnz .LBB55_2396
.LBB55_2376:
	s_or_b32 exec_lo, exec_lo, s13
	s_and_saveexec_b32 s13, s9
	s_cbranch_execz .LBB55_2378
.LBB55_2377:
	v_and_b32_e32 v4, 0xffff, v3
	s_delay_alu instid0(VALU_DEP_1) | instskip(SKIP_1) | instid1(VALU_DEP_2)
	v_and_b32_e32 v5, 3, v4
	v_bfe_u32 v15, v4, 2, 5
	v_clz_i32_u32_e32 v13, v5
	s_delay_alu instid0(VALU_DEP_2) | instskip(NEXT) | instid1(VALU_DEP_2)
	v_cmp_eq_u32_e32 vcc_lo, 0, v15
	v_min_u32_e32 v13, 32, v13
	s_delay_alu instid0(VALU_DEP_1) | instskip(NEXT) | instid1(VALU_DEP_1)
	v_subrev_nc_u32_e32 v14, 29, v13
	v_dual_lshlrev_b32 v4, v14, v4 :: v_dual_sub_nc_u32 v13, 30, v13
	s_delay_alu instid0(VALU_DEP_1) | instskip(NEXT) | instid1(VALU_DEP_1)
	v_dual_lshlrev_b32 v3, 24, v3 :: v_dual_bitop2_b32 v4, 3, v4 bitop3:0x40
	v_dual_cndmask_b32 v13, v15, v13 :: v_dual_cndmask_b32 v4, v5, v4
	s_delay_alu instid0(VALU_DEP_2) | instskip(NEXT) | instid1(VALU_DEP_2)
	v_and_b32_e32 v3, 0x80000000, v3
	v_lshl_add_u32 v5, v13, 23, 0x37800000
	s_delay_alu instid0(VALU_DEP_3) | instskip(NEXT) | instid1(VALU_DEP_1)
	v_lshlrev_b32_e32 v4, 21, v4
	v_or3_b32 v3, v3, v5, v4
	s_delay_alu instid0(VALU_DEP_1)
	v_cvt_f16_f32_e32 v4, v3
.LBB55_2378:
	s_or_b32 exec_lo, exec_lo, s13
	s_mov_b32 s9, 0
	s_branch .LBB55_2384
.LBB55_2379:
	s_mov_b32 s9, -1
                                        ; implicit-def: $vgpr4
	s_branch .LBB55_2390
.LBB55_2380:
	s_or_saveexec_b32 s16, s16
	v_mov_b32_e32 v4, 0x7e00
	s_xor_b32 exec_lo, exec_lo, s16
	s_cbranch_execz .LBB55_2363
.LBB55_2381:
	v_cmp_ne_u16_e32 vcc_lo, 0, v3
	v_mov_b32_e32 v4, v3
	s_and_not1_b32 s13, s13, exec_lo
	s_and_b32 s17, vcc_lo, exec_lo
	s_delay_alu instid0(SALU_CYCLE_1)
	s_or_b32 s13, s13, s17
	s_or_b32 exec_lo, exec_lo, s16
	s_and_saveexec_b32 s16, s13
	s_cbranch_execnz .LBB55_2364
	s_branch .LBB55_2365
.LBB55_2382:
	s_mov_b32 s9, -1
                                        ; implicit-def: $vgpr4
	s_branch .LBB55_2387
.LBB55_2383:
	s_mov_b32 s9, -1
                                        ; implicit-def: $vgpr4
.LBB55_2384:
	s_delay_alu instid0(SALU_CYCLE_1)
	s_and_b32 vcc_lo, exec_lo, s9
	s_cbranch_vccz .LBB55_2386
; %bb.2385:
	global_load_u8 v3, v[0:1], off
	s_wait_loadcnt 0x0
	v_lshlrev_b32_e32 v3, 24, v3
	s_wait_xcnt 0x1
	s_delay_alu instid0(VALU_DEP_1) | instskip(NEXT) | instid1(VALU_DEP_1)
	v_and_b32_e32 v4, 0x7f000000, v3
	v_clz_i32_u32_e32 v5, v4
	v_add_nc_u32_e32 v14, 0x1000000, v4
	v_cmp_ne_u32_e32 vcc_lo, 0, v4
	s_delay_alu instid0(VALU_DEP_3) | instskip(NEXT) | instid1(VALU_DEP_1)
	v_min_u32_e32 v5, 32, v5
	v_sub_nc_u32_e64 v5, v5, 4 clamp
	s_delay_alu instid0(VALU_DEP_1) | instskip(NEXT) | instid1(VALU_DEP_1)
	v_dual_lshlrev_b32 v13, v5, v4 :: v_dual_lshlrev_b32 v5, 23, v5
	v_lshrrev_b32_e32 v13, 4, v13
	s_delay_alu instid0(VALU_DEP_1) | instskip(NEXT) | instid1(VALU_DEP_1)
	v_dual_sub_nc_u32 v5, v13, v5 :: v_dual_ashrrev_i32 v13, 8, v14
	v_add_nc_u32_e32 v5, 0x3c000000, v5
	s_delay_alu instid0(VALU_DEP_1) | instskip(NEXT) | instid1(VALU_DEP_1)
	v_and_or_b32 v5, 0x7f800000, v13, v5
	v_cndmask_b32_e32 v4, 0, v5, vcc_lo
	s_delay_alu instid0(VALU_DEP_1) | instskip(NEXT) | instid1(VALU_DEP_1)
	v_and_or_b32 v3, 0x80000000, v3, v4
	v_cvt_f16_f32_e32 v4, v3
.LBB55_2386:
	s_mov_b32 s9, 0
.LBB55_2387:
	s_delay_alu instid0(SALU_CYCLE_1)
	s_and_not1_b32 vcc_lo, exec_lo, s9
	s_cbranch_vccnz .LBB55_2389
; %bb.2388:
	global_load_u8 v3, v[0:1], off
	s_wait_loadcnt 0x0
	s_wait_xcnt 0x1
	v_lshlrev_b32_e32 v4, 25, v3
	v_lshlrev_b16 v3, 8, v3
	s_delay_alu instid0(VALU_DEP_1) | instskip(SKIP_1) | instid1(VALU_DEP_2)
	v_and_or_b32 v13, 0x7f00, v3, 0.5
	v_bfe_i32 v3, v3, 0, 16
	v_dual_add_f32 v13, -0.5, v13 :: v_dual_lshrrev_b32 v5, 4, v4
	v_cmp_gt_u32_e32 vcc_lo, 0x8000000, v4
	s_delay_alu instid0(VALU_DEP_2) | instskip(NEXT) | instid1(VALU_DEP_1)
	v_or_b32_e32 v5, 0x70000000, v5
	v_mul_f32_e32 v5, 0x7800000, v5
	s_delay_alu instid0(VALU_DEP_1) | instskip(NEXT) | instid1(VALU_DEP_1)
	v_cndmask_b32_e32 v4, v5, v13, vcc_lo
	v_and_or_b32 v3, 0x80000000, v3, v4
	s_delay_alu instid0(VALU_DEP_1)
	v_cvt_f16_f32_e32 v4, v3
.LBB55_2389:
	s_mov_b32 s9, 0
	s_mov_b32 s13, -1
.LBB55_2390:
	s_and_not1_b32 vcc_lo, exec_lo, s9
	s_mov_b32 s9, 0
	s_cbranch_vccnz .LBB55_2401
; %bb.2391:
	s_cmp_gt_i32 s6, 14
	s_cbranch_scc0 .LBB55_2394
; %bb.2392:
	s_cmp_eq_u32 s6, 15
	s_cbranch_scc0 .LBB55_2397
; %bb.2393:
	global_load_u16 v3, v[0:1], off
	s_mov_b32 s7, 0
	s_mov_b32 s13, -1
	s_wait_loadcnt 0x0
	v_lshlrev_b32_e32 v3, 16, v3
	s_wait_xcnt 0x1
	s_delay_alu instid0(VALU_DEP_1)
	v_cvt_f16_f32_e32 v4, v3
	s_branch .LBB55_2399
.LBB55_2394:
	s_mov_b32 s9, -1
	s_branch .LBB55_2398
.LBB55_2395:
	s_or_saveexec_b32 s13, s13
	v_mov_b32_e32 v4, 0x7e00
	s_xor_b32 exec_lo, exec_lo, s13
	s_cbranch_execz .LBB55_2376
.LBB55_2396:
	v_cmp_ne_u16_e32 vcc_lo, 0, v3
	v_mov_b32_e32 v4, v3
	s_and_not1_b32 s9, s9, exec_lo
	s_and_b32 s16, vcc_lo, exec_lo
	s_delay_alu instid0(SALU_CYCLE_1)
	s_or_b32 s9, s9, s16
	s_or_b32 exec_lo, exec_lo, s13
	s_and_saveexec_b32 s13, s9
	s_cbranch_execnz .LBB55_2377
	s_branch .LBB55_2378
.LBB55_2397:
	s_mov_b32 s7, -1
.LBB55_2398:
                                        ; implicit-def: $vgpr4
.LBB55_2399:
	s_and_b32 vcc_lo, exec_lo, s9
	s_mov_b32 s9, 0
	s_cbranch_vccz .LBB55_2401
; %bb.2400:
	s_cmp_lg_u32 s6, 11
	s_mov_b32 s9, -1
	s_cselect_b32 s7, -1, 0
.LBB55_2401:
	s_delay_alu instid0(SALU_CYCLE_1)
	s_and_b32 vcc_lo, exec_lo, s7
	s_cbranch_vccnz .LBB55_2466
; %bb.2402:
	s_and_not1_b32 vcc_lo, exec_lo, s9
	s_cbranch_vccnz .LBB55_2404
.LBB55_2403:
	global_load_u8 v3, v[0:1], off
	s_mov_b32 s13, -1
	s_wait_loadcnt 0x0
	v_cmp_ne_u16_e32 vcc_lo, 0, v3
	s_wait_xcnt 0x1
	v_cndmask_b32_e64 v4, 0, 0x3c00, vcc_lo
.LBB55_2404:
	s_mov_b32 s6, 0
.LBB55_2405:
	s_delay_alu instid0(SALU_CYCLE_1)
	s_and_b32 vcc_lo, exec_lo, s6
	s_cbranch_vccz .LBB55_2454
; %bb.2406:
	s_and_b32 s0, 0xffff, s0
	s_delay_alu instid0(SALU_CYCLE_1)
	s_cmp_lt_i32 s0, 5
	s_cbranch_scc1 .LBB55_2411
; %bb.2407:
	s_cmp_lt_i32 s0, 8
	s_cbranch_scc1 .LBB55_2412
; %bb.2408:
	;; [unrolled: 3-line block ×3, first 2 shown]
	s_cmp_gt_i32 s0, 9
	s_cbranch_scc0 .LBB55_2414
; %bb.2410:
	global_load_b64 v[4:5], v[0:1], off
	s_mov_b32 s6, 0
	s_wait_loadcnt 0x0
	v_and_or_b32 v3, 0x1ff, v5, v4
	v_lshrrev_b32_e32 v4, 8, v5
	v_bfe_u32 v13, v5, 20, 11
	s_delay_alu instid0(VALU_DEP_3) | instskip(NEXT) | instid1(VALU_DEP_2)
	v_cmp_ne_u32_e32 vcc_lo, 0, v3
	v_sub_nc_u32_e32 v14, 0x3f1, v13
	v_add_nc_u32_e32 v13, 0xfffffc10, v13
	v_cndmask_b32_e64 v3, 0, 1, vcc_lo
	s_delay_alu instid0(VALU_DEP_1) | instskip(NEXT) | instid1(VALU_DEP_4)
	v_and_or_b32 v3, 0xffe, v4, v3
	v_med3_i32 v4, v14, 0, 13
	s_delay_alu instid0(VALU_DEP_2) | instskip(NEXT) | instid1(VALU_DEP_1)
	v_or_b32_e32 v14, 0x1000, v3
	v_lshrrev_b32_e32 v15, v4, v14
	s_delay_alu instid0(VALU_DEP_1) | instskip(NEXT) | instid1(VALU_DEP_1)
	v_lshlrev_b32_e32 v4, v4, v15
	v_cmp_ne_u32_e32 vcc_lo, v4, v14
	v_lshl_or_b32 v14, v13, 12, v3
	v_cndmask_b32_e64 v4, 0, 1, vcc_lo
	v_cmp_gt_i32_e32 vcc_lo, 1, v13
	s_delay_alu instid0(VALU_DEP_2) | instskip(NEXT) | instid1(VALU_DEP_1)
	v_or_b32_e32 v4, v15, v4
	v_cndmask_b32_e32 v4, v14, v4, vcc_lo
	s_delay_alu instid0(VALU_DEP_1) | instskip(NEXT) | instid1(VALU_DEP_1)
	v_dual_lshrrev_b32 v4, 2, v4 :: v_dual_bitop2_b32 v14, 7, v4 bitop3:0x40
	v_cmp_lt_i32_e32 vcc_lo, 5, v14
	v_cndmask_b32_e64 v15, 0, 1, vcc_lo
	v_cmp_eq_u32_e32 vcc_lo, 3, v14
	v_cndmask_b32_e64 v14, 0, 1, vcc_lo
	v_cmp_ne_u32_e32 vcc_lo, 0, v3
	s_delay_alu instid0(VALU_DEP_2) | instskip(NEXT) | instid1(VALU_DEP_1)
	v_or_b32_e32 v14, v14, v15
	v_dual_mov_b32 v15, 0x7e00 :: v_dual_add_nc_u32 v4, v4, v14
	s_delay_alu instid0(VALU_DEP_1) | instskip(SKIP_1) | instid1(VALU_DEP_3)
	v_cndmask_b32_e32 v3, 0x7c00, v15, vcc_lo
	v_cmp_gt_i32_e32 vcc_lo, 31, v13
	v_cndmask_b32_e32 v4, 0x7c00, v4, vcc_lo
	v_cmp_eq_u32_e32 vcc_lo, 0x40f, v13
	s_delay_alu instid0(VALU_DEP_2) | instskip(NEXT) | instid1(VALU_DEP_1)
	v_dual_cndmask_b32 v3, v4, v3 :: v_dual_lshrrev_b32 v4, 16, v5
	v_and_or_b32 v4, 0x8000, v4, v3
	s_branch .LBB55_2415
.LBB55_2411:
	s_mov_b32 s6, -1
                                        ; implicit-def: $vgpr4
	s_branch .LBB55_2433
.LBB55_2412:
	s_mov_b32 s6, -1
                                        ; implicit-def: $vgpr4
	s_branch .LBB55_2421
.LBB55_2413:
	s_mov_b32 s6, -1
                                        ; implicit-def: $vgpr4
	s_branch .LBB55_2418
.LBB55_2414:
	s_mov_b32 s6, -1
                                        ; implicit-def: $vgpr4
.LBB55_2415:
	s_delay_alu instid0(SALU_CYCLE_1)
	s_and_not1_b32 vcc_lo, exec_lo, s6
	s_cbranch_vccnz .LBB55_2417
; %bb.2416:
	global_load_b32 v3, v[0:1], off
	s_wait_loadcnt 0x0
	s_wait_xcnt 0x1
	v_cvt_f16_f32_e32 v4, v3
.LBB55_2417:
	s_mov_b32 s6, 0
.LBB55_2418:
	s_delay_alu instid0(SALU_CYCLE_1)
	s_and_not1_b32 vcc_lo, exec_lo, s6
	s_cbranch_vccnz .LBB55_2420
; %bb.2419:
	global_load_b32 v4, v[0:1], off
.LBB55_2420:
	s_mov_b32 s6, 0
.LBB55_2421:
	s_delay_alu instid0(SALU_CYCLE_1)
	s_and_not1_b32 vcc_lo, exec_lo, s6
	s_cbranch_vccnz .LBB55_2432
; %bb.2422:
	s_cmp_lt_i32 s0, 6
	s_cbranch_scc1 .LBB55_2425
; %bb.2423:
	s_cmp_gt_i32 s0, 6
	s_cbranch_scc0 .LBB55_2426
; %bb.2424:
	s_wait_loadcnt 0x0
	global_load_b64 v[4:5], v[0:1], off
	s_mov_b32 s6, 0
	s_wait_loadcnt 0x0
	v_and_or_b32 v3, 0x1ff, v5, v4
	v_lshrrev_b32_e32 v4, 8, v5
	v_bfe_u32 v13, v5, 20, 11
	s_delay_alu instid0(VALU_DEP_3) | instskip(NEXT) | instid1(VALU_DEP_2)
	v_cmp_ne_u32_e32 vcc_lo, 0, v3
	v_sub_nc_u32_e32 v14, 0x3f1, v13
	v_add_nc_u32_e32 v13, 0xfffffc10, v13
	v_cndmask_b32_e64 v3, 0, 1, vcc_lo
	s_delay_alu instid0(VALU_DEP_1) | instskip(NEXT) | instid1(VALU_DEP_4)
	v_and_or_b32 v3, 0xffe, v4, v3
	v_med3_i32 v4, v14, 0, 13
	s_delay_alu instid0(VALU_DEP_2) | instskip(NEXT) | instid1(VALU_DEP_1)
	v_or_b32_e32 v14, 0x1000, v3
	v_lshrrev_b32_e32 v15, v4, v14
	s_delay_alu instid0(VALU_DEP_1) | instskip(NEXT) | instid1(VALU_DEP_1)
	v_lshlrev_b32_e32 v4, v4, v15
	v_cmp_ne_u32_e32 vcc_lo, v4, v14
	v_lshl_or_b32 v14, v13, 12, v3
	v_cndmask_b32_e64 v4, 0, 1, vcc_lo
	v_cmp_gt_i32_e32 vcc_lo, 1, v13
	s_delay_alu instid0(VALU_DEP_2) | instskip(NEXT) | instid1(VALU_DEP_1)
	v_or_b32_e32 v4, v15, v4
	v_cndmask_b32_e32 v4, v14, v4, vcc_lo
	s_delay_alu instid0(VALU_DEP_1) | instskip(NEXT) | instid1(VALU_DEP_1)
	v_dual_lshrrev_b32 v4, 2, v4 :: v_dual_bitop2_b32 v14, 7, v4 bitop3:0x40
	v_cmp_lt_i32_e32 vcc_lo, 5, v14
	v_cndmask_b32_e64 v15, 0, 1, vcc_lo
	v_cmp_eq_u32_e32 vcc_lo, 3, v14
	v_cndmask_b32_e64 v14, 0, 1, vcc_lo
	v_cmp_ne_u32_e32 vcc_lo, 0, v3
	s_delay_alu instid0(VALU_DEP_2) | instskip(NEXT) | instid1(VALU_DEP_1)
	v_or_b32_e32 v14, v14, v15
	v_dual_mov_b32 v15, 0x7e00 :: v_dual_add_nc_u32 v4, v4, v14
	s_delay_alu instid0(VALU_DEP_1) | instskip(SKIP_1) | instid1(VALU_DEP_3)
	v_cndmask_b32_e32 v3, 0x7c00, v15, vcc_lo
	v_cmp_gt_i32_e32 vcc_lo, 31, v13
	v_cndmask_b32_e32 v4, 0x7c00, v4, vcc_lo
	v_cmp_eq_u32_e32 vcc_lo, 0x40f, v13
	s_delay_alu instid0(VALU_DEP_2) | instskip(NEXT) | instid1(VALU_DEP_1)
	v_dual_cndmask_b32 v3, v4, v3 :: v_dual_lshrrev_b32 v4, 16, v5
	v_and_or_b32 v4, 0x8000, v4, v3
	s_branch .LBB55_2427
.LBB55_2425:
	s_mov_b32 s6, -1
                                        ; implicit-def: $vgpr4
	s_branch .LBB55_2430
.LBB55_2426:
	s_mov_b32 s6, -1
                                        ; implicit-def: $vgpr4
.LBB55_2427:
	s_delay_alu instid0(SALU_CYCLE_1)
	s_and_not1_b32 vcc_lo, exec_lo, s6
	s_cbranch_vccnz .LBB55_2429
; %bb.2428:
	global_load_b32 v3, v[0:1], off
	s_wait_loadcnt 0x0
	s_wait_xcnt 0x1
	v_cvt_f16_f32_e32 v4, v3
.LBB55_2429:
	s_mov_b32 s6, 0
.LBB55_2430:
	s_delay_alu instid0(SALU_CYCLE_1)
	s_and_not1_b32 vcc_lo, exec_lo, s6
	s_cbranch_vccnz .LBB55_2432
; %bb.2431:
	s_wait_loadcnt 0x0
	global_load_u16 v4, v[0:1], off
.LBB55_2432:
	s_mov_b32 s6, 0
.LBB55_2433:
	s_delay_alu instid0(SALU_CYCLE_1)
	s_and_not1_b32 vcc_lo, exec_lo, s6
	s_cbranch_vccnz .LBB55_2453
; %bb.2434:
	s_cmp_lt_i32 s0, 2
	s_cbranch_scc1 .LBB55_2438
; %bb.2435:
	s_cmp_lt_i32 s0, 3
	s_cbranch_scc1 .LBB55_2439
; %bb.2436:
	s_cmp_gt_i32 s0, 3
	s_cbranch_scc0 .LBB55_2440
; %bb.2437:
	s_wait_loadcnt 0x0
	global_load_b64 v[4:5], v[0:1], off
	s_mov_b32 s6, 0
	s_wait_loadcnt 0x0
	v_xor_b32_e32 v3, v4, v5
	v_cls_i32_e32 v13, v5
	s_delay_alu instid0(VALU_DEP_2) | instskip(NEXT) | instid1(VALU_DEP_1)
	v_ashrrev_i32_e32 v3, 31, v3
	v_add_nc_u32_e32 v3, 32, v3
	s_delay_alu instid0(VALU_DEP_1) | instskip(NEXT) | instid1(VALU_DEP_1)
	v_add_min_u32_e64 v3, v13, -1, v3
	v_lshlrev_b64_e32 v[4:5], v3, v[4:5]
	v_sub_nc_u32_e32 v3, 32, v3
	s_delay_alu instid0(VALU_DEP_2) | instskip(NEXT) | instid1(VALU_DEP_1)
	v_min_u32_e32 v4, 1, v4
	v_or_b32_e32 v4, v5, v4
	s_delay_alu instid0(VALU_DEP_1) | instskip(NEXT) | instid1(VALU_DEP_1)
	v_cvt_f32_i32_e32 v4, v4
	v_ldexp_f32 v3, v4, v3
	s_delay_alu instid0(VALU_DEP_1)
	v_cvt_f16_f32_e32 v4, v3
	s_branch .LBB55_2441
.LBB55_2438:
	s_mov_b32 s6, -1
                                        ; implicit-def: $vgpr4
	s_branch .LBB55_2447
.LBB55_2439:
	s_mov_b32 s6, -1
                                        ; implicit-def: $vgpr4
	s_branch .LBB55_2444
.LBB55_2440:
	s_mov_b32 s6, -1
                                        ; implicit-def: $vgpr4
.LBB55_2441:
	s_delay_alu instid0(SALU_CYCLE_1)
	s_and_not1_b32 vcc_lo, exec_lo, s6
	s_cbranch_vccnz .LBB55_2443
; %bb.2442:
	global_load_b32 v3, v[0:1], off
	s_wait_loadcnt 0x0
	v_cvt_f32_i32_e32 v3, v3
	s_wait_xcnt 0x1
	s_delay_alu instid0(VALU_DEP_1)
	v_cvt_f16_f32_e32 v4, v3
.LBB55_2443:
	s_mov_b32 s6, 0
.LBB55_2444:
	s_delay_alu instid0(SALU_CYCLE_1)
	s_and_not1_b32 vcc_lo, exec_lo, s6
	s_cbranch_vccnz .LBB55_2446
; %bb.2445:
	global_load_u16 v3, v[0:1], off
	s_wait_loadcnt 0x0
	s_wait_xcnt 0x1
	v_cvt_f16_i16_e32 v4, v3
.LBB55_2446:
	s_mov_b32 s6, 0
.LBB55_2447:
	s_delay_alu instid0(SALU_CYCLE_1)
	s_and_not1_b32 vcc_lo, exec_lo, s6
	s_cbranch_vccnz .LBB55_2453
; %bb.2448:
	s_cmp_gt_i32 s0, 0
	s_mov_b32 s0, 0
	s_cbranch_scc0 .LBB55_2450
; %bb.2449:
	global_load_i8 v3, v[0:1], off
	s_wait_loadcnt 0x0
	s_wait_xcnt 0x1
	v_cvt_f16_i16_e32 v4, v3
	s_branch .LBB55_2451
.LBB55_2450:
	s_mov_b32 s0, -1
                                        ; implicit-def: $vgpr4
.LBB55_2451:
	s_delay_alu instid0(SALU_CYCLE_1)
	s_and_not1_b32 vcc_lo, exec_lo, s0
	s_cbranch_vccnz .LBB55_2453
; %bb.2452:
	global_load_u8 v0, v[0:1], off
	s_wait_loadcnt 0x0
	v_cvt_f16_u16_e32 v4, v0
.LBB55_2453:
	s_mov_b32 s13, -1
.LBB55_2454:
	s_delay_alu instid0(SALU_CYCLE_1)
	s_and_not1_b32 vcc_lo, exec_lo, s13
	s_cbranch_vccnz .LBB55_3016
; %bb.2455:
	s_wait_xcnt 0x0
	v_add_nc_u32_e32 v0, s10, v2
	s_cmp_lt_i32 s1, 11
	s_delay_alu instid0(VALU_DEP_1) | instskip(NEXT) | instid1(VALU_DEP_1)
	v_ashrrev_i32_e32 v1, 31, v0
	v_add_nc_u64_e32 v[0:1], s[2:3], v[0:1]
	s_cbranch_scc1 .LBB55_2462
; %bb.2456:
	s_and_b32 s0, 0xffff, s1
	s_mov_b32 s3, 0
	s_cmp_gt_i32 s0, 25
	s_cbranch_scc0 .LBB55_2463
; %bb.2457:
	s_cmp_gt_i32 s0, 28
	s_cbranch_scc0 .LBB55_2464
; %bb.2458:
	;; [unrolled: 3-line block ×4, first 2 shown]
	s_cmp_eq_u32 s0, 46
	s_mov_b32 s7, 0
	s_cbranch_scc0 .LBB55_2468
; %bb.2461:
	global_load_b32 v2, v[0:1], off
	s_mov_b32 s2, 0
	s_mov_b32 s6, -1
	s_wait_loadcnt 0x0
	v_lshlrev_b32_e32 v2, 16, v2
	s_delay_alu instid0(VALU_DEP_1)
	v_cvt_f16_f32_e32 v5, v2
	s_branch .LBB55_2470
.LBB55_2462:
	s_mov_b32 s0, -1
	s_mov_b32 s6, 0
                                        ; implicit-def: $vgpr5
	s_branch .LBB55_2536
.LBB55_2463:
	s_mov_b32 s7, -1
	s_mov_b32 s6, 0
	s_mov_b32 s2, 0
                                        ; implicit-def: $vgpr5
	s_branch .LBB55_2499
.LBB55_2464:
	s_mov_b32 s7, -1
	s_mov_b32 s6, 0
	s_mov_b32 s2, 0
                                        ; implicit-def: $vgpr5
	s_branch .LBB55_2480
.LBB55_2465:
	s_mov_b32 s7, -1
	s_mov_b32 s6, 0
	s_mov_b32 s2, 0
                                        ; implicit-def: $vgpr5
	s_branch .LBB55_2475
.LBB55_2466:
	s_or_b32 s12, s12, exec_lo
	s_trap 2
	s_cbranch_execz .LBB55_2403
	s_branch .LBB55_2404
.LBB55_2467:
	s_mov_b32 s7, -1
	s_mov_b32 s6, 0
	s_mov_b32 s2, 0
	s_branch .LBB55_2469
.LBB55_2468:
	s_mov_b32 s2, -1
	s_mov_b32 s6, 0
.LBB55_2469:
                                        ; implicit-def: $vgpr5
.LBB55_2470:
	s_and_b32 vcc_lo, exec_lo, s7
	s_cbranch_vccz .LBB55_2474
; %bb.2471:
	s_cmp_eq_u32 s0, 44
	s_cbranch_scc0 .LBB55_2473
; %bb.2472:
	global_load_u8 v2, v[0:1], off
	s_mov_b32 s2, 0
	s_mov_b32 s6, -1
	s_wait_loadcnt 0x0
	v_lshlrev_b32_e32 v3, 23, v2
	v_cmp_ne_u32_e32 vcc_lo, 0xff, v2
	s_delay_alu instid0(VALU_DEP_2) | instskip(NEXT) | instid1(VALU_DEP_1)
	v_cvt_f16_f32_e32 v3, v3
	v_cndmask_b32_e32 v3, 0x7e00, v3, vcc_lo
	v_cmp_ne_u32_e32 vcc_lo, 0, v2
	s_delay_alu instid0(VALU_DEP_2)
	v_cndmask_b32_e32 v5, 0, v3, vcc_lo
	s_branch .LBB55_2474
.LBB55_2473:
	s_mov_b32 s2, -1
                                        ; implicit-def: $vgpr5
.LBB55_2474:
	s_mov_b32 s7, 0
.LBB55_2475:
	s_delay_alu instid0(SALU_CYCLE_1)
	s_and_b32 vcc_lo, exec_lo, s7
	s_cbranch_vccz .LBB55_2479
; %bb.2476:
	s_cmp_eq_u32 s0, 29
	s_cbranch_scc0 .LBB55_2478
; %bb.2477:
	global_load_b64 v[2:3], v[0:1], off
	s_mov_b32 s2, 0
	s_mov_b32 s6, -1
	s_mov_b32 s7, 0
	s_wait_loadcnt 0x0
	v_clz_i32_u32_e32 v5, v3
	s_delay_alu instid0(VALU_DEP_1) | instskip(NEXT) | instid1(VALU_DEP_1)
	v_min_u32_e32 v5, 32, v5
	v_lshlrev_b64_e32 v[2:3], v5, v[2:3]
	s_delay_alu instid0(VALU_DEP_1) | instskip(NEXT) | instid1(VALU_DEP_1)
	v_min_u32_e32 v2, 1, v2
	v_dual_sub_nc_u32 v3, 32, v5 :: v_dual_bitop2_b32 v2, v3, v2 bitop3:0x54
	s_delay_alu instid0(VALU_DEP_1) | instskip(NEXT) | instid1(VALU_DEP_1)
	v_cvt_f32_u32_e32 v2, v2
	v_ldexp_f32 v2, v2, v3
	s_delay_alu instid0(VALU_DEP_1)
	v_cvt_f16_f32_e32 v5, v2
	s_branch .LBB55_2480
.LBB55_2478:
	s_mov_b32 s2, -1
                                        ; implicit-def: $vgpr5
.LBB55_2479:
	s_mov_b32 s7, 0
.LBB55_2480:
	s_delay_alu instid0(SALU_CYCLE_1)
	s_and_b32 vcc_lo, exec_lo, s7
	s_cbranch_vccz .LBB55_2498
; %bb.2481:
	s_cmp_lt_i32 s0, 27
	s_cbranch_scc1 .LBB55_2484
; %bb.2482:
	s_cmp_gt_i32 s0, 27
	s_cbranch_scc0 .LBB55_2485
; %bb.2483:
	global_load_b32 v2, v[0:1], off
	s_mov_b32 s6, 0
	s_wait_loadcnt 0x0
	v_cvt_f32_u32_e32 v2, v2
	s_delay_alu instid0(VALU_DEP_1)
	v_cvt_f16_f32_e32 v5, v2
	s_branch .LBB55_2486
.LBB55_2484:
	s_mov_b32 s6, -1
                                        ; implicit-def: $vgpr5
	s_branch .LBB55_2489
.LBB55_2485:
	s_mov_b32 s6, -1
                                        ; implicit-def: $vgpr5
.LBB55_2486:
	s_delay_alu instid0(SALU_CYCLE_1)
	s_and_not1_b32 vcc_lo, exec_lo, s6
	s_cbranch_vccnz .LBB55_2488
; %bb.2487:
	global_load_u16 v2, v[0:1], off
	s_wait_loadcnt 0x0
	v_cvt_f16_u16_e32 v5, v2
.LBB55_2488:
	s_mov_b32 s6, 0
.LBB55_2489:
	s_delay_alu instid0(SALU_CYCLE_1)
	s_and_not1_b32 vcc_lo, exec_lo, s6
	s_cbranch_vccnz .LBB55_2497
; %bb.2490:
	global_load_u8 v2, v[0:1], off
	s_mov_b32 s6, 0
	s_mov_b32 s7, exec_lo
	s_wait_loadcnt 0x0
	v_cmpx_lt_i16_e32 0x7f, v2
	s_xor_b32 s7, exec_lo, s7
	s_cbranch_execz .LBB55_2511
; %bb.2491:
	s_mov_b32 s6, -1
	s_mov_b32 s9, exec_lo
	v_cmpx_eq_u16_e32 0x80, v2
; %bb.2492:
	s_xor_b32 s6, exec_lo, -1
; %bb.2493:
	s_or_b32 exec_lo, exec_lo, s9
	s_delay_alu instid0(SALU_CYCLE_1)
	s_and_b32 s6, s6, exec_lo
	s_or_saveexec_b32 s7, s7
	v_mov_b32_e32 v5, 0x7e00
	s_xor_b32 exec_lo, exec_lo, s7
	s_cbranch_execnz .LBB55_2512
.LBB55_2494:
	s_or_b32 exec_lo, exec_lo, s7
	s_and_saveexec_b32 s7, s6
	s_cbranch_execz .LBB55_2496
.LBB55_2495:
	v_and_b32_e32 v3, 0xffff, v2
	s_delay_alu instid0(VALU_DEP_1) | instskip(SKIP_1) | instid1(VALU_DEP_2)
	v_and_b32_e32 v5, 7, v3
	v_bfe_u32 v15, v3, 3, 4
	v_clz_i32_u32_e32 v13, v5
	s_delay_alu instid0(VALU_DEP_2) | instskip(NEXT) | instid1(VALU_DEP_2)
	v_cmp_eq_u32_e32 vcc_lo, 0, v15
	v_min_u32_e32 v13, 32, v13
	s_delay_alu instid0(VALU_DEP_1) | instskip(NEXT) | instid1(VALU_DEP_1)
	v_subrev_nc_u32_e32 v14, 28, v13
	v_dual_lshlrev_b32 v3, v14, v3 :: v_dual_sub_nc_u32 v13, 29, v13
	s_delay_alu instid0(VALU_DEP_1) | instskip(NEXT) | instid1(VALU_DEP_1)
	v_dual_lshlrev_b32 v2, 24, v2 :: v_dual_bitop2_b32 v3, 7, v3 bitop3:0x40
	v_dual_cndmask_b32 v13, v15, v13, vcc_lo :: v_dual_cndmask_b32 v3, v5, v3, vcc_lo
	s_delay_alu instid0(VALU_DEP_2) | instskip(NEXT) | instid1(VALU_DEP_2)
	v_and_b32_e32 v2, 0x80000000, v2
	v_lshl_add_u32 v5, v13, 23, 0x3b800000
	s_delay_alu instid0(VALU_DEP_3) | instskip(NEXT) | instid1(VALU_DEP_1)
	v_lshlrev_b32_e32 v3, 20, v3
	v_or3_b32 v2, v2, v5, v3
	s_delay_alu instid0(VALU_DEP_1)
	v_cvt_f16_f32_e32 v5, v2
.LBB55_2496:
	s_or_b32 exec_lo, exec_lo, s7
.LBB55_2497:
	s_mov_b32 s6, -1
.LBB55_2498:
	s_mov_b32 s7, 0
.LBB55_2499:
	s_delay_alu instid0(SALU_CYCLE_1)
	s_and_b32 vcc_lo, exec_lo, s7
	s_cbranch_vccz .LBB55_2532
; %bb.2500:
	s_cmp_gt_i32 s0, 22
	s_cbranch_scc0 .LBB55_2510
; %bb.2501:
	s_cmp_lt_i32 s0, 24
	s_cbranch_scc1 .LBB55_2513
; %bb.2502:
	s_cmp_gt_i32 s0, 24
	s_cbranch_scc0 .LBB55_2514
; %bb.2503:
	global_load_u8 v2, v[0:1], off
	s_mov_b32 s6, exec_lo
	s_wait_loadcnt 0x0
	v_cmpx_lt_i16_e32 0x7f, v2
	s_xor_b32 s6, exec_lo, s6
	s_cbranch_execz .LBB55_2526
; %bb.2504:
	s_mov_b32 s3, -1
	s_mov_b32 s7, exec_lo
	v_cmpx_eq_u16_e32 0x80, v2
; %bb.2505:
	s_xor_b32 s3, exec_lo, -1
; %bb.2506:
	s_or_b32 exec_lo, exec_lo, s7
	s_delay_alu instid0(SALU_CYCLE_1)
	s_and_b32 s3, s3, exec_lo
	s_or_saveexec_b32 s6, s6
	v_mov_b32_e32 v5, 0x7e00
	s_xor_b32 exec_lo, exec_lo, s6
	s_cbranch_execnz .LBB55_2527
.LBB55_2507:
	s_or_b32 exec_lo, exec_lo, s6
	s_and_saveexec_b32 s6, s3
	s_cbranch_execz .LBB55_2509
.LBB55_2508:
	v_and_b32_e32 v3, 0xffff, v2
	s_delay_alu instid0(VALU_DEP_1) | instskip(SKIP_1) | instid1(VALU_DEP_2)
	v_and_b32_e32 v5, 3, v3
	v_bfe_u32 v15, v3, 2, 5
	v_clz_i32_u32_e32 v13, v5
	s_delay_alu instid0(VALU_DEP_2) | instskip(NEXT) | instid1(VALU_DEP_2)
	v_cmp_eq_u32_e32 vcc_lo, 0, v15
	v_min_u32_e32 v13, 32, v13
	s_delay_alu instid0(VALU_DEP_1) | instskip(NEXT) | instid1(VALU_DEP_1)
	v_subrev_nc_u32_e32 v14, 29, v13
	v_dual_lshlrev_b32 v3, v14, v3 :: v_dual_sub_nc_u32 v13, 30, v13
	s_delay_alu instid0(VALU_DEP_1) | instskip(NEXT) | instid1(VALU_DEP_1)
	v_dual_lshlrev_b32 v2, 24, v2 :: v_dual_bitop2_b32 v3, 3, v3 bitop3:0x40
	v_dual_cndmask_b32 v13, v15, v13, vcc_lo :: v_dual_cndmask_b32 v3, v5, v3, vcc_lo
	s_delay_alu instid0(VALU_DEP_2) | instskip(NEXT) | instid1(VALU_DEP_2)
	v_and_b32_e32 v2, 0x80000000, v2
	v_lshl_add_u32 v5, v13, 23, 0x37800000
	s_delay_alu instid0(VALU_DEP_3) | instskip(NEXT) | instid1(VALU_DEP_1)
	v_lshlrev_b32_e32 v3, 21, v3
	v_or3_b32 v2, v2, v5, v3
	s_delay_alu instid0(VALU_DEP_1)
	v_cvt_f16_f32_e32 v5, v2
.LBB55_2509:
	s_or_b32 exec_lo, exec_lo, s6
	s_mov_b32 s3, 0
	s_branch .LBB55_2515
.LBB55_2510:
	s_mov_b32 s3, -1
                                        ; implicit-def: $vgpr5
	s_branch .LBB55_2521
.LBB55_2511:
	s_or_saveexec_b32 s7, s7
	v_mov_b32_e32 v5, 0x7e00
	s_xor_b32 exec_lo, exec_lo, s7
	s_cbranch_execz .LBB55_2494
.LBB55_2512:
	v_cmp_ne_u16_e32 vcc_lo, 0, v2
	v_mov_b32_e32 v5, v2
	s_and_not1_b32 s6, s6, exec_lo
	s_and_b32 s9, vcc_lo, exec_lo
	s_delay_alu instid0(SALU_CYCLE_1)
	s_or_b32 s6, s6, s9
	s_or_b32 exec_lo, exec_lo, s7
	s_and_saveexec_b32 s7, s6
	s_cbranch_execnz .LBB55_2495
	s_branch .LBB55_2496
.LBB55_2513:
	s_mov_b32 s3, -1
                                        ; implicit-def: $vgpr5
	s_branch .LBB55_2518
.LBB55_2514:
	s_mov_b32 s3, -1
                                        ; implicit-def: $vgpr5
.LBB55_2515:
	s_delay_alu instid0(SALU_CYCLE_1)
	s_and_b32 vcc_lo, exec_lo, s3
	s_cbranch_vccz .LBB55_2517
; %bb.2516:
	global_load_u8 v2, v[0:1], off
	s_wait_loadcnt 0x0
	v_lshlrev_b32_e32 v2, 24, v2
	s_delay_alu instid0(VALU_DEP_1) | instskip(NEXT) | instid1(VALU_DEP_1)
	v_and_b32_e32 v3, 0x7f000000, v2
	v_clz_i32_u32_e32 v5, v3
	v_cmp_ne_u32_e32 vcc_lo, 0, v3
	v_add_nc_u32_e32 v14, 0x1000000, v3
	s_delay_alu instid0(VALU_DEP_3) | instskip(NEXT) | instid1(VALU_DEP_1)
	v_min_u32_e32 v5, 32, v5
	v_sub_nc_u32_e64 v5, v5, 4 clamp
	s_delay_alu instid0(VALU_DEP_1) | instskip(NEXT) | instid1(VALU_DEP_1)
	v_dual_lshlrev_b32 v13, v5, v3 :: v_dual_lshlrev_b32 v5, 23, v5
	v_lshrrev_b32_e32 v13, 4, v13
	s_delay_alu instid0(VALU_DEP_1) | instskip(NEXT) | instid1(VALU_DEP_1)
	v_dual_sub_nc_u32 v5, v13, v5 :: v_dual_ashrrev_i32 v13, 8, v14
	v_add_nc_u32_e32 v5, 0x3c000000, v5
	s_delay_alu instid0(VALU_DEP_1) | instskip(NEXT) | instid1(VALU_DEP_1)
	v_and_or_b32 v5, 0x7f800000, v13, v5
	v_cndmask_b32_e32 v3, 0, v5, vcc_lo
	s_delay_alu instid0(VALU_DEP_1) | instskip(NEXT) | instid1(VALU_DEP_1)
	v_and_or_b32 v2, 0x80000000, v2, v3
	v_cvt_f16_f32_e32 v5, v2
.LBB55_2517:
	s_mov_b32 s3, 0
.LBB55_2518:
	s_delay_alu instid0(SALU_CYCLE_1)
	s_and_not1_b32 vcc_lo, exec_lo, s3
	s_cbranch_vccnz .LBB55_2520
; %bb.2519:
	global_load_u8 v2, v[0:1], off
	s_wait_loadcnt 0x0
	v_lshlrev_b32_e32 v3, 25, v2
	v_lshlrev_b16 v2, 8, v2
	s_delay_alu instid0(VALU_DEP_1) | instskip(SKIP_1) | instid1(VALU_DEP_2)
	v_and_or_b32 v13, 0x7f00, v2, 0.5
	v_bfe_i32 v2, v2, 0, 16
	v_dual_add_f32 v13, -0.5, v13 :: v_dual_lshrrev_b32 v5, 4, v3
	v_cmp_gt_u32_e32 vcc_lo, 0x8000000, v3
	s_delay_alu instid0(VALU_DEP_2) | instskip(NEXT) | instid1(VALU_DEP_1)
	v_or_b32_e32 v5, 0x70000000, v5
	v_mul_f32_e32 v5, 0x7800000, v5
	s_delay_alu instid0(VALU_DEP_1) | instskip(NEXT) | instid1(VALU_DEP_1)
	v_cndmask_b32_e32 v3, v5, v13, vcc_lo
	v_and_or_b32 v2, 0x80000000, v2, v3
	s_delay_alu instid0(VALU_DEP_1)
	v_cvt_f16_f32_e32 v5, v2
.LBB55_2520:
	s_mov_b32 s3, 0
	s_mov_b32 s6, -1
.LBB55_2521:
	s_and_not1_b32 vcc_lo, exec_lo, s3
	s_mov_b32 s3, 0
	s_cbranch_vccnz .LBB55_2532
; %bb.2522:
	s_cmp_gt_i32 s0, 14
	s_cbranch_scc0 .LBB55_2525
; %bb.2523:
	s_cmp_eq_u32 s0, 15
	s_cbranch_scc0 .LBB55_2528
; %bb.2524:
	global_load_u16 v2, v[0:1], off
	s_mov_b32 s2, 0
	s_mov_b32 s6, -1
	s_wait_loadcnt 0x0
	v_lshlrev_b32_e32 v2, 16, v2
	s_delay_alu instid0(VALU_DEP_1)
	v_cvt_f16_f32_e32 v5, v2
	s_branch .LBB55_2530
.LBB55_2525:
	s_mov_b32 s3, -1
	s_branch .LBB55_2529
.LBB55_2526:
	s_or_saveexec_b32 s6, s6
	v_mov_b32_e32 v5, 0x7e00
	s_xor_b32 exec_lo, exec_lo, s6
	s_cbranch_execz .LBB55_2507
.LBB55_2527:
	v_cmp_ne_u16_e32 vcc_lo, 0, v2
	v_mov_b32_e32 v5, v2
	s_and_not1_b32 s3, s3, exec_lo
	s_and_b32 s7, vcc_lo, exec_lo
	s_delay_alu instid0(SALU_CYCLE_1)
	s_or_b32 s3, s3, s7
	s_or_b32 exec_lo, exec_lo, s6
	s_and_saveexec_b32 s6, s3
	s_cbranch_execnz .LBB55_2508
	s_branch .LBB55_2509
.LBB55_2528:
	s_mov_b32 s2, -1
.LBB55_2529:
                                        ; implicit-def: $vgpr5
.LBB55_2530:
	s_and_b32 vcc_lo, exec_lo, s3
	s_mov_b32 s3, 0
	s_cbranch_vccz .LBB55_2532
; %bb.2531:
	s_cmp_lg_u32 s0, 11
	s_mov_b32 s3, -1
	s_cselect_b32 s2, -1, 0
.LBB55_2532:
	s_delay_alu instid0(SALU_CYCLE_1)
	s_and_b32 vcc_lo, exec_lo, s2
	s_cbranch_vccnz .LBB55_3061
; %bb.2533:
	s_and_not1_b32 vcc_lo, exec_lo, s3
	s_cbranch_vccnz .LBB55_2535
.LBB55_2534:
	global_load_u8 v2, v[0:1], off
	s_mov_b32 s6, -1
	s_wait_loadcnt 0x0
	v_cmp_ne_u16_e32 vcc_lo, 0, v2
	v_cndmask_b32_e64 v5, 0, 0x3c00, vcc_lo
.LBB55_2535:
	s_mov_b32 s0, 0
.LBB55_2536:
	s_delay_alu instid0(SALU_CYCLE_1)
	s_and_b32 vcc_lo, exec_lo, s0
	s_cbranch_vccz .LBB55_2585
; %bb.2537:
	s_and_b32 s0, 0xffff, s1
	s_delay_alu instid0(SALU_CYCLE_1)
	s_cmp_lt_i32 s0, 5
	s_cbranch_scc1 .LBB55_2542
; %bb.2538:
	s_cmp_lt_i32 s0, 8
	s_cbranch_scc1 .LBB55_2543
; %bb.2539:
	;; [unrolled: 3-line block ×3, first 2 shown]
	s_cmp_gt_i32 s0, 9
	s_cbranch_scc0 .LBB55_2545
; %bb.2541:
	global_load_b64 v[2:3], v[0:1], off
	s_mov_b32 s1, 0
	s_wait_loadcnt 0x0
	v_and_or_b32 v2, 0x1ff, v3, v2
	v_lshrrev_b32_e32 v5, 8, v3
	v_bfe_u32 v13, v3, 20, 11
	v_lshrrev_b32_e32 v3, 16, v3
	s_delay_alu instid0(VALU_DEP_4) | instskip(NEXT) | instid1(VALU_DEP_3)
	v_cmp_ne_u32_e32 vcc_lo, 0, v2
	v_sub_nc_u32_e32 v14, 0x3f1, v13
	v_add_nc_u32_e32 v13, 0xfffffc10, v13
	v_cndmask_b32_e64 v2, 0, 1, vcc_lo
	s_delay_alu instid0(VALU_DEP_1) | instskip(NEXT) | instid1(VALU_DEP_4)
	v_and_or_b32 v2, 0xffe, v5, v2
	v_med3_i32 v5, v14, 0, 13
	s_delay_alu instid0(VALU_DEP_2) | instskip(NEXT) | instid1(VALU_DEP_1)
	v_or_b32_e32 v14, 0x1000, v2
	v_lshrrev_b32_e32 v15, v5, v14
	s_delay_alu instid0(VALU_DEP_1) | instskip(NEXT) | instid1(VALU_DEP_1)
	v_lshlrev_b32_e32 v5, v5, v15
	v_cmp_ne_u32_e32 vcc_lo, v5, v14
	v_lshl_or_b32 v14, v13, 12, v2
	v_cndmask_b32_e64 v5, 0, 1, vcc_lo
	v_cmp_gt_i32_e32 vcc_lo, 1, v13
	s_delay_alu instid0(VALU_DEP_2) | instskip(NEXT) | instid1(VALU_DEP_1)
	v_or_b32_e32 v5, v15, v5
	v_cndmask_b32_e32 v5, v14, v5, vcc_lo
	s_delay_alu instid0(VALU_DEP_1) | instskip(NEXT) | instid1(VALU_DEP_1)
	v_dual_lshrrev_b32 v5, 2, v5 :: v_dual_bitop2_b32 v14, 7, v5 bitop3:0x40
	v_cmp_lt_i32_e32 vcc_lo, 5, v14
	v_cndmask_b32_e64 v15, 0, 1, vcc_lo
	v_cmp_eq_u32_e32 vcc_lo, 3, v14
	v_cndmask_b32_e64 v14, 0, 1, vcc_lo
	v_cmp_ne_u32_e32 vcc_lo, 0, v2
	s_delay_alu instid0(VALU_DEP_2) | instskip(SKIP_1) | instid1(VALU_DEP_1)
	v_or_b32_e32 v14, v14, v15
	v_mov_b32_e32 v15, 0x7e00
	v_dual_cndmask_b32 v2, 0x7c00, v15 :: v_dual_add_nc_u32 v5, v5, v14
	v_cmp_gt_i32_e32 vcc_lo, 31, v13
	s_delay_alu instid0(VALU_DEP_2) | instskip(SKIP_1) | instid1(VALU_DEP_2)
	v_cndmask_b32_e32 v5, 0x7c00, v5, vcc_lo
	v_cmp_eq_u32_e32 vcc_lo, 0x40f, v13
	v_cndmask_b32_e32 v2, v5, v2, vcc_lo
	s_delay_alu instid0(VALU_DEP_1)
	v_and_or_b32 v5, 0x8000, v3, v2
	s_branch .LBB55_2546
.LBB55_2542:
	s_mov_b32 s1, -1
                                        ; implicit-def: $vgpr5
	s_branch .LBB55_2564
.LBB55_2543:
	s_mov_b32 s1, -1
                                        ; implicit-def: $vgpr5
	s_branch .LBB55_2552
.LBB55_2544:
	s_mov_b32 s1, -1
                                        ; implicit-def: $vgpr5
	s_branch .LBB55_2549
.LBB55_2545:
	s_mov_b32 s1, -1
                                        ; implicit-def: $vgpr5
.LBB55_2546:
	s_delay_alu instid0(SALU_CYCLE_1)
	s_and_not1_b32 vcc_lo, exec_lo, s1
	s_cbranch_vccnz .LBB55_2548
; %bb.2547:
	global_load_b32 v2, v[0:1], off
	s_wait_loadcnt 0x0
	v_cvt_f16_f32_e32 v5, v2
.LBB55_2548:
	s_mov_b32 s1, 0
.LBB55_2549:
	s_delay_alu instid0(SALU_CYCLE_1)
	s_and_not1_b32 vcc_lo, exec_lo, s1
	s_cbranch_vccnz .LBB55_2551
; %bb.2550:
	global_load_b32 v5, v[0:1], off
.LBB55_2551:
	s_mov_b32 s1, 0
.LBB55_2552:
	s_delay_alu instid0(SALU_CYCLE_1)
	s_and_not1_b32 vcc_lo, exec_lo, s1
	s_cbranch_vccnz .LBB55_2563
; %bb.2553:
	s_cmp_lt_i32 s0, 6
	s_cbranch_scc1 .LBB55_2556
; %bb.2554:
	s_cmp_gt_i32 s0, 6
	s_cbranch_scc0 .LBB55_2557
; %bb.2555:
	global_load_b64 v[2:3], v[0:1], off
	s_mov_b32 s1, 0
	s_wait_loadcnt 0x0
	v_and_or_b32 v2, 0x1ff, v3, v2
	v_lshrrev_b32_e32 v5, 8, v3
	v_bfe_u32 v13, v3, 20, 11
	v_lshrrev_b32_e32 v3, 16, v3
	s_delay_alu instid0(VALU_DEP_4) | instskip(NEXT) | instid1(VALU_DEP_3)
	v_cmp_ne_u32_e32 vcc_lo, 0, v2
	v_sub_nc_u32_e32 v14, 0x3f1, v13
	v_add_nc_u32_e32 v13, 0xfffffc10, v13
	v_cndmask_b32_e64 v2, 0, 1, vcc_lo
	s_delay_alu instid0(VALU_DEP_1) | instskip(NEXT) | instid1(VALU_DEP_4)
	v_and_or_b32 v2, 0xffe, v5, v2
	v_med3_i32 v5, v14, 0, 13
	s_delay_alu instid0(VALU_DEP_2) | instskip(NEXT) | instid1(VALU_DEP_1)
	v_or_b32_e32 v14, 0x1000, v2
	v_lshrrev_b32_e32 v15, v5, v14
	s_delay_alu instid0(VALU_DEP_1) | instskip(NEXT) | instid1(VALU_DEP_1)
	v_lshlrev_b32_e32 v5, v5, v15
	v_cmp_ne_u32_e32 vcc_lo, v5, v14
	v_lshl_or_b32 v14, v13, 12, v2
	v_cndmask_b32_e64 v5, 0, 1, vcc_lo
	v_cmp_gt_i32_e32 vcc_lo, 1, v13
	s_delay_alu instid0(VALU_DEP_2) | instskip(NEXT) | instid1(VALU_DEP_1)
	v_or_b32_e32 v5, v15, v5
	v_cndmask_b32_e32 v5, v14, v5, vcc_lo
	s_delay_alu instid0(VALU_DEP_1) | instskip(NEXT) | instid1(VALU_DEP_1)
	v_dual_lshrrev_b32 v5, 2, v5 :: v_dual_bitop2_b32 v14, 7, v5 bitop3:0x40
	v_cmp_lt_i32_e32 vcc_lo, 5, v14
	v_cndmask_b32_e64 v15, 0, 1, vcc_lo
	v_cmp_eq_u32_e32 vcc_lo, 3, v14
	v_cndmask_b32_e64 v14, 0, 1, vcc_lo
	v_cmp_ne_u32_e32 vcc_lo, 0, v2
	s_delay_alu instid0(VALU_DEP_2) | instskip(SKIP_1) | instid1(VALU_DEP_1)
	v_or_b32_e32 v14, v14, v15
	v_mov_b32_e32 v15, 0x7e00
	v_dual_cndmask_b32 v2, 0x7c00, v15 :: v_dual_add_nc_u32 v5, v5, v14
	v_cmp_gt_i32_e32 vcc_lo, 31, v13
	s_delay_alu instid0(VALU_DEP_2) | instskip(SKIP_1) | instid1(VALU_DEP_2)
	v_cndmask_b32_e32 v5, 0x7c00, v5, vcc_lo
	v_cmp_eq_u32_e32 vcc_lo, 0x40f, v13
	v_cndmask_b32_e32 v2, v5, v2, vcc_lo
	s_delay_alu instid0(VALU_DEP_1)
	v_and_or_b32 v5, 0x8000, v3, v2
	s_branch .LBB55_2558
.LBB55_2556:
	s_mov_b32 s1, -1
                                        ; implicit-def: $vgpr5
	s_branch .LBB55_2561
.LBB55_2557:
	s_mov_b32 s1, -1
                                        ; implicit-def: $vgpr5
.LBB55_2558:
	s_delay_alu instid0(SALU_CYCLE_1)
	s_and_not1_b32 vcc_lo, exec_lo, s1
	s_cbranch_vccnz .LBB55_2560
; %bb.2559:
	global_load_b32 v2, v[0:1], off
	s_wait_loadcnt 0x0
	v_cvt_f16_f32_e32 v5, v2
.LBB55_2560:
	s_mov_b32 s1, 0
.LBB55_2561:
	s_delay_alu instid0(SALU_CYCLE_1)
	s_and_not1_b32 vcc_lo, exec_lo, s1
	s_cbranch_vccnz .LBB55_2563
; %bb.2562:
	s_wait_loadcnt 0x0
	global_load_u16 v5, v[0:1], off
.LBB55_2563:
	s_mov_b32 s1, 0
.LBB55_2564:
	s_delay_alu instid0(SALU_CYCLE_1)
	s_and_not1_b32 vcc_lo, exec_lo, s1
	s_cbranch_vccnz .LBB55_2584
; %bb.2565:
	s_cmp_lt_i32 s0, 2
	s_cbranch_scc1 .LBB55_2569
; %bb.2566:
	s_cmp_lt_i32 s0, 3
	s_cbranch_scc1 .LBB55_2570
; %bb.2567:
	s_cmp_gt_i32 s0, 3
	s_cbranch_scc0 .LBB55_2571
; %bb.2568:
	global_load_b64 v[2:3], v[0:1], off
	s_mov_b32 s1, 0
	s_wait_loadcnt 0x0
	v_xor_b32_e32 v5, v2, v3
	v_cls_i32_e32 v13, v3
	s_delay_alu instid0(VALU_DEP_2) | instskip(NEXT) | instid1(VALU_DEP_1)
	v_ashrrev_i32_e32 v5, 31, v5
	v_add_nc_u32_e32 v5, 32, v5
	s_delay_alu instid0(VALU_DEP_1) | instskip(NEXT) | instid1(VALU_DEP_1)
	v_add_min_u32_e64 v5, v13, -1, v5
	v_lshlrev_b64_e32 v[2:3], v5, v[2:3]
	s_delay_alu instid0(VALU_DEP_1) | instskip(NEXT) | instid1(VALU_DEP_1)
	v_min_u32_e32 v2, 1, v2
	v_dual_sub_nc_u32 v3, 32, v5 :: v_dual_bitop2_b32 v2, v3, v2 bitop3:0x54
	s_delay_alu instid0(VALU_DEP_1) | instskip(NEXT) | instid1(VALU_DEP_1)
	v_cvt_f32_i32_e32 v2, v2
	v_ldexp_f32 v2, v2, v3
	s_delay_alu instid0(VALU_DEP_1)
	v_cvt_f16_f32_e32 v5, v2
	s_branch .LBB55_2572
.LBB55_2569:
	s_mov_b32 s1, -1
                                        ; implicit-def: $vgpr5
	s_branch .LBB55_2578
.LBB55_2570:
	s_mov_b32 s1, -1
                                        ; implicit-def: $vgpr5
	s_branch .LBB55_2575
.LBB55_2571:
	s_mov_b32 s1, -1
                                        ; implicit-def: $vgpr5
.LBB55_2572:
	s_delay_alu instid0(SALU_CYCLE_1)
	s_and_not1_b32 vcc_lo, exec_lo, s1
	s_cbranch_vccnz .LBB55_2574
; %bb.2573:
	global_load_b32 v2, v[0:1], off
	s_wait_loadcnt 0x0
	v_cvt_f32_i32_e32 v2, v2
	s_delay_alu instid0(VALU_DEP_1)
	v_cvt_f16_f32_e32 v5, v2
.LBB55_2574:
	s_mov_b32 s1, 0
.LBB55_2575:
	s_delay_alu instid0(SALU_CYCLE_1)
	s_and_not1_b32 vcc_lo, exec_lo, s1
	s_cbranch_vccnz .LBB55_2577
; %bb.2576:
	global_load_u16 v2, v[0:1], off
	s_wait_loadcnt 0x0
	v_cvt_f16_i16_e32 v5, v2
.LBB55_2577:
	s_mov_b32 s1, 0
.LBB55_2578:
	s_delay_alu instid0(SALU_CYCLE_1)
	s_and_not1_b32 vcc_lo, exec_lo, s1
	s_cbranch_vccnz .LBB55_2584
; %bb.2579:
	s_cmp_gt_i32 s0, 0
	s_mov_b32 s0, 0
	s_cbranch_scc0 .LBB55_2581
; %bb.2580:
	global_load_i8 v2, v[0:1], off
	s_wait_loadcnt 0x0
	v_cvt_f16_i16_e32 v5, v2
	s_branch .LBB55_2582
.LBB55_2581:
	s_mov_b32 s0, -1
                                        ; implicit-def: $vgpr5
.LBB55_2582:
	s_delay_alu instid0(SALU_CYCLE_1)
	s_and_not1_b32 vcc_lo, exec_lo, s0
	s_cbranch_vccnz .LBB55_2584
; %bb.2583:
	global_load_u8 v0, v[0:1], off
	s_wait_loadcnt 0x0
	v_cvt_f16_u16_e32 v5, v0
.LBB55_2584:
	s_mov_b32 s6, -1
.LBB55_2585:
	s_delay_alu instid0(SALU_CYCLE_1)
	s_and_not1_b32 vcc_lo, exec_lo, s6
	s_cbranch_vccnz .LBB55_3016
; %bb.2586:
	s_wait_xcnt 0x0
	v_mul_lo_u32 v0, s8, v6
	s_wait_loadcnt 0x0
	v_mul_f16_e32 v6, v7, v8
	v_cmp_lt_f16_e32 vcc_lo, 0, v7
	s_and_b32 s16, s11, 0xff
	s_mov_b32 s3, 0
	s_cmp_lt_i32 s16, 11
	s_mov_b32 s0, -1
	s_delay_alu instid0(VALU_DEP_3) | instskip(NEXT) | instid1(VALU_DEP_1)
	v_ashrrev_i32_e32 v1, 31, v0
	v_add_nc_u64_e32 v[2:3], s[4:5], v[0:1]
	v_cndmask_b32_e32 v1, v6, v7, vcc_lo
	s_cbranch_scc1 .LBB55_2665
; %bb.2587:
	s_and_b32 s1, 0xffff, s16
	s_mov_b32 s6, -1
	s_mov_b32 s2, 0
	s_cmp_gt_i32 s1, 25
	s_mov_b32 s0, 0
	s_cbranch_scc0 .LBB55_2620
; %bb.2588:
	s_cmp_gt_i32 s1, 28
	s_cbranch_scc0 .LBB55_2603
; %bb.2589:
	s_cmp_gt_i32 s1, 43
	;; [unrolled: 3-line block ×3, first 2 shown]
	s_cbranch_scc0 .LBB55_2593
; %bb.2591:
	s_mov_b32 s0, -1
	s_mov_b32 s6, 0
	s_cmp_eq_u32 s1, 46
	s_cbranch_scc0 .LBB55_2593
; %bb.2592:
	v_cvt_f32_f16_e32 v6, v1
	v_cmp_o_f16_e32 vcc_lo, v1, v1
	s_mov_b32 s0, 0
	s_mov_b32 s3, -1
	s_delay_alu instid0(VALU_DEP_2) | instskip(NEXT) | instid1(VALU_DEP_1)
	v_bfe_u32 v7, v6, 16, 1
	v_add3_u32 v6, v6, v7, 0x7fff
	s_delay_alu instid0(VALU_DEP_1) | instskip(NEXT) | instid1(VALU_DEP_1)
	v_lshrrev_b32_e32 v6, 16, v6
	v_cndmask_b32_e32 v6, 0x7fc0, v6, vcc_lo
	global_store_b32 v[2:3], v6, off
.LBB55_2593:
	s_and_b32 vcc_lo, exec_lo, s6
	s_cbranch_vccz .LBB55_2598
; %bb.2594:
	s_cmp_eq_u32 s1, 44
	s_mov_b32 s0, -1
	s_cbranch_scc0 .LBB55_2598
; %bb.2595:
	s_wait_xcnt 0x0
	v_cvt_f32_f16_e32 v6, v1
	v_mov_b32_e32 v7, 0xff
	s_mov_b32 s3, exec_lo
	s_delay_alu instid0(VALU_DEP_2) | instskip(NEXT) | instid1(VALU_DEP_1)
	v_bfe_u32 v8, v6, 23, 8
	v_cmpx_ne_u32_e32 0xff, v8
	s_cbranch_execz .LBB55_2597
; %bb.2596:
	v_and_b32_e32 v7, 0x400000, v6
	v_and_or_b32 v8, 0x3fffff, v6, v8
	v_lshrrev_b32_e32 v6, 23, v6
	s_delay_alu instid0(VALU_DEP_3) | instskip(NEXT) | instid1(VALU_DEP_3)
	v_cmp_ne_u32_e32 vcc_lo, 0, v7
	v_cmp_ne_u32_e64 s0, 0, v8
	s_and_b32 s0, vcc_lo, s0
	s_delay_alu instid0(SALU_CYCLE_1) | instskip(NEXT) | instid1(VALU_DEP_1)
	v_cndmask_b32_e64 v7, 0, 1, s0
	v_add_nc_u32_e32 v7, v6, v7
.LBB55_2597:
	s_or_b32 exec_lo, exec_lo, s3
	s_mov_b32 s0, 0
	s_mov_b32 s3, -1
	global_store_b8 v[2:3], v7, off
.LBB55_2598:
	s_mov_b32 s6, 0
.LBB55_2599:
	s_delay_alu instid0(SALU_CYCLE_1)
	s_and_b32 vcc_lo, exec_lo, s6
	s_cbranch_vccz .LBB55_2602
; %bb.2600:
	s_cmp_eq_u32 s1, 29
	s_mov_b32 s0, -1
	s_cbranch_scc0 .LBB55_2602
; %bb.2601:
	s_wait_xcnt 0x0
	v_cvt_f32_f16_e32 v6, v1
	v_mov_b32_e32 v7, 0
	s_mov_b32 s0, 0
	s_mov_b32 s3, -1
	s_delay_alu instid0(VALU_DEP_2)
	v_cvt_u32_f32_e32 v6, v6
	global_store_b64 v[2:3], v[6:7], off
.LBB55_2602:
	s_mov_b32 s6, 0
.LBB55_2603:
	s_delay_alu instid0(SALU_CYCLE_1)
	s_and_b32 vcc_lo, exec_lo, s6
	s_cbranch_vccz .LBB55_2619
; %bb.2604:
	s_cmp_lt_i32 s1, 27
	s_mov_b32 s3, -1
	s_cbranch_scc1 .LBB55_2610
; %bb.2605:
	s_cmp_gt_i32 s1, 27
	s_cbranch_scc0 .LBB55_2607
; %bb.2606:
	s_wait_xcnt 0x0
	v_cvt_f32_f16_e32 v6, v1
	s_mov_b32 s3, 0
	s_delay_alu instid0(VALU_DEP_1)
	v_cvt_u32_f32_e32 v6, v6
	global_store_b32 v[2:3], v6, off
.LBB55_2607:
	s_and_not1_b32 vcc_lo, exec_lo, s3
	s_cbranch_vccnz .LBB55_2609
; %bb.2608:
	s_wait_xcnt 0x0
	v_cvt_u16_f16_e32 v6, v1
	global_store_b16 v[2:3], v6, off
.LBB55_2609:
	s_mov_b32 s3, 0
.LBB55_2610:
	s_delay_alu instid0(SALU_CYCLE_1)
	s_and_not1_b32 vcc_lo, exec_lo, s3
	s_cbranch_vccnz .LBB55_2618
; %bb.2611:
	s_wait_xcnt 0x0
	v_cvt_f32_f16_e32 v6, v1
	v_mov_b32_e32 v8, 0x80
	s_mov_b32 s3, exec_lo
	s_delay_alu instid0(VALU_DEP_2) | instskip(NEXT) | instid1(VALU_DEP_1)
	v_and_b32_e32 v7, 0x7fffffff, v6
	v_cmpx_gt_u32_e32 0x43800000, v7
	s_cbranch_execz .LBB55_2617
; %bb.2612:
	v_cmp_lt_u32_e32 vcc_lo, 0x3bffffff, v7
	s_mov_b32 s6, 0
                                        ; implicit-def: $vgpr7
	s_and_saveexec_b32 s7, vcc_lo
	s_delay_alu instid0(SALU_CYCLE_1)
	s_xor_b32 s7, exec_lo, s7
	s_cbranch_execz .LBB55_3062
; %bb.2613:
	v_bfe_u32 v7, v6, 20, 1
	s_mov_b32 s6, exec_lo
	s_delay_alu instid0(VALU_DEP_1) | instskip(NEXT) | instid1(VALU_DEP_1)
	v_add3_u32 v7, v6, v7, 0x487ffff
	v_lshrrev_b32_e32 v7, 20, v7
	s_and_not1_saveexec_b32 s7, s7
	s_cbranch_execnz .LBB55_3063
.LBB55_2614:
	s_or_b32 exec_lo, exec_lo, s7
	v_mov_b32_e32 v8, 0
	s_and_saveexec_b32 s7, s6
.LBB55_2615:
	v_lshrrev_b32_e32 v6, 24, v6
	s_delay_alu instid0(VALU_DEP_1)
	v_and_or_b32 v8, 0x80, v6, v7
.LBB55_2616:
	s_or_b32 exec_lo, exec_lo, s7
.LBB55_2617:
	s_delay_alu instid0(SALU_CYCLE_1)
	s_or_b32 exec_lo, exec_lo, s3
	global_store_b8 v[2:3], v8, off
.LBB55_2618:
	s_mov_b32 s3, -1
.LBB55_2619:
	s_mov_b32 s6, 0
.LBB55_2620:
	s_delay_alu instid0(SALU_CYCLE_1)
	s_and_b32 vcc_lo, exec_lo, s6
	s_cbranch_vccz .LBB55_2660
; %bb.2621:
	s_cmp_gt_i32 s1, 22
	s_mov_b32 s2, -1
	s_cbranch_scc0 .LBB55_2653
; %bb.2622:
	s_cmp_lt_i32 s1, 24
	s_cbranch_scc1 .LBB55_2642
; %bb.2623:
	s_cmp_gt_i32 s1, 24
	s_cbranch_scc0 .LBB55_2631
; %bb.2624:
	s_wait_xcnt 0x0
	v_cvt_f32_f16_e32 v6, v1
	v_mov_b32_e32 v8, 0x80
	s_mov_b32 s2, exec_lo
	s_delay_alu instid0(VALU_DEP_2) | instskip(NEXT) | instid1(VALU_DEP_1)
	v_and_b32_e32 v7, 0x7fffffff, v6
	v_cmpx_gt_u32_e32 0x47800000, v7
	s_cbranch_execz .LBB55_2630
; %bb.2625:
	v_cmp_lt_u32_e32 vcc_lo, 0x37ffffff, v7
	s_mov_b32 s3, 0
                                        ; implicit-def: $vgpr7
	s_and_saveexec_b32 s6, vcc_lo
	s_delay_alu instid0(SALU_CYCLE_1)
	s_xor_b32 s6, exec_lo, s6
	s_cbranch_execz .LBB55_3065
; %bb.2626:
	v_bfe_u32 v7, v6, 21, 1
	s_mov_b32 s3, exec_lo
	s_delay_alu instid0(VALU_DEP_1) | instskip(NEXT) | instid1(VALU_DEP_1)
	v_add3_u32 v7, v6, v7, 0x88fffff
	v_lshrrev_b32_e32 v7, 21, v7
	s_and_not1_saveexec_b32 s6, s6
	s_cbranch_execnz .LBB55_3066
.LBB55_2627:
	s_or_b32 exec_lo, exec_lo, s6
	v_mov_b32_e32 v8, 0
	s_and_saveexec_b32 s6, s3
.LBB55_2628:
	v_lshrrev_b32_e32 v6, 24, v6
	s_delay_alu instid0(VALU_DEP_1)
	v_and_or_b32 v8, 0x80, v6, v7
.LBB55_2629:
	s_or_b32 exec_lo, exec_lo, s6
.LBB55_2630:
	s_delay_alu instid0(SALU_CYCLE_1)
	s_or_b32 exec_lo, exec_lo, s2
	s_mov_b32 s2, 0
	global_store_b8 v[2:3], v8, off
.LBB55_2631:
	s_and_b32 vcc_lo, exec_lo, s2
	s_cbranch_vccz .LBB55_2641
; %bb.2632:
	s_wait_xcnt 0x0
	v_cvt_f32_f16_e32 v6, v1
	s_mov_b32 s2, exec_lo
                                        ; implicit-def: $vgpr7
	s_delay_alu instid0(VALU_DEP_1) | instskip(NEXT) | instid1(VALU_DEP_1)
	v_and_b32_e32 v8, 0x7fffffff, v6
	v_cmpx_gt_u32_e32 0x43f00000, v8
	s_xor_b32 s2, exec_lo, s2
	s_cbranch_execz .LBB55_2638
; %bb.2633:
	s_mov_b32 s3, exec_lo
                                        ; implicit-def: $vgpr7
	v_cmpx_lt_u32_e32 0x3c7fffff, v8
	s_xor_b32 s3, exec_lo, s3
; %bb.2634:
	v_bfe_u32 v7, v6, 20, 1
	s_delay_alu instid0(VALU_DEP_1) | instskip(NEXT) | instid1(VALU_DEP_1)
	v_add3_u32 v7, v6, v7, 0x407ffff
	v_and_b32_e32 v8, 0xff00000, v7
	v_lshrrev_b32_e32 v7, 20, v7
	s_delay_alu instid0(VALU_DEP_2) | instskip(NEXT) | instid1(VALU_DEP_2)
	v_cmp_ne_u32_e32 vcc_lo, 0x7f00000, v8
	v_cndmask_b32_e32 v7, 0x7e, v7, vcc_lo
; %bb.2635:
	s_and_not1_saveexec_b32 s3, s3
; %bb.2636:
	v_add_f32_e64 v7, 0x46800000, |v6|
; %bb.2637:
	s_or_b32 exec_lo, exec_lo, s3
                                        ; implicit-def: $vgpr8
.LBB55_2638:
	s_and_not1_saveexec_b32 s2, s2
; %bb.2639:
	v_mov_b32_e32 v7, 0x7f
	v_cmp_lt_u32_e32 vcc_lo, 0x7f800000, v8
	s_delay_alu instid0(VALU_DEP_2)
	v_cndmask_b32_e32 v7, 0x7e, v7, vcc_lo
; %bb.2640:
	s_or_b32 exec_lo, exec_lo, s2
	v_lshrrev_b32_e32 v6, 24, v6
	s_delay_alu instid0(VALU_DEP_1)
	v_and_or_b32 v6, 0x80, v6, v7
	global_store_b8 v[2:3], v6, off
.LBB55_2641:
	s_mov_b32 s2, 0
.LBB55_2642:
	s_delay_alu instid0(SALU_CYCLE_1)
	s_and_not1_b32 vcc_lo, exec_lo, s2
	s_cbranch_vccnz .LBB55_2652
; %bb.2643:
	s_wait_xcnt 0x0
	v_cvt_f32_f16_e32 v6, v1
	s_mov_b32 s2, exec_lo
                                        ; implicit-def: $vgpr7
	s_delay_alu instid0(VALU_DEP_1) | instskip(NEXT) | instid1(VALU_DEP_1)
	v_and_b32_e32 v8, 0x7fffffff, v6
	v_cmpx_gt_u32_e32 0x47800000, v8
	s_xor_b32 s2, exec_lo, s2
	s_cbranch_execz .LBB55_2649
; %bb.2644:
	s_mov_b32 s3, exec_lo
                                        ; implicit-def: $vgpr7
	v_cmpx_lt_u32_e32 0x387fffff, v8
	s_xor_b32 s3, exec_lo, s3
; %bb.2645:
	v_bfe_u32 v7, v6, 21, 1
	s_delay_alu instid0(VALU_DEP_1) | instskip(NEXT) | instid1(VALU_DEP_1)
	v_add3_u32 v7, v6, v7, 0x80fffff
	v_lshrrev_b32_e32 v7, 21, v7
; %bb.2646:
	s_and_not1_saveexec_b32 s3, s3
; %bb.2647:
	v_add_f32_e64 v7, 0x43000000, |v6|
; %bb.2648:
	s_or_b32 exec_lo, exec_lo, s3
                                        ; implicit-def: $vgpr8
.LBB55_2649:
	s_and_not1_saveexec_b32 s2, s2
; %bb.2650:
	v_mov_b32_e32 v7, 0x7f
	v_cmp_lt_u32_e32 vcc_lo, 0x7f800000, v8
	s_delay_alu instid0(VALU_DEP_2)
	v_cndmask_b32_e32 v7, 0x7c, v7, vcc_lo
; %bb.2651:
	s_or_b32 exec_lo, exec_lo, s2
	v_lshrrev_b32_e32 v6, 24, v6
	s_delay_alu instid0(VALU_DEP_1)
	v_and_or_b32 v6, 0x80, v6, v7
	global_store_b8 v[2:3], v6, off
.LBB55_2652:
	s_mov_b32 s2, 0
	s_mov_b32 s3, -1
.LBB55_2653:
	s_and_not1_b32 vcc_lo, exec_lo, s2
	s_mov_b32 s2, 0
	s_cbranch_vccnz .LBB55_2660
; %bb.2654:
	s_cmp_gt_i32 s1, 14
	s_mov_b32 s2, -1
	s_cbranch_scc0 .LBB55_2658
; %bb.2655:
	s_cmp_eq_u32 s1, 15
	s_mov_b32 s0, -1
	s_cbranch_scc0 .LBB55_2657
; %bb.2656:
	s_wait_xcnt 0x0
	v_cvt_f32_f16_e32 v6, v1
	v_cmp_o_f16_e32 vcc_lo, v1, v1
	s_mov_b32 s0, 0
	s_mov_b32 s3, -1
	s_delay_alu instid0(VALU_DEP_2) | instskip(NEXT) | instid1(VALU_DEP_1)
	v_bfe_u32 v7, v6, 16, 1
	v_add3_u32 v6, v6, v7, 0x7fff
	s_delay_alu instid0(VALU_DEP_1) | instskip(NEXT) | instid1(VALU_DEP_1)
	v_lshrrev_b32_e32 v6, 16, v6
	v_cndmask_b32_e32 v6, 0x7fc0, v6, vcc_lo
	global_store_b16 v[2:3], v6, off
.LBB55_2657:
	s_mov_b32 s2, 0
.LBB55_2658:
	s_delay_alu instid0(SALU_CYCLE_1)
	s_and_b32 vcc_lo, exec_lo, s2
	s_mov_b32 s2, 0
	s_cbranch_vccz .LBB55_2660
; %bb.2659:
	s_cmp_lg_u32 s1, 11
	s_mov_b32 s2, -1
	s_cselect_b32 s0, -1, 0
.LBB55_2660:
	s_delay_alu instid0(SALU_CYCLE_1)
	s_and_b32 vcc_lo, exec_lo, s0
	s_cbranch_vccnz .LBB55_3064
; %bb.2661:
	s_and_not1_b32 vcc_lo, exec_lo, s2
	s_cbranch_vccnz .LBB55_2663
.LBB55_2662:
	s_wait_xcnt 0x0
	v_and_b32_e32 v6, 0x7fff, v1
	s_mov_b32 s3, -1
	s_delay_alu instid0(VALU_DEP_1)
	v_cmp_ne_u16_e32 vcc_lo, 0, v6
	v_cndmask_b32_e64 v6, 0, 1, vcc_lo
	global_store_b8 v[2:3], v6, off
.LBB55_2663:
.LBB55_2664:
	s_and_not1_b32 vcc_lo, exec_lo, s3
	s_cbranch_vccz .LBB55_2704
	s_branch .LBB55_3016
.LBB55_2665:
	s_and_b32 vcc_lo, exec_lo, s0
	s_cbranch_vccz .LBB55_2664
; %bb.2666:
	s_and_b32 s0, 0xffff, s16
	s_mov_b32 s1, -1
	s_cmp_lt_i32 s0, 5
	s_cbranch_scc1 .LBB55_2687
; %bb.2667:
	s_cmp_lt_i32 s0, 8
	s_cbranch_scc1 .LBB55_2677
; %bb.2668:
	;; [unrolled: 3-line block ×3, first 2 shown]
	s_cmp_gt_i32 s0, 9
	s_cbranch_scc0 .LBB55_2671
; %bb.2670:
	s_wait_xcnt 0x0
	v_cvt_f32_f16_e32 v6, v1
	v_mov_b32_e32 v16, 0
	s_mov_b32 s1, 0
	s_delay_alu instid0(VALU_DEP_2) | instskip(NEXT) | instid1(VALU_DEP_2)
	v_cvt_f64_f32_e32 v[14:15], v6
	v_mov_b32_e32 v17, v16
	global_store_b128 v[2:3], v[14:17], off
.LBB55_2671:
	s_and_not1_b32 vcc_lo, exec_lo, s1
	s_cbranch_vccnz .LBB55_2673
; %bb.2672:
	s_wait_xcnt 0x0
	v_cvt_f32_f16_e32 v6, v1
	v_mov_b32_e32 v7, 0
	global_store_b64 v[2:3], v[6:7], off
.LBB55_2673:
	s_mov_b32 s1, 0
.LBB55_2674:
	s_delay_alu instid0(SALU_CYCLE_1)
	s_and_not1_b32 vcc_lo, exec_lo, s1
	s_cbranch_vccnz .LBB55_2676
; %bb.2675:
	s_wait_xcnt 0x0
	v_and_b32_e32 v6, 0xffff, v1
	global_store_b32 v[2:3], v6, off
.LBB55_2676:
	s_mov_b32 s1, 0
.LBB55_2677:
	s_delay_alu instid0(SALU_CYCLE_1)
	s_and_not1_b32 vcc_lo, exec_lo, s1
	s_cbranch_vccnz .LBB55_2686
; %bb.2678:
	s_cmp_lt_i32 s0, 6
	s_mov_b32 s1, -1
	s_cbranch_scc1 .LBB55_2684
; %bb.2679:
	s_cmp_gt_i32 s0, 6
	s_cbranch_scc0 .LBB55_2681
; %bb.2680:
	s_wait_xcnt 0x0
	v_cvt_f32_f16_e32 v6, v1
	s_mov_b32 s1, 0
	s_delay_alu instid0(VALU_DEP_1)
	v_cvt_f64_f32_e32 v[6:7], v6
	global_store_b64 v[2:3], v[6:7], off
.LBB55_2681:
	s_and_not1_b32 vcc_lo, exec_lo, s1
	s_cbranch_vccnz .LBB55_2683
; %bb.2682:
	s_wait_xcnt 0x0
	v_cvt_f32_f16_e32 v6, v1
	global_store_b32 v[2:3], v6, off
.LBB55_2683:
	s_mov_b32 s1, 0
.LBB55_2684:
	s_delay_alu instid0(SALU_CYCLE_1)
	s_and_not1_b32 vcc_lo, exec_lo, s1
	s_cbranch_vccnz .LBB55_2686
; %bb.2685:
	global_store_b16 v[2:3], v1, off
.LBB55_2686:
	s_mov_b32 s1, 0
.LBB55_2687:
	s_delay_alu instid0(SALU_CYCLE_1)
	s_and_not1_b32 vcc_lo, exec_lo, s1
	s_cbranch_vccnz .LBB55_2703
; %bb.2688:
	s_cmp_lt_i32 s0, 2
	s_mov_b32 s1, -1
	s_cbranch_scc1 .LBB55_2698
; %bb.2689:
	s_cmp_lt_i32 s0, 3
	s_cbranch_scc1 .LBB55_2695
; %bb.2690:
	s_cmp_gt_i32 s0, 3
	s_cbranch_scc0 .LBB55_2692
; %bb.2691:
	s_wait_xcnt 0x0
	v_cvt_f32_f16_e32 v6, v1
	s_mov_b32 s1, 0
	s_delay_alu instid0(VALU_DEP_1) | instskip(NEXT) | instid1(VALU_DEP_1)
	v_cvt_i32_f32_e32 v6, v6
	v_ashrrev_i32_e32 v7, 31, v6
	global_store_b64 v[2:3], v[6:7], off
.LBB55_2692:
	s_and_not1_b32 vcc_lo, exec_lo, s1
	s_cbranch_vccnz .LBB55_2694
; %bb.2693:
	s_wait_xcnt 0x0
	v_cvt_f32_f16_e32 v6, v1
	s_delay_alu instid0(VALU_DEP_1)
	v_cvt_i32_f32_e32 v6, v6
	global_store_b32 v[2:3], v6, off
.LBB55_2694:
	s_mov_b32 s1, 0
.LBB55_2695:
	s_delay_alu instid0(SALU_CYCLE_1)
	s_and_not1_b32 vcc_lo, exec_lo, s1
	s_cbranch_vccnz .LBB55_2697
; %bb.2696:
	s_wait_xcnt 0x0
	v_cvt_i16_f16_e32 v6, v1
	global_store_b16 v[2:3], v6, off
.LBB55_2697:
	s_mov_b32 s1, 0
.LBB55_2698:
	s_delay_alu instid0(SALU_CYCLE_1)
	s_and_not1_b32 vcc_lo, exec_lo, s1
	s_cbranch_vccnz .LBB55_2703
; %bb.2699:
	s_cmp_gt_i32 s0, 0
	s_mov_b32 s0, -1
	s_cbranch_scc0 .LBB55_2701
; %bb.2700:
	s_wait_xcnt 0x0
	v_cvt_i16_f16_e32 v6, v1
	s_mov_b32 s0, 0
	global_store_b8 v[2:3], v6, off
.LBB55_2701:
	s_and_not1_b32 vcc_lo, exec_lo, s0
	s_cbranch_vccnz .LBB55_2703
; %bb.2702:
	s_wait_xcnt 0x0
	v_cvt_f32_f16_e32 v1, v1
	s_delay_alu instid0(VALU_DEP_1)
	v_cvt_i32_f32_e32 v1, v1
	global_store_b8 v[2:3], v1, off
.LBB55_2703:
.LBB55_2704:
	s_lshl_b32 s1, s8, 7
	s_wait_xcnt 0x0
	v_mul_f16_e32 v6, v9, v10
	v_cmp_lt_f16_e32 vcc_lo, 0, v9
	v_add_nc_u32_e32 v0, s1, v0
	s_mov_b32 s6, 0
	s_cmp_lt_i32 s16, 11
	s_mov_b32 s0, -1
	s_delay_alu instid0(VALU_DEP_1) | instskip(NEXT) | instid1(VALU_DEP_1)
	v_ashrrev_i32_e32 v1, 31, v0
	v_add_nc_u64_e32 v[2:3], s[4:5], v[0:1]
	v_cndmask_b32_e32 v1, v6, v9, vcc_lo
	s_cbranch_scc1 .LBB55_2783
; %bb.2705:
	s_and_b32 s2, 0xffff, s16
	s_mov_b32 s7, -1
	s_mov_b32 s3, 0
	s_cmp_gt_i32 s2, 25
	s_mov_b32 s0, 0
	s_cbranch_scc0 .LBB55_2738
; %bb.2706:
	s_cmp_gt_i32 s2, 28
	s_cbranch_scc0 .LBB55_2721
; %bb.2707:
	s_cmp_gt_i32 s2, 43
	;; [unrolled: 3-line block ×3, first 2 shown]
	s_cbranch_scc0 .LBB55_2711
; %bb.2709:
	s_mov_b32 s0, -1
	s_mov_b32 s7, 0
	s_cmp_eq_u32 s2, 46
	s_cbranch_scc0 .LBB55_2711
; %bb.2710:
	v_cvt_f32_f16_e32 v6, v1
	v_cmp_o_f16_e32 vcc_lo, v1, v1
	s_mov_b32 s0, 0
	s_mov_b32 s6, -1
	s_delay_alu instid0(VALU_DEP_2) | instskip(NEXT) | instid1(VALU_DEP_1)
	v_bfe_u32 v7, v6, 16, 1
	v_add3_u32 v6, v6, v7, 0x7fff
	s_delay_alu instid0(VALU_DEP_1) | instskip(NEXT) | instid1(VALU_DEP_1)
	v_lshrrev_b32_e32 v6, 16, v6
	v_cndmask_b32_e32 v6, 0x7fc0, v6, vcc_lo
	global_store_b32 v[2:3], v6, off
.LBB55_2711:
	s_and_b32 vcc_lo, exec_lo, s7
	s_cbranch_vccz .LBB55_2716
; %bb.2712:
	s_cmp_eq_u32 s2, 44
	s_mov_b32 s0, -1
	s_cbranch_scc0 .LBB55_2716
; %bb.2713:
	s_wait_xcnt 0x0
	v_cvt_f32_f16_e32 v6, v1
	v_mov_b32_e32 v7, 0xff
	s_mov_b32 s6, exec_lo
	s_delay_alu instid0(VALU_DEP_2) | instskip(NEXT) | instid1(VALU_DEP_1)
	v_bfe_u32 v8, v6, 23, 8
	v_cmpx_ne_u32_e32 0xff, v8
	s_cbranch_execz .LBB55_2715
; %bb.2714:
	v_and_b32_e32 v7, 0x400000, v6
	v_and_or_b32 v8, 0x3fffff, v6, v8
	v_lshrrev_b32_e32 v6, 23, v6
	s_delay_alu instid0(VALU_DEP_3) | instskip(NEXT) | instid1(VALU_DEP_3)
	v_cmp_ne_u32_e32 vcc_lo, 0, v7
	v_cmp_ne_u32_e64 s0, 0, v8
	s_and_b32 s0, vcc_lo, s0
	s_delay_alu instid0(SALU_CYCLE_1) | instskip(NEXT) | instid1(VALU_DEP_1)
	v_cndmask_b32_e64 v7, 0, 1, s0
	v_add_nc_u32_e32 v7, v6, v7
.LBB55_2715:
	s_or_b32 exec_lo, exec_lo, s6
	s_mov_b32 s0, 0
	s_mov_b32 s6, -1
	global_store_b8 v[2:3], v7, off
.LBB55_2716:
	s_mov_b32 s7, 0
.LBB55_2717:
	s_delay_alu instid0(SALU_CYCLE_1)
	s_and_b32 vcc_lo, exec_lo, s7
	s_cbranch_vccz .LBB55_2720
; %bb.2718:
	s_cmp_eq_u32 s2, 29
	s_mov_b32 s0, -1
	s_cbranch_scc0 .LBB55_2720
; %bb.2719:
	s_wait_xcnt 0x0
	v_cvt_f32_f16_e32 v6, v1
	v_mov_b32_e32 v7, 0
	s_mov_b32 s0, 0
	s_mov_b32 s6, -1
	s_delay_alu instid0(VALU_DEP_2)
	v_cvt_u32_f32_e32 v6, v6
	global_store_b64 v[2:3], v[6:7], off
.LBB55_2720:
	s_mov_b32 s7, 0
.LBB55_2721:
	s_delay_alu instid0(SALU_CYCLE_1)
	s_and_b32 vcc_lo, exec_lo, s7
	s_cbranch_vccz .LBB55_2737
; %bb.2722:
	s_cmp_lt_i32 s2, 27
	s_mov_b32 s6, -1
	s_cbranch_scc1 .LBB55_2728
; %bb.2723:
	s_cmp_gt_i32 s2, 27
	s_cbranch_scc0 .LBB55_2725
; %bb.2724:
	s_wait_xcnt 0x0
	v_cvt_f32_f16_e32 v6, v1
	s_mov_b32 s6, 0
	s_delay_alu instid0(VALU_DEP_1)
	v_cvt_u32_f32_e32 v6, v6
	global_store_b32 v[2:3], v6, off
.LBB55_2725:
	s_and_not1_b32 vcc_lo, exec_lo, s6
	s_cbranch_vccnz .LBB55_2727
; %bb.2726:
	s_wait_xcnt 0x0
	v_cvt_u16_f16_e32 v6, v1
	global_store_b16 v[2:3], v6, off
.LBB55_2727:
	s_mov_b32 s6, 0
.LBB55_2728:
	s_delay_alu instid0(SALU_CYCLE_1)
	s_and_not1_b32 vcc_lo, exec_lo, s6
	s_cbranch_vccnz .LBB55_2736
; %bb.2729:
	s_wait_xcnt 0x0
	v_cvt_f32_f16_e32 v6, v1
	v_mov_b32_e32 v8, 0x80
	s_mov_b32 s6, exec_lo
	s_delay_alu instid0(VALU_DEP_2) | instskip(NEXT) | instid1(VALU_DEP_1)
	v_and_b32_e32 v7, 0x7fffffff, v6
	v_cmpx_gt_u32_e32 0x43800000, v7
	s_cbranch_execz .LBB55_2735
; %bb.2730:
	v_cmp_lt_u32_e32 vcc_lo, 0x3bffffff, v7
	s_mov_b32 s7, 0
                                        ; implicit-def: $vgpr7
	s_and_saveexec_b32 s8, vcc_lo
	s_delay_alu instid0(SALU_CYCLE_1)
	s_xor_b32 s8, exec_lo, s8
	s_cbranch_execz .LBB55_3067
; %bb.2731:
	v_bfe_u32 v7, v6, 20, 1
	s_mov_b32 s7, exec_lo
	s_delay_alu instid0(VALU_DEP_1) | instskip(NEXT) | instid1(VALU_DEP_1)
	v_add3_u32 v7, v6, v7, 0x487ffff
	v_lshrrev_b32_e32 v7, 20, v7
	s_and_not1_saveexec_b32 s8, s8
	s_cbranch_execnz .LBB55_3068
.LBB55_2732:
	s_or_b32 exec_lo, exec_lo, s8
	v_mov_b32_e32 v8, 0
	s_and_saveexec_b32 s8, s7
.LBB55_2733:
	v_lshrrev_b32_e32 v6, 24, v6
	s_delay_alu instid0(VALU_DEP_1)
	v_and_or_b32 v8, 0x80, v6, v7
.LBB55_2734:
	s_or_b32 exec_lo, exec_lo, s8
.LBB55_2735:
	s_delay_alu instid0(SALU_CYCLE_1)
	s_or_b32 exec_lo, exec_lo, s6
	global_store_b8 v[2:3], v8, off
.LBB55_2736:
	s_mov_b32 s6, -1
.LBB55_2737:
	s_mov_b32 s7, 0
.LBB55_2738:
	s_delay_alu instid0(SALU_CYCLE_1)
	s_and_b32 vcc_lo, exec_lo, s7
	s_cbranch_vccz .LBB55_2778
; %bb.2739:
	s_cmp_gt_i32 s2, 22
	s_mov_b32 s3, -1
	s_cbranch_scc0 .LBB55_2771
; %bb.2740:
	s_cmp_lt_i32 s2, 24
	s_cbranch_scc1 .LBB55_2760
; %bb.2741:
	s_cmp_gt_i32 s2, 24
	s_cbranch_scc0 .LBB55_2749
; %bb.2742:
	s_wait_xcnt 0x0
	v_cvt_f32_f16_e32 v6, v1
	v_mov_b32_e32 v8, 0x80
	s_mov_b32 s3, exec_lo
	s_delay_alu instid0(VALU_DEP_2) | instskip(NEXT) | instid1(VALU_DEP_1)
	v_and_b32_e32 v7, 0x7fffffff, v6
	v_cmpx_gt_u32_e32 0x47800000, v7
	s_cbranch_execz .LBB55_2748
; %bb.2743:
	v_cmp_lt_u32_e32 vcc_lo, 0x37ffffff, v7
	s_mov_b32 s6, 0
                                        ; implicit-def: $vgpr7
	s_and_saveexec_b32 s7, vcc_lo
	s_delay_alu instid0(SALU_CYCLE_1)
	s_xor_b32 s7, exec_lo, s7
	s_cbranch_execz .LBB55_3070
; %bb.2744:
	v_bfe_u32 v7, v6, 21, 1
	s_mov_b32 s6, exec_lo
	s_delay_alu instid0(VALU_DEP_1) | instskip(NEXT) | instid1(VALU_DEP_1)
	v_add3_u32 v7, v6, v7, 0x88fffff
	v_lshrrev_b32_e32 v7, 21, v7
	s_and_not1_saveexec_b32 s7, s7
	s_cbranch_execnz .LBB55_3071
.LBB55_2745:
	s_or_b32 exec_lo, exec_lo, s7
	v_mov_b32_e32 v8, 0
	s_and_saveexec_b32 s7, s6
.LBB55_2746:
	v_lshrrev_b32_e32 v6, 24, v6
	s_delay_alu instid0(VALU_DEP_1)
	v_and_or_b32 v8, 0x80, v6, v7
.LBB55_2747:
	s_or_b32 exec_lo, exec_lo, s7
.LBB55_2748:
	s_delay_alu instid0(SALU_CYCLE_1)
	s_or_b32 exec_lo, exec_lo, s3
	s_mov_b32 s3, 0
	global_store_b8 v[2:3], v8, off
.LBB55_2749:
	s_and_b32 vcc_lo, exec_lo, s3
	s_cbranch_vccz .LBB55_2759
; %bb.2750:
	s_wait_xcnt 0x0
	v_cvt_f32_f16_e32 v6, v1
	s_mov_b32 s3, exec_lo
                                        ; implicit-def: $vgpr7
	s_delay_alu instid0(VALU_DEP_1) | instskip(NEXT) | instid1(VALU_DEP_1)
	v_and_b32_e32 v8, 0x7fffffff, v6
	v_cmpx_gt_u32_e32 0x43f00000, v8
	s_xor_b32 s3, exec_lo, s3
	s_cbranch_execz .LBB55_2756
; %bb.2751:
	s_mov_b32 s6, exec_lo
                                        ; implicit-def: $vgpr7
	v_cmpx_lt_u32_e32 0x3c7fffff, v8
	s_xor_b32 s6, exec_lo, s6
; %bb.2752:
	v_bfe_u32 v7, v6, 20, 1
	s_delay_alu instid0(VALU_DEP_1) | instskip(NEXT) | instid1(VALU_DEP_1)
	v_add3_u32 v7, v6, v7, 0x407ffff
	v_and_b32_e32 v8, 0xff00000, v7
	v_lshrrev_b32_e32 v7, 20, v7
	s_delay_alu instid0(VALU_DEP_2) | instskip(NEXT) | instid1(VALU_DEP_2)
	v_cmp_ne_u32_e32 vcc_lo, 0x7f00000, v8
	v_cndmask_b32_e32 v7, 0x7e, v7, vcc_lo
; %bb.2753:
	s_and_not1_saveexec_b32 s6, s6
; %bb.2754:
	v_add_f32_e64 v7, 0x46800000, |v6|
; %bb.2755:
	s_or_b32 exec_lo, exec_lo, s6
                                        ; implicit-def: $vgpr8
.LBB55_2756:
	s_and_not1_saveexec_b32 s3, s3
; %bb.2757:
	v_mov_b32_e32 v7, 0x7f
	v_cmp_lt_u32_e32 vcc_lo, 0x7f800000, v8
	s_delay_alu instid0(VALU_DEP_2)
	v_cndmask_b32_e32 v7, 0x7e, v7, vcc_lo
; %bb.2758:
	s_or_b32 exec_lo, exec_lo, s3
	v_lshrrev_b32_e32 v6, 24, v6
	s_delay_alu instid0(VALU_DEP_1)
	v_and_or_b32 v6, 0x80, v6, v7
	global_store_b8 v[2:3], v6, off
.LBB55_2759:
	s_mov_b32 s3, 0
.LBB55_2760:
	s_delay_alu instid0(SALU_CYCLE_1)
	s_and_not1_b32 vcc_lo, exec_lo, s3
	s_cbranch_vccnz .LBB55_2770
; %bb.2761:
	s_wait_xcnt 0x0
	v_cvt_f32_f16_e32 v6, v1
	s_mov_b32 s3, exec_lo
                                        ; implicit-def: $vgpr7
	s_delay_alu instid0(VALU_DEP_1) | instskip(NEXT) | instid1(VALU_DEP_1)
	v_and_b32_e32 v8, 0x7fffffff, v6
	v_cmpx_gt_u32_e32 0x47800000, v8
	s_xor_b32 s3, exec_lo, s3
	s_cbranch_execz .LBB55_2767
; %bb.2762:
	s_mov_b32 s6, exec_lo
                                        ; implicit-def: $vgpr7
	v_cmpx_lt_u32_e32 0x387fffff, v8
	s_xor_b32 s6, exec_lo, s6
; %bb.2763:
	v_bfe_u32 v7, v6, 21, 1
	s_delay_alu instid0(VALU_DEP_1) | instskip(NEXT) | instid1(VALU_DEP_1)
	v_add3_u32 v7, v6, v7, 0x80fffff
	v_lshrrev_b32_e32 v7, 21, v7
; %bb.2764:
	s_and_not1_saveexec_b32 s6, s6
; %bb.2765:
	v_add_f32_e64 v7, 0x43000000, |v6|
; %bb.2766:
	s_or_b32 exec_lo, exec_lo, s6
                                        ; implicit-def: $vgpr8
.LBB55_2767:
	s_and_not1_saveexec_b32 s3, s3
; %bb.2768:
	v_mov_b32_e32 v7, 0x7f
	v_cmp_lt_u32_e32 vcc_lo, 0x7f800000, v8
	s_delay_alu instid0(VALU_DEP_2)
	v_cndmask_b32_e32 v7, 0x7c, v7, vcc_lo
; %bb.2769:
	s_or_b32 exec_lo, exec_lo, s3
	v_lshrrev_b32_e32 v6, 24, v6
	s_delay_alu instid0(VALU_DEP_1)
	v_and_or_b32 v6, 0x80, v6, v7
	global_store_b8 v[2:3], v6, off
.LBB55_2770:
	s_mov_b32 s3, 0
	s_mov_b32 s6, -1
.LBB55_2771:
	s_and_not1_b32 vcc_lo, exec_lo, s3
	s_mov_b32 s3, 0
	s_cbranch_vccnz .LBB55_2778
; %bb.2772:
	s_cmp_gt_i32 s2, 14
	s_mov_b32 s3, -1
	s_cbranch_scc0 .LBB55_2776
; %bb.2773:
	s_cmp_eq_u32 s2, 15
	s_mov_b32 s0, -1
	s_cbranch_scc0 .LBB55_2775
; %bb.2774:
	s_wait_xcnt 0x0
	v_cvt_f32_f16_e32 v6, v1
	v_cmp_o_f16_e32 vcc_lo, v1, v1
	s_mov_b32 s0, 0
	s_mov_b32 s6, -1
	s_delay_alu instid0(VALU_DEP_2) | instskip(NEXT) | instid1(VALU_DEP_1)
	v_bfe_u32 v7, v6, 16, 1
	v_add3_u32 v6, v6, v7, 0x7fff
	s_delay_alu instid0(VALU_DEP_1) | instskip(NEXT) | instid1(VALU_DEP_1)
	v_lshrrev_b32_e32 v6, 16, v6
	v_cndmask_b32_e32 v6, 0x7fc0, v6, vcc_lo
	global_store_b16 v[2:3], v6, off
.LBB55_2775:
	s_mov_b32 s3, 0
.LBB55_2776:
	s_delay_alu instid0(SALU_CYCLE_1)
	s_and_b32 vcc_lo, exec_lo, s3
	s_mov_b32 s3, 0
	s_cbranch_vccz .LBB55_2778
; %bb.2777:
	s_cmp_lg_u32 s2, 11
	s_mov_b32 s3, -1
	s_cselect_b32 s0, -1, 0
.LBB55_2778:
	s_delay_alu instid0(SALU_CYCLE_1)
	s_and_b32 vcc_lo, exec_lo, s0
	s_cbranch_vccnz .LBB55_3069
; %bb.2779:
	s_and_not1_b32 vcc_lo, exec_lo, s3
	s_cbranch_vccnz .LBB55_2781
.LBB55_2780:
	s_wait_xcnt 0x0
	v_and_b32_e32 v6, 0x7fff, v1
	s_mov_b32 s6, -1
	s_delay_alu instid0(VALU_DEP_1)
	v_cmp_ne_u16_e32 vcc_lo, 0, v6
	v_cndmask_b32_e64 v6, 0, 1, vcc_lo
	global_store_b8 v[2:3], v6, off
.LBB55_2781:
.LBB55_2782:
	s_and_not1_b32 vcc_lo, exec_lo, s6
	s_cbranch_vccz .LBB55_2822
	s_branch .LBB55_3016
.LBB55_2783:
	s_and_b32 vcc_lo, exec_lo, s0
	s_cbranch_vccz .LBB55_2782
; %bb.2784:
	s_and_b32 s0, 0xffff, s16
	s_mov_b32 s2, -1
	s_cmp_lt_i32 s0, 5
	s_cbranch_scc1 .LBB55_2805
; %bb.2785:
	s_cmp_lt_i32 s0, 8
	s_cbranch_scc1 .LBB55_2795
; %bb.2786:
	;; [unrolled: 3-line block ×3, first 2 shown]
	s_cmp_gt_i32 s0, 9
	s_cbranch_scc0 .LBB55_2789
; %bb.2788:
	s_wait_xcnt 0x0
	v_cvt_f32_f16_e32 v6, v1
	v_mov_b32_e32 v8, 0
	s_mov_b32 s2, 0
	s_delay_alu instid0(VALU_DEP_2) | instskip(NEXT) | instid1(VALU_DEP_2)
	v_cvt_f64_f32_e32 v[6:7], v6
	v_mov_b32_e32 v9, v8
	global_store_b128 v[2:3], v[6:9], off
.LBB55_2789:
	s_and_not1_b32 vcc_lo, exec_lo, s2
	s_cbranch_vccnz .LBB55_2791
; %bb.2790:
	s_wait_xcnt 0x0
	v_cvt_f32_f16_e32 v6, v1
	v_mov_b32_e32 v7, 0
	global_store_b64 v[2:3], v[6:7], off
.LBB55_2791:
	s_mov_b32 s2, 0
.LBB55_2792:
	s_delay_alu instid0(SALU_CYCLE_1)
	s_and_not1_b32 vcc_lo, exec_lo, s2
	s_cbranch_vccnz .LBB55_2794
; %bb.2793:
	s_wait_xcnt 0x0
	v_and_b32_e32 v6, 0xffff, v1
	global_store_b32 v[2:3], v6, off
.LBB55_2794:
	s_mov_b32 s2, 0
.LBB55_2795:
	s_delay_alu instid0(SALU_CYCLE_1)
	s_and_not1_b32 vcc_lo, exec_lo, s2
	s_cbranch_vccnz .LBB55_2804
; %bb.2796:
	s_cmp_lt_i32 s0, 6
	s_mov_b32 s2, -1
	s_cbranch_scc1 .LBB55_2802
; %bb.2797:
	s_cmp_gt_i32 s0, 6
	s_cbranch_scc0 .LBB55_2799
; %bb.2798:
	s_wait_xcnt 0x0
	v_cvt_f32_f16_e32 v6, v1
	s_mov_b32 s2, 0
	s_delay_alu instid0(VALU_DEP_1)
	v_cvt_f64_f32_e32 v[6:7], v6
	global_store_b64 v[2:3], v[6:7], off
.LBB55_2799:
	s_and_not1_b32 vcc_lo, exec_lo, s2
	s_cbranch_vccnz .LBB55_2801
; %bb.2800:
	s_wait_xcnt 0x0
	v_cvt_f32_f16_e32 v6, v1
	global_store_b32 v[2:3], v6, off
.LBB55_2801:
	s_mov_b32 s2, 0
.LBB55_2802:
	s_delay_alu instid0(SALU_CYCLE_1)
	s_and_not1_b32 vcc_lo, exec_lo, s2
	s_cbranch_vccnz .LBB55_2804
; %bb.2803:
	global_store_b16 v[2:3], v1, off
.LBB55_2804:
	s_mov_b32 s2, 0
.LBB55_2805:
	s_delay_alu instid0(SALU_CYCLE_1)
	s_and_not1_b32 vcc_lo, exec_lo, s2
	s_cbranch_vccnz .LBB55_2821
; %bb.2806:
	s_cmp_lt_i32 s0, 2
	s_mov_b32 s2, -1
	s_cbranch_scc1 .LBB55_2816
; %bb.2807:
	s_cmp_lt_i32 s0, 3
	s_cbranch_scc1 .LBB55_2813
; %bb.2808:
	s_cmp_gt_i32 s0, 3
	s_cbranch_scc0 .LBB55_2810
; %bb.2809:
	s_wait_xcnt 0x0
	v_cvt_f32_f16_e32 v6, v1
	s_mov_b32 s2, 0
	s_delay_alu instid0(VALU_DEP_1) | instskip(NEXT) | instid1(VALU_DEP_1)
	v_cvt_i32_f32_e32 v6, v6
	v_ashrrev_i32_e32 v7, 31, v6
	global_store_b64 v[2:3], v[6:7], off
.LBB55_2810:
	s_and_not1_b32 vcc_lo, exec_lo, s2
	s_cbranch_vccnz .LBB55_2812
; %bb.2811:
	s_wait_xcnt 0x0
	v_cvt_f32_f16_e32 v6, v1
	s_delay_alu instid0(VALU_DEP_1)
	v_cvt_i32_f32_e32 v6, v6
	global_store_b32 v[2:3], v6, off
.LBB55_2812:
	s_mov_b32 s2, 0
.LBB55_2813:
	s_delay_alu instid0(SALU_CYCLE_1)
	s_and_not1_b32 vcc_lo, exec_lo, s2
	s_cbranch_vccnz .LBB55_2815
; %bb.2814:
	s_wait_xcnt 0x0
	v_cvt_i16_f16_e32 v6, v1
	global_store_b16 v[2:3], v6, off
.LBB55_2815:
	s_mov_b32 s2, 0
.LBB55_2816:
	s_delay_alu instid0(SALU_CYCLE_1)
	s_and_not1_b32 vcc_lo, exec_lo, s2
	s_cbranch_vccnz .LBB55_2821
; %bb.2817:
	s_cmp_gt_i32 s0, 0
	s_mov_b32 s0, -1
	s_cbranch_scc0 .LBB55_2819
; %bb.2818:
	s_wait_xcnt 0x0
	v_cvt_i16_f16_e32 v6, v1
	s_mov_b32 s0, 0
	global_store_b8 v[2:3], v6, off
.LBB55_2819:
	s_and_not1_b32 vcc_lo, exec_lo, s0
	s_cbranch_vccnz .LBB55_2821
; %bb.2820:
	s_wait_xcnt 0x0
	v_cvt_f32_f16_e32 v1, v1
	s_delay_alu instid0(VALU_DEP_1)
	v_cvt_i32_f32_e32 v1, v1
	global_store_b8 v[2:3], v1, off
.LBB55_2821:
.LBB55_2822:
	s_wait_xcnt 0x0
	v_mul_f16_e32 v6, v11, v12
	v_cmp_lt_f16_e32 vcc_lo, 0, v11
	v_add_nc_u32_e32 v0, s1, v0
	s_mov_b32 s6, 0
	s_cmp_lt_i32 s16, 11
	s_mov_b32 s0, -1
	s_delay_alu instid0(VALU_DEP_1) | instskip(NEXT) | instid1(VALU_DEP_1)
	v_ashrrev_i32_e32 v1, 31, v0
	v_add_nc_u64_e32 v[2:3], s[4:5], v[0:1]
	v_cndmask_b32_e32 v1, v6, v11, vcc_lo
	s_cbranch_scc1 .LBB55_2977
; %bb.2823:
	s_and_b32 s2, 0xffff, s16
	s_mov_b32 s7, -1
	s_mov_b32 s3, 0
	s_cmp_gt_i32 s2, 25
	s_mov_b32 s0, 0
	s_cbranch_scc0 .LBB55_2856
; %bb.2824:
	s_cmp_gt_i32 s2, 28
	s_cbranch_scc0 .LBB55_2839
; %bb.2825:
	s_cmp_gt_i32 s2, 43
	;; [unrolled: 3-line block ×3, first 2 shown]
	s_cbranch_scc0 .LBB55_2829
; %bb.2827:
	s_mov_b32 s0, -1
	s_mov_b32 s7, 0
	s_cmp_eq_u32 s2, 46
	s_cbranch_scc0 .LBB55_2829
; %bb.2828:
	v_cvt_f32_f16_e32 v6, v1
	v_cmp_o_f16_e32 vcc_lo, v1, v1
	s_mov_b32 s0, 0
	s_mov_b32 s6, -1
	s_delay_alu instid0(VALU_DEP_2) | instskip(NEXT) | instid1(VALU_DEP_1)
	v_bfe_u32 v7, v6, 16, 1
	v_add3_u32 v6, v6, v7, 0x7fff
	s_delay_alu instid0(VALU_DEP_1) | instskip(NEXT) | instid1(VALU_DEP_1)
	v_lshrrev_b32_e32 v6, 16, v6
	v_cndmask_b32_e32 v6, 0x7fc0, v6, vcc_lo
	global_store_b32 v[2:3], v6, off
.LBB55_2829:
	s_and_b32 vcc_lo, exec_lo, s7
	s_cbranch_vccz .LBB55_2834
; %bb.2830:
	s_cmp_eq_u32 s2, 44
	s_mov_b32 s0, -1
	s_cbranch_scc0 .LBB55_2834
; %bb.2831:
	s_wait_xcnt 0x0
	v_cvt_f32_f16_e32 v6, v1
	v_mov_b32_e32 v7, 0xff
	s_mov_b32 s6, exec_lo
	s_delay_alu instid0(VALU_DEP_2) | instskip(NEXT) | instid1(VALU_DEP_1)
	v_bfe_u32 v8, v6, 23, 8
	v_cmpx_ne_u32_e32 0xff, v8
	s_cbranch_execz .LBB55_2833
; %bb.2832:
	v_and_b32_e32 v7, 0x400000, v6
	v_and_or_b32 v8, 0x3fffff, v6, v8
	v_lshrrev_b32_e32 v6, 23, v6
	s_delay_alu instid0(VALU_DEP_3) | instskip(NEXT) | instid1(VALU_DEP_3)
	v_cmp_ne_u32_e32 vcc_lo, 0, v7
	v_cmp_ne_u32_e64 s0, 0, v8
	s_and_b32 s0, vcc_lo, s0
	s_delay_alu instid0(SALU_CYCLE_1) | instskip(NEXT) | instid1(VALU_DEP_1)
	v_cndmask_b32_e64 v7, 0, 1, s0
	v_add_nc_u32_e32 v7, v6, v7
.LBB55_2833:
	s_or_b32 exec_lo, exec_lo, s6
	s_mov_b32 s0, 0
	s_mov_b32 s6, -1
	global_store_b8 v[2:3], v7, off
.LBB55_2834:
	s_mov_b32 s7, 0
.LBB55_2835:
	s_delay_alu instid0(SALU_CYCLE_1)
	s_and_b32 vcc_lo, exec_lo, s7
	s_cbranch_vccz .LBB55_2838
; %bb.2836:
	s_cmp_eq_u32 s2, 29
	s_mov_b32 s0, -1
	s_cbranch_scc0 .LBB55_2838
; %bb.2837:
	s_wait_xcnt 0x0
	v_cvt_f32_f16_e32 v6, v1
	v_mov_b32_e32 v7, 0
	s_mov_b32 s0, 0
	s_mov_b32 s6, -1
	s_delay_alu instid0(VALU_DEP_2)
	v_cvt_u32_f32_e32 v6, v6
	global_store_b64 v[2:3], v[6:7], off
.LBB55_2838:
	s_mov_b32 s7, 0
.LBB55_2839:
	s_delay_alu instid0(SALU_CYCLE_1)
	s_and_b32 vcc_lo, exec_lo, s7
	s_cbranch_vccz .LBB55_2855
; %bb.2840:
	s_cmp_lt_i32 s2, 27
	s_mov_b32 s6, -1
	s_cbranch_scc1 .LBB55_2846
; %bb.2841:
	s_cmp_gt_i32 s2, 27
	s_cbranch_scc0 .LBB55_2843
; %bb.2842:
	s_wait_xcnt 0x0
	v_cvt_f32_f16_e32 v6, v1
	s_mov_b32 s6, 0
	s_delay_alu instid0(VALU_DEP_1)
	v_cvt_u32_f32_e32 v6, v6
	global_store_b32 v[2:3], v6, off
.LBB55_2843:
	s_and_not1_b32 vcc_lo, exec_lo, s6
	s_cbranch_vccnz .LBB55_2845
; %bb.2844:
	s_wait_xcnt 0x0
	v_cvt_u16_f16_e32 v6, v1
	global_store_b16 v[2:3], v6, off
.LBB55_2845:
	s_mov_b32 s6, 0
.LBB55_2846:
	s_delay_alu instid0(SALU_CYCLE_1)
	s_and_not1_b32 vcc_lo, exec_lo, s6
	s_cbranch_vccnz .LBB55_2854
; %bb.2847:
	s_wait_xcnt 0x0
	v_cvt_f32_f16_e32 v6, v1
	v_mov_b32_e32 v8, 0x80
	s_mov_b32 s6, exec_lo
	s_delay_alu instid0(VALU_DEP_2) | instskip(NEXT) | instid1(VALU_DEP_1)
	v_and_b32_e32 v7, 0x7fffffff, v6
	v_cmpx_gt_u32_e32 0x43800000, v7
	s_cbranch_execz .LBB55_2853
; %bb.2848:
	v_cmp_lt_u32_e32 vcc_lo, 0x3bffffff, v7
	s_mov_b32 s7, 0
                                        ; implicit-def: $vgpr7
	s_and_saveexec_b32 s8, vcc_lo
	s_delay_alu instid0(SALU_CYCLE_1)
	s_xor_b32 s8, exec_lo, s8
	s_cbranch_execz .LBB55_3072
; %bb.2849:
	v_bfe_u32 v7, v6, 20, 1
	s_mov_b32 s7, exec_lo
	s_delay_alu instid0(VALU_DEP_1) | instskip(NEXT) | instid1(VALU_DEP_1)
	v_add3_u32 v7, v6, v7, 0x487ffff
	v_lshrrev_b32_e32 v7, 20, v7
	s_and_not1_saveexec_b32 s8, s8
	s_cbranch_execnz .LBB55_3073
.LBB55_2850:
	s_or_b32 exec_lo, exec_lo, s8
	v_mov_b32_e32 v8, 0
	s_and_saveexec_b32 s8, s7
.LBB55_2851:
	v_lshrrev_b32_e32 v6, 24, v6
	s_delay_alu instid0(VALU_DEP_1)
	v_and_or_b32 v8, 0x80, v6, v7
.LBB55_2852:
	s_or_b32 exec_lo, exec_lo, s8
.LBB55_2853:
	s_delay_alu instid0(SALU_CYCLE_1)
	s_or_b32 exec_lo, exec_lo, s6
	global_store_b8 v[2:3], v8, off
.LBB55_2854:
	s_mov_b32 s6, -1
.LBB55_2855:
	s_mov_b32 s7, 0
.LBB55_2856:
	s_delay_alu instid0(SALU_CYCLE_1)
	s_and_b32 vcc_lo, exec_lo, s7
	s_cbranch_vccz .LBB55_2896
; %bb.2857:
	s_cmp_gt_i32 s2, 22
	s_mov_b32 s3, -1
	s_cbranch_scc0 .LBB55_2889
; %bb.2858:
	s_cmp_lt_i32 s2, 24
	s_cbranch_scc1 .LBB55_2878
; %bb.2859:
	s_cmp_gt_i32 s2, 24
	s_cbranch_scc0 .LBB55_2867
; %bb.2860:
	s_wait_xcnt 0x0
	v_cvt_f32_f16_e32 v6, v1
	v_mov_b32_e32 v8, 0x80
	s_mov_b32 s3, exec_lo
	s_delay_alu instid0(VALU_DEP_2) | instskip(NEXT) | instid1(VALU_DEP_1)
	v_and_b32_e32 v7, 0x7fffffff, v6
	v_cmpx_gt_u32_e32 0x47800000, v7
	s_cbranch_execz .LBB55_2866
; %bb.2861:
	v_cmp_lt_u32_e32 vcc_lo, 0x37ffffff, v7
	s_mov_b32 s6, 0
                                        ; implicit-def: $vgpr7
	s_and_saveexec_b32 s7, vcc_lo
	s_delay_alu instid0(SALU_CYCLE_1)
	s_xor_b32 s7, exec_lo, s7
	s_cbranch_execz .LBB55_3075
; %bb.2862:
	v_bfe_u32 v7, v6, 21, 1
	s_mov_b32 s6, exec_lo
	s_delay_alu instid0(VALU_DEP_1) | instskip(NEXT) | instid1(VALU_DEP_1)
	v_add3_u32 v7, v6, v7, 0x88fffff
	v_lshrrev_b32_e32 v7, 21, v7
	s_and_not1_saveexec_b32 s7, s7
	s_cbranch_execnz .LBB55_3076
.LBB55_2863:
	s_or_b32 exec_lo, exec_lo, s7
	v_mov_b32_e32 v8, 0
	s_and_saveexec_b32 s7, s6
.LBB55_2864:
	v_lshrrev_b32_e32 v6, 24, v6
	s_delay_alu instid0(VALU_DEP_1)
	v_and_or_b32 v8, 0x80, v6, v7
.LBB55_2865:
	s_or_b32 exec_lo, exec_lo, s7
.LBB55_2866:
	s_delay_alu instid0(SALU_CYCLE_1)
	s_or_b32 exec_lo, exec_lo, s3
	s_mov_b32 s3, 0
	global_store_b8 v[2:3], v8, off
.LBB55_2867:
	s_and_b32 vcc_lo, exec_lo, s3
	s_cbranch_vccz .LBB55_2877
; %bb.2868:
	s_wait_xcnt 0x0
	v_cvt_f32_f16_e32 v6, v1
	s_mov_b32 s3, exec_lo
                                        ; implicit-def: $vgpr7
	s_delay_alu instid0(VALU_DEP_1) | instskip(NEXT) | instid1(VALU_DEP_1)
	v_and_b32_e32 v8, 0x7fffffff, v6
	v_cmpx_gt_u32_e32 0x43f00000, v8
	s_xor_b32 s3, exec_lo, s3
	s_cbranch_execz .LBB55_2874
; %bb.2869:
	s_mov_b32 s6, exec_lo
                                        ; implicit-def: $vgpr7
	v_cmpx_lt_u32_e32 0x3c7fffff, v8
	s_xor_b32 s6, exec_lo, s6
; %bb.2870:
	v_bfe_u32 v7, v6, 20, 1
	s_delay_alu instid0(VALU_DEP_1) | instskip(NEXT) | instid1(VALU_DEP_1)
	v_add3_u32 v7, v6, v7, 0x407ffff
	v_and_b32_e32 v8, 0xff00000, v7
	v_lshrrev_b32_e32 v7, 20, v7
	s_delay_alu instid0(VALU_DEP_2) | instskip(NEXT) | instid1(VALU_DEP_2)
	v_cmp_ne_u32_e32 vcc_lo, 0x7f00000, v8
	v_cndmask_b32_e32 v7, 0x7e, v7, vcc_lo
; %bb.2871:
	s_and_not1_saveexec_b32 s6, s6
; %bb.2872:
	v_add_f32_e64 v7, 0x46800000, |v6|
; %bb.2873:
	s_or_b32 exec_lo, exec_lo, s6
                                        ; implicit-def: $vgpr8
.LBB55_2874:
	s_and_not1_saveexec_b32 s3, s3
; %bb.2875:
	v_mov_b32_e32 v7, 0x7f
	v_cmp_lt_u32_e32 vcc_lo, 0x7f800000, v8
	s_delay_alu instid0(VALU_DEP_2)
	v_cndmask_b32_e32 v7, 0x7e, v7, vcc_lo
; %bb.2876:
	s_or_b32 exec_lo, exec_lo, s3
	v_lshrrev_b32_e32 v6, 24, v6
	s_delay_alu instid0(VALU_DEP_1)
	v_and_or_b32 v6, 0x80, v6, v7
	global_store_b8 v[2:3], v6, off
.LBB55_2877:
	s_mov_b32 s3, 0
.LBB55_2878:
	s_delay_alu instid0(SALU_CYCLE_1)
	s_and_not1_b32 vcc_lo, exec_lo, s3
	s_cbranch_vccnz .LBB55_2888
; %bb.2879:
	s_wait_xcnt 0x0
	v_cvt_f32_f16_e32 v6, v1
	s_mov_b32 s3, exec_lo
                                        ; implicit-def: $vgpr7
	s_delay_alu instid0(VALU_DEP_1) | instskip(NEXT) | instid1(VALU_DEP_1)
	v_and_b32_e32 v8, 0x7fffffff, v6
	v_cmpx_gt_u32_e32 0x47800000, v8
	s_xor_b32 s3, exec_lo, s3
	s_cbranch_execz .LBB55_2885
; %bb.2880:
	s_mov_b32 s6, exec_lo
                                        ; implicit-def: $vgpr7
	v_cmpx_lt_u32_e32 0x387fffff, v8
	s_xor_b32 s6, exec_lo, s6
; %bb.2881:
	v_bfe_u32 v7, v6, 21, 1
	s_delay_alu instid0(VALU_DEP_1) | instskip(NEXT) | instid1(VALU_DEP_1)
	v_add3_u32 v7, v6, v7, 0x80fffff
	v_lshrrev_b32_e32 v7, 21, v7
; %bb.2882:
	s_and_not1_saveexec_b32 s6, s6
; %bb.2883:
	v_add_f32_e64 v7, 0x43000000, |v6|
; %bb.2884:
	s_or_b32 exec_lo, exec_lo, s6
                                        ; implicit-def: $vgpr8
.LBB55_2885:
	s_and_not1_saveexec_b32 s3, s3
; %bb.2886:
	v_mov_b32_e32 v7, 0x7f
	v_cmp_lt_u32_e32 vcc_lo, 0x7f800000, v8
	s_delay_alu instid0(VALU_DEP_2)
	v_cndmask_b32_e32 v7, 0x7c, v7, vcc_lo
; %bb.2887:
	s_or_b32 exec_lo, exec_lo, s3
	v_lshrrev_b32_e32 v6, 24, v6
	s_delay_alu instid0(VALU_DEP_1)
	v_and_or_b32 v6, 0x80, v6, v7
	global_store_b8 v[2:3], v6, off
.LBB55_2888:
	s_mov_b32 s3, 0
	s_mov_b32 s6, -1
.LBB55_2889:
	s_and_not1_b32 vcc_lo, exec_lo, s3
	s_mov_b32 s3, 0
	s_cbranch_vccnz .LBB55_2896
; %bb.2890:
	s_cmp_gt_i32 s2, 14
	s_mov_b32 s3, -1
	s_cbranch_scc0 .LBB55_2894
; %bb.2891:
	s_cmp_eq_u32 s2, 15
	s_mov_b32 s0, -1
	s_cbranch_scc0 .LBB55_2893
; %bb.2892:
	s_wait_xcnt 0x0
	v_cvt_f32_f16_e32 v6, v1
	v_cmp_o_f16_e32 vcc_lo, v1, v1
	s_mov_b32 s0, 0
	s_mov_b32 s6, -1
	s_delay_alu instid0(VALU_DEP_2) | instskip(NEXT) | instid1(VALU_DEP_1)
	v_bfe_u32 v7, v6, 16, 1
	v_add3_u32 v6, v6, v7, 0x7fff
	s_delay_alu instid0(VALU_DEP_1) | instskip(NEXT) | instid1(VALU_DEP_1)
	v_lshrrev_b32_e32 v6, 16, v6
	v_cndmask_b32_e32 v6, 0x7fc0, v6, vcc_lo
	global_store_b16 v[2:3], v6, off
.LBB55_2893:
	s_mov_b32 s3, 0
.LBB55_2894:
	s_delay_alu instid0(SALU_CYCLE_1)
	s_and_b32 vcc_lo, exec_lo, s3
	s_mov_b32 s3, 0
	s_cbranch_vccz .LBB55_2896
; %bb.2895:
	s_cmp_lg_u32 s2, 11
	s_mov_b32 s3, -1
	s_cselect_b32 s0, -1, 0
.LBB55_2896:
	s_delay_alu instid0(SALU_CYCLE_1)
	s_and_b32 vcc_lo, exec_lo, s0
	s_cbranch_vccnz .LBB55_3074
; %bb.2897:
	s_and_not1_b32 vcc_lo, exec_lo, s3
	s_cbranch_vccnz .LBB55_2899
.LBB55_2898:
	s_wait_xcnt 0x0
	v_and_b32_e32 v6, 0x7fff, v1
	s_mov_b32 s6, -1
	s_delay_alu instid0(VALU_DEP_1)
	v_cmp_ne_u16_e32 vcc_lo, 0, v6
	v_cndmask_b32_e64 v6, 0, 1, vcc_lo
	global_store_b8 v[2:3], v6, off
.LBB55_2899:
.LBB55_2900:
	s_and_not1_b32 vcc_lo, exec_lo, s6
	s_cbranch_vccnz .LBB55_3016
.LBB55_2901:
	v_add_nc_u32_e32 v0, s1, v0
	s_wait_xcnt 0x0
	v_mul_f16_e32 v2, v4, v5
	v_cmp_lt_f16_e32 vcc_lo, 0, v4
	s_mov_b32 s2, 0
	s_cmp_lt_i32 s16, 11
	v_ashrrev_i32_e32 v1, 31, v0
	s_mov_b32 s0, -1
	v_cndmask_b32_e32 v2, v2, v4, vcc_lo
	s_delay_alu instid0(VALU_DEP_2)
	v_add_nc_u64_e32 v[0:1], s[4:5], v[0:1]
	s_cbranch_scc1 .LBB55_3017
; %bb.2902:
	s_and_b32 s1, 0xffff, s16
	s_mov_b32 s3, -1
	s_cmp_gt_i32 s1, 25
	s_mov_b32 s0, 0
	s_cbranch_scc0 .LBB55_2935
; %bb.2903:
	s_cmp_gt_i32 s1, 28
	s_cbranch_scc0 .LBB55_2919
; %bb.2904:
	s_cmp_gt_i32 s1, 43
	;; [unrolled: 3-line block ×3, first 2 shown]
	s_cbranch_scc0 .LBB55_2909
; %bb.2906:
	s_cmp_eq_u32 s1, 46
	s_mov_b32 s0, -1
	s_cbranch_scc0 .LBB55_2908
; %bb.2907:
	v_cvt_f32_f16_e32 v3, v2
	v_cmp_o_f16_e32 vcc_lo, v2, v2
	s_mov_b32 s0, 0
	s_delay_alu instid0(VALU_DEP_2) | instskip(NEXT) | instid1(VALU_DEP_1)
	v_bfe_u32 v4, v3, 16, 1
	v_add3_u32 v3, v3, v4, 0x7fff
	s_delay_alu instid0(VALU_DEP_1) | instskip(NEXT) | instid1(VALU_DEP_1)
	v_lshrrev_b32_e32 v3, 16, v3
	v_cndmask_b32_e32 v3, 0x7fc0, v3, vcc_lo
	global_store_b32 v[0:1], v3, off
.LBB55_2908:
	s_mov_b32 s3, 0
.LBB55_2909:
	s_delay_alu instid0(SALU_CYCLE_1)
	s_and_b32 vcc_lo, exec_lo, s3
	s_cbranch_vccz .LBB55_2914
; %bb.2910:
	s_cmp_eq_u32 s1, 44
	s_mov_b32 s0, -1
	s_cbranch_scc0 .LBB55_2914
; %bb.2911:
	s_wait_xcnt 0x0
	v_cvt_f32_f16_e32 v3, v2
	v_mov_b32_e32 v4, 0xff
	s_mov_b32 s3, exec_lo
	s_delay_alu instid0(VALU_DEP_2) | instskip(NEXT) | instid1(VALU_DEP_1)
	v_bfe_u32 v5, v3, 23, 8
	v_cmpx_ne_u32_e32 0xff, v5
	s_cbranch_execz .LBB55_2913
; %bb.2912:
	v_and_b32_e32 v4, 0x400000, v3
	v_and_or_b32 v5, 0x3fffff, v3, v5
	v_lshrrev_b32_e32 v3, 23, v3
	s_delay_alu instid0(VALU_DEP_3) | instskip(NEXT) | instid1(VALU_DEP_3)
	v_cmp_ne_u32_e32 vcc_lo, 0, v4
	v_cmp_ne_u32_e64 s0, 0, v5
	s_and_b32 s0, vcc_lo, s0
	s_delay_alu instid0(SALU_CYCLE_1) | instskip(NEXT) | instid1(VALU_DEP_1)
	v_cndmask_b32_e64 v4, 0, 1, s0
	v_add_nc_u32_e32 v4, v3, v4
.LBB55_2913:
	s_or_b32 exec_lo, exec_lo, s3
	s_mov_b32 s0, 0
	global_store_b8 v[0:1], v4, off
.LBB55_2914:
	s_mov_b32 s3, 0
.LBB55_2915:
	s_delay_alu instid0(SALU_CYCLE_1)
	s_and_b32 vcc_lo, exec_lo, s3
	s_cbranch_vccz .LBB55_2918
; %bb.2916:
	s_cmp_eq_u32 s1, 29
	s_mov_b32 s0, -1
	s_cbranch_scc0 .LBB55_2918
; %bb.2917:
	s_wait_xcnt 0x0
	v_cvt_f32_f16_e32 v3, v2
	v_mov_b32_e32 v5, 0
	s_mov_b32 s0, 0
	s_delay_alu instid0(VALU_DEP_2)
	v_cvt_u32_f32_e32 v4, v3
	global_store_b64 v[0:1], v[4:5], off
.LBB55_2918:
	s_mov_b32 s3, 0
.LBB55_2919:
	s_delay_alu instid0(SALU_CYCLE_1)
	s_and_b32 vcc_lo, exec_lo, s3
	s_cbranch_vccz .LBB55_2934
; %bb.2920:
	s_cmp_lt_i32 s1, 27
	s_mov_b32 s3, -1
	s_cbranch_scc1 .LBB55_2926
; %bb.2921:
	s_cmp_gt_i32 s1, 27
	s_cbranch_scc0 .LBB55_2923
; %bb.2922:
	s_wait_xcnt 0x0
	v_cvt_f32_f16_e32 v3, v2
	s_mov_b32 s3, 0
	s_delay_alu instid0(VALU_DEP_1)
	v_cvt_u32_f32_e32 v3, v3
	global_store_b32 v[0:1], v3, off
.LBB55_2923:
	s_and_not1_b32 vcc_lo, exec_lo, s3
	s_cbranch_vccnz .LBB55_2925
; %bb.2924:
	s_wait_xcnt 0x0
	v_cvt_u16_f16_e32 v3, v2
	global_store_b16 v[0:1], v3, off
.LBB55_2925:
	s_mov_b32 s3, 0
.LBB55_2926:
	s_delay_alu instid0(SALU_CYCLE_1)
	s_and_not1_b32 vcc_lo, exec_lo, s3
	s_cbranch_vccnz .LBB55_2934
; %bb.2927:
	s_wait_xcnt 0x0
	v_cvt_f32_f16_e32 v3, v2
	v_mov_b32_e32 v5, 0x80
	s_mov_b32 s3, exec_lo
	s_delay_alu instid0(VALU_DEP_2) | instskip(NEXT) | instid1(VALU_DEP_1)
	v_and_b32_e32 v4, 0x7fffffff, v3
	v_cmpx_gt_u32_e32 0x43800000, v4
	s_cbranch_execz .LBB55_2933
; %bb.2928:
	v_cmp_lt_u32_e32 vcc_lo, 0x3bffffff, v4
	s_mov_b32 s4, 0
                                        ; implicit-def: $vgpr4
	s_and_saveexec_b32 s5, vcc_lo
	s_delay_alu instid0(SALU_CYCLE_1)
	s_xor_b32 s5, exec_lo, s5
	s_cbranch_execz .LBB55_3077
; %bb.2929:
	v_bfe_u32 v4, v3, 20, 1
	s_mov_b32 s4, exec_lo
	s_delay_alu instid0(VALU_DEP_1) | instskip(NEXT) | instid1(VALU_DEP_1)
	v_add3_u32 v4, v3, v4, 0x487ffff
	v_lshrrev_b32_e32 v4, 20, v4
	s_and_not1_saveexec_b32 s5, s5
	s_cbranch_execnz .LBB55_3078
.LBB55_2930:
	s_or_b32 exec_lo, exec_lo, s5
	v_mov_b32_e32 v5, 0
	s_and_saveexec_b32 s5, s4
.LBB55_2931:
	v_lshrrev_b32_e32 v3, 24, v3
	s_delay_alu instid0(VALU_DEP_1)
	v_and_or_b32 v5, 0x80, v3, v4
.LBB55_2932:
	s_or_b32 exec_lo, exec_lo, s5
.LBB55_2933:
	s_delay_alu instid0(SALU_CYCLE_1)
	s_or_b32 exec_lo, exec_lo, s3
	global_store_b8 v[0:1], v5, off
.LBB55_2934:
	s_mov_b32 s3, 0
.LBB55_2935:
	s_delay_alu instid0(SALU_CYCLE_1)
	s_and_b32 vcc_lo, exec_lo, s3
	s_cbranch_vccz .LBB55_2975
; %bb.2936:
	s_cmp_gt_i32 s1, 22
	s_mov_b32 s2, -1
	s_cbranch_scc0 .LBB55_2968
; %bb.2937:
	s_cmp_lt_i32 s1, 24
	s_cbranch_scc1 .LBB55_2957
; %bb.2938:
	s_cmp_gt_i32 s1, 24
	s_cbranch_scc0 .LBB55_2946
; %bb.2939:
	s_wait_xcnt 0x0
	v_cvt_f32_f16_e32 v3, v2
	v_mov_b32_e32 v5, 0x80
	s_mov_b32 s2, exec_lo
	s_delay_alu instid0(VALU_DEP_2) | instskip(NEXT) | instid1(VALU_DEP_1)
	v_and_b32_e32 v4, 0x7fffffff, v3
	v_cmpx_gt_u32_e32 0x47800000, v4
	s_cbranch_execz .LBB55_2945
; %bb.2940:
	v_cmp_lt_u32_e32 vcc_lo, 0x37ffffff, v4
	s_mov_b32 s3, 0
                                        ; implicit-def: $vgpr4
	s_and_saveexec_b32 s4, vcc_lo
	s_delay_alu instid0(SALU_CYCLE_1)
	s_xor_b32 s4, exec_lo, s4
	s_cbranch_execz .LBB55_3080
; %bb.2941:
	v_bfe_u32 v4, v3, 21, 1
	s_mov_b32 s3, exec_lo
	s_delay_alu instid0(VALU_DEP_1) | instskip(NEXT) | instid1(VALU_DEP_1)
	v_add3_u32 v4, v3, v4, 0x88fffff
	v_lshrrev_b32_e32 v4, 21, v4
	s_and_not1_saveexec_b32 s4, s4
	s_cbranch_execnz .LBB55_3081
.LBB55_2942:
	s_or_b32 exec_lo, exec_lo, s4
	v_mov_b32_e32 v5, 0
	s_and_saveexec_b32 s4, s3
.LBB55_2943:
	v_lshrrev_b32_e32 v3, 24, v3
	s_delay_alu instid0(VALU_DEP_1)
	v_and_or_b32 v5, 0x80, v3, v4
.LBB55_2944:
	s_or_b32 exec_lo, exec_lo, s4
.LBB55_2945:
	s_delay_alu instid0(SALU_CYCLE_1)
	s_or_b32 exec_lo, exec_lo, s2
	s_mov_b32 s2, 0
	global_store_b8 v[0:1], v5, off
.LBB55_2946:
	s_and_b32 vcc_lo, exec_lo, s2
	s_cbranch_vccz .LBB55_2956
; %bb.2947:
	s_wait_xcnt 0x0
	v_cvt_f32_f16_e32 v3, v2
	s_mov_b32 s2, exec_lo
                                        ; implicit-def: $vgpr4
	s_delay_alu instid0(VALU_DEP_1) | instskip(NEXT) | instid1(VALU_DEP_1)
	v_and_b32_e32 v5, 0x7fffffff, v3
	v_cmpx_gt_u32_e32 0x43f00000, v5
	s_xor_b32 s2, exec_lo, s2
	s_cbranch_execz .LBB55_2953
; %bb.2948:
	s_mov_b32 s3, exec_lo
                                        ; implicit-def: $vgpr4
	v_cmpx_lt_u32_e32 0x3c7fffff, v5
	s_xor_b32 s3, exec_lo, s3
; %bb.2949:
	v_bfe_u32 v4, v3, 20, 1
	s_delay_alu instid0(VALU_DEP_1) | instskip(NEXT) | instid1(VALU_DEP_1)
	v_add3_u32 v4, v3, v4, 0x407ffff
	v_and_b32_e32 v5, 0xff00000, v4
	v_lshrrev_b32_e32 v4, 20, v4
	s_delay_alu instid0(VALU_DEP_2) | instskip(NEXT) | instid1(VALU_DEP_2)
	v_cmp_ne_u32_e32 vcc_lo, 0x7f00000, v5
	v_cndmask_b32_e32 v4, 0x7e, v4, vcc_lo
; %bb.2950:
	s_and_not1_saveexec_b32 s3, s3
; %bb.2951:
	v_add_f32_e64 v4, 0x46800000, |v3|
; %bb.2952:
	s_or_b32 exec_lo, exec_lo, s3
                                        ; implicit-def: $vgpr5
.LBB55_2953:
	s_and_not1_saveexec_b32 s2, s2
; %bb.2954:
	v_mov_b32_e32 v4, 0x7f
	v_cmp_lt_u32_e32 vcc_lo, 0x7f800000, v5
	s_delay_alu instid0(VALU_DEP_2)
	v_cndmask_b32_e32 v4, 0x7e, v4, vcc_lo
; %bb.2955:
	s_or_b32 exec_lo, exec_lo, s2
	v_lshrrev_b32_e32 v3, 24, v3
	s_delay_alu instid0(VALU_DEP_1)
	v_and_or_b32 v3, 0x80, v3, v4
	global_store_b8 v[0:1], v3, off
.LBB55_2956:
	s_mov_b32 s2, 0
.LBB55_2957:
	s_delay_alu instid0(SALU_CYCLE_1)
	s_and_not1_b32 vcc_lo, exec_lo, s2
	s_cbranch_vccnz .LBB55_2967
; %bb.2958:
	s_wait_xcnt 0x0
	v_cvt_f32_f16_e32 v3, v2
	s_mov_b32 s2, exec_lo
                                        ; implicit-def: $vgpr4
	s_delay_alu instid0(VALU_DEP_1) | instskip(NEXT) | instid1(VALU_DEP_1)
	v_and_b32_e32 v5, 0x7fffffff, v3
	v_cmpx_gt_u32_e32 0x47800000, v5
	s_xor_b32 s2, exec_lo, s2
	s_cbranch_execz .LBB55_2964
; %bb.2959:
	s_mov_b32 s3, exec_lo
                                        ; implicit-def: $vgpr4
	v_cmpx_lt_u32_e32 0x387fffff, v5
	s_xor_b32 s3, exec_lo, s3
; %bb.2960:
	v_bfe_u32 v4, v3, 21, 1
	s_delay_alu instid0(VALU_DEP_1) | instskip(NEXT) | instid1(VALU_DEP_1)
	v_add3_u32 v4, v3, v4, 0x80fffff
	v_lshrrev_b32_e32 v4, 21, v4
; %bb.2961:
	s_and_not1_saveexec_b32 s3, s3
; %bb.2962:
	v_add_f32_e64 v4, 0x43000000, |v3|
; %bb.2963:
	s_or_b32 exec_lo, exec_lo, s3
                                        ; implicit-def: $vgpr5
.LBB55_2964:
	s_and_not1_saveexec_b32 s2, s2
; %bb.2965:
	v_mov_b32_e32 v4, 0x7f
	v_cmp_lt_u32_e32 vcc_lo, 0x7f800000, v5
	s_delay_alu instid0(VALU_DEP_2)
	v_cndmask_b32_e32 v4, 0x7c, v4, vcc_lo
; %bb.2966:
	s_or_b32 exec_lo, exec_lo, s2
	v_lshrrev_b32_e32 v3, 24, v3
	s_delay_alu instid0(VALU_DEP_1)
	v_and_or_b32 v3, 0x80, v3, v4
	global_store_b8 v[0:1], v3, off
.LBB55_2967:
	s_mov_b32 s2, 0
.LBB55_2968:
	s_delay_alu instid0(SALU_CYCLE_1)
	s_and_not1_b32 vcc_lo, exec_lo, s2
	s_mov_b32 s2, 0
	s_cbranch_vccnz .LBB55_2975
; %bb.2969:
	s_cmp_gt_i32 s1, 14
	s_mov_b32 s2, -1
	s_cbranch_scc0 .LBB55_2973
; %bb.2970:
	s_cmp_eq_u32 s1, 15
	s_mov_b32 s0, -1
	s_cbranch_scc0 .LBB55_2972
; %bb.2971:
	s_wait_xcnt 0x0
	v_cvt_f32_f16_e32 v3, v2
	v_cmp_o_f16_e32 vcc_lo, v2, v2
	s_mov_b32 s0, 0
	s_delay_alu instid0(VALU_DEP_2) | instskip(NEXT) | instid1(VALU_DEP_1)
	v_bfe_u32 v4, v3, 16, 1
	v_add3_u32 v3, v3, v4, 0x7fff
	s_delay_alu instid0(VALU_DEP_1) | instskip(NEXT) | instid1(VALU_DEP_1)
	v_lshrrev_b32_e32 v3, 16, v3
	v_cndmask_b32_e32 v3, 0x7fc0, v3, vcc_lo
	global_store_b16 v[0:1], v3, off
.LBB55_2972:
	s_mov_b32 s2, 0
.LBB55_2973:
	s_delay_alu instid0(SALU_CYCLE_1)
	s_and_b32 vcc_lo, exec_lo, s2
	s_mov_b32 s2, 0
	s_cbranch_vccz .LBB55_2975
; %bb.2974:
	s_cmp_lg_u32 s1, 11
	s_mov_b32 s2, -1
	s_cselect_b32 s0, -1, 0
.LBB55_2975:
	s_delay_alu instid0(SALU_CYCLE_1)
	s_and_b32 vcc_lo, exec_lo, s0
	s_cbranch_vccnz .LBB55_3079
.LBB55_2976:
	s_mov_b32 s0, 0
	s_branch .LBB55_3017
.LBB55_2977:
	s_and_b32 vcc_lo, exec_lo, s0
	s_cbranch_vccz .LBB55_2900
; %bb.2978:
	s_and_b32 s0, 0xffff, s16
	s_mov_b32 s2, -1
	s_cmp_lt_i32 s0, 5
	s_cbranch_scc1 .LBB55_2999
; %bb.2979:
	s_cmp_lt_i32 s0, 8
	s_cbranch_scc1 .LBB55_2989
; %bb.2980:
	;; [unrolled: 3-line block ×3, first 2 shown]
	s_cmp_gt_i32 s0, 9
	s_cbranch_scc0 .LBB55_2983
; %bb.2982:
	s_wait_xcnt 0x0
	v_cvt_f32_f16_e32 v6, v1
	v_mov_b32_e32 v8, 0
	s_mov_b32 s2, 0
	s_delay_alu instid0(VALU_DEP_2) | instskip(NEXT) | instid1(VALU_DEP_2)
	v_cvt_f64_f32_e32 v[6:7], v6
	v_mov_b32_e32 v9, v8
	global_store_b128 v[2:3], v[6:9], off
.LBB55_2983:
	s_and_not1_b32 vcc_lo, exec_lo, s2
	s_cbranch_vccnz .LBB55_2985
; %bb.2984:
	s_wait_xcnt 0x0
	v_cvt_f32_f16_e32 v6, v1
	v_mov_b32_e32 v7, 0
	global_store_b64 v[2:3], v[6:7], off
.LBB55_2985:
	s_mov_b32 s2, 0
.LBB55_2986:
	s_delay_alu instid0(SALU_CYCLE_1)
	s_and_not1_b32 vcc_lo, exec_lo, s2
	s_cbranch_vccnz .LBB55_2988
; %bb.2987:
	s_wait_xcnt 0x0
	v_and_b32_e32 v6, 0xffff, v1
	global_store_b32 v[2:3], v6, off
.LBB55_2988:
	s_mov_b32 s2, 0
.LBB55_2989:
	s_delay_alu instid0(SALU_CYCLE_1)
	s_and_not1_b32 vcc_lo, exec_lo, s2
	s_cbranch_vccnz .LBB55_2998
; %bb.2990:
	s_cmp_lt_i32 s0, 6
	s_mov_b32 s2, -1
	s_cbranch_scc1 .LBB55_2996
; %bb.2991:
	s_cmp_gt_i32 s0, 6
	s_cbranch_scc0 .LBB55_2993
; %bb.2992:
	s_wait_xcnt 0x0
	v_cvt_f32_f16_e32 v6, v1
	s_mov_b32 s2, 0
	s_delay_alu instid0(VALU_DEP_1)
	v_cvt_f64_f32_e32 v[6:7], v6
	global_store_b64 v[2:3], v[6:7], off
.LBB55_2993:
	s_and_not1_b32 vcc_lo, exec_lo, s2
	s_cbranch_vccnz .LBB55_2995
; %bb.2994:
	s_wait_xcnt 0x0
	v_cvt_f32_f16_e32 v6, v1
	global_store_b32 v[2:3], v6, off
.LBB55_2995:
	s_mov_b32 s2, 0
.LBB55_2996:
	s_delay_alu instid0(SALU_CYCLE_1)
	s_and_not1_b32 vcc_lo, exec_lo, s2
	s_cbranch_vccnz .LBB55_2998
; %bb.2997:
	global_store_b16 v[2:3], v1, off
.LBB55_2998:
	s_mov_b32 s2, 0
.LBB55_2999:
	s_delay_alu instid0(SALU_CYCLE_1)
	s_and_not1_b32 vcc_lo, exec_lo, s2
	s_cbranch_vccnz .LBB55_3015
; %bb.3000:
	s_cmp_lt_i32 s0, 2
	s_mov_b32 s2, -1
	s_cbranch_scc1 .LBB55_3010
; %bb.3001:
	s_cmp_lt_i32 s0, 3
	s_cbranch_scc1 .LBB55_3007
; %bb.3002:
	s_cmp_gt_i32 s0, 3
	s_cbranch_scc0 .LBB55_3004
; %bb.3003:
	s_wait_xcnt 0x0
	v_cvt_f32_f16_e32 v6, v1
	s_mov_b32 s2, 0
	s_delay_alu instid0(VALU_DEP_1) | instskip(NEXT) | instid1(VALU_DEP_1)
	v_cvt_i32_f32_e32 v6, v6
	v_ashrrev_i32_e32 v7, 31, v6
	global_store_b64 v[2:3], v[6:7], off
.LBB55_3004:
	s_and_not1_b32 vcc_lo, exec_lo, s2
	s_cbranch_vccnz .LBB55_3006
; %bb.3005:
	s_wait_xcnt 0x0
	v_cvt_f32_f16_e32 v6, v1
	s_delay_alu instid0(VALU_DEP_1)
	v_cvt_i32_f32_e32 v6, v6
	global_store_b32 v[2:3], v6, off
.LBB55_3006:
	s_mov_b32 s2, 0
.LBB55_3007:
	s_delay_alu instid0(SALU_CYCLE_1)
	s_and_not1_b32 vcc_lo, exec_lo, s2
	s_cbranch_vccnz .LBB55_3009
; %bb.3008:
	s_wait_xcnt 0x0
	v_cvt_i16_f16_e32 v6, v1
	global_store_b16 v[2:3], v6, off
.LBB55_3009:
	s_mov_b32 s2, 0
.LBB55_3010:
	s_delay_alu instid0(SALU_CYCLE_1)
	s_and_not1_b32 vcc_lo, exec_lo, s2
	s_cbranch_vccnz .LBB55_3015
; %bb.3011:
	s_cmp_gt_i32 s0, 0
	s_mov_b32 s0, -1
	s_cbranch_scc0 .LBB55_3013
; %bb.3012:
	s_wait_xcnt 0x0
	v_cvt_i16_f16_e32 v6, v1
	s_mov_b32 s0, 0
	global_store_b8 v[2:3], v6, off
.LBB55_3013:
	s_and_not1_b32 vcc_lo, exec_lo, s0
	s_cbranch_vccnz .LBB55_3015
; %bb.3014:
	s_wait_xcnt 0x0
	v_cvt_f32_f16_e32 v1, v1
	s_delay_alu instid0(VALU_DEP_1)
	v_cvt_i32_f32_e32 v1, v1
	global_store_b8 v[2:3], v1, off
.LBB55_3015:
	s_branch .LBB55_2901
.LBB55_3016:
	s_mov_b32 s0, 0
	s_mov_b32 s2, 0
                                        ; implicit-def: $sgpr16
                                        ; implicit-def: $vgpr0_vgpr1
                                        ; implicit-def: $vgpr2
.LBB55_3017:
	s_and_not1_b32 s1, s15, exec_lo
	s_and_b32 s3, s12, exec_lo
	s_and_b32 s0, s0, exec_lo
	;; [unrolled: 1-line block ×3, first 2 shown]
	s_or_b32 s15, s1, s3
.LBB55_3018:
	s_wait_xcnt 0x0
	s_or_b32 exec_lo, exec_lo, s14
	s_and_saveexec_b32 s1, s15
	s_cbranch_execz .LBB55_3021
; %bb.3019:
	; divergent unreachable
	s_or_b32 exec_lo, exec_lo, s1
	s_and_saveexec_b32 s1, s12
	s_delay_alu instid0(SALU_CYCLE_1)
	s_xor_b32 s1, exec_lo, s1
	s_cbranch_execnz .LBB55_3022
.LBB55_3020:
	s_or_b32 exec_lo, exec_lo, s1
	s_and_saveexec_b32 s1, s0
	s_cbranch_execnz .LBB55_3023
	s_branch .LBB55_3060
.LBB55_3021:
	s_or_b32 exec_lo, exec_lo, s1
	s_and_saveexec_b32 s1, s12
	s_delay_alu instid0(SALU_CYCLE_1)
	s_xor_b32 s1, exec_lo, s1
	s_cbranch_execz .LBB55_3020
.LBB55_3022:
	s_wait_loadcnt 0x0
	v_and_b32_e32 v3, 0x7fff, v2
	s_delay_alu instid0(VALU_DEP_1)
	v_cmp_ne_u16_e32 vcc_lo, 0, v3
	v_cndmask_b32_e64 v3, 0, 1, vcc_lo
	global_store_b8 v[0:1], v3, off
	s_wait_xcnt 0x0
	s_or_b32 exec_lo, exec_lo, s1
	s_and_saveexec_b32 s1, s0
	s_cbranch_execz .LBB55_3060
.LBB55_3023:
	s_sext_i32_i16 s1, s16
	s_mov_b32 s0, -1
	s_cmp_lt_i32 s1, 5
	s_cbranch_scc1 .LBB55_3044
; %bb.3024:
	s_cmp_lt_i32 s1, 8
	s_cbranch_scc1 .LBB55_3034
; %bb.3025:
	;; [unrolled: 3-line block ×3, first 2 shown]
	s_cmp_gt_i32 s1, 9
	s_cbranch_scc0 .LBB55_3028
; %bb.3027:
	s_wait_loadcnt 0x0
	v_cvt_f32_f16_e32 v3, v2
	v_mov_b32_e32 v6, 0
	s_mov_b32 s0, 0
	s_delay_alu instid0(VALU_DEP_2) | instskip(NEXT) | instid1(VALU_DEP_2)
	v_cvt_f64_f32_e32 v[4:5], v3
	v_mov_b32_e32 v7, v6
	global_store_b128 v[0:1], v[4:7], off
.LBB55_3028:
	s_and_not1_b32 vcc_lo, exec_lo, s0
	s_cbranch_vccnz .LBB55_3030
; %bb.3029:
	s_wait_loadcnt 0x0
	v_cvt_f32_f16_e32 v4, v2
	v_mov_b32_e32 v5, 0
	global_store_b64 v[0:1], v[4:5], off
.LBB55_3030:
	s_mov_b32 s0, 0
.LBB55_3031:
	s_delay_alu instid0(SALU_CYCLE_1)
	s_and_not1_b32 vcc_lo, exec_lo, s0
	s_cbranch_vccnz .LBB55_3033
; %bb.3032:
	s_wait_loadcnt 0x0
	v_and_b32_e32 v3, 0xffff, v2
	global_store_b32 v[0:1], v3, off
.LBB55_3033:
	s_mov_b32 s0, 0
.LBB55_3034:
	s_delay_alu instid0(SALU_CYCLE_1)
	s_and_not1_b32 vcc_lo, exec_lo, s0
	s_cbranch_vccnz .LBB55_3043
; %bb.3035:
	s_sext_i32_i16 s1, s16
	s_mov_b32 s0, -1
	s_cmp_lt_i32 s1, 6
	s_cbranch_scc1 .LBB55_3041
; %bb.3036:
	s_cmp_gt_i32 s1, 6
	s_cbranch_scc0 .LBB55_3038
; %bb.3037:
	s_wait_loadcnt 0x0
	v_cvt_f32_f16_e32 v3, v2
	s_mov_b32 s0, 0
	s_delay_alu instid0(VALU_DEP_1)
	v_cvt_f64_f32_e32 v[4:5], v3
	global_store_b64 v[0:1], v[4:5], off
.LBB55_3038:
	s_and_not1_b32 vcc_lo, exec_lo, s0
	s_cbranch_vccnz .LBB55_3040
; %bb.3039:
	s_wait_loadcnt 0x0
	v_cvt_f32_f16_e32 v3, v2
	global_store_b32 v[0:1], v3, off
.LBB55_3040:
	s_mov_b32 s0, 0
.LBB55_3041:
	s_delay_alu instid0(SALU_CYCLE_1)
	s_and_not1_b32 vcc_lo, exec_lo, s0
	s_cbranch_vccnz .LBB55_3043
; %bb.3042:
	s_wait_loadcnt 0x0
	global_store_b16 v[0:1], v2, off
.LBB55_3043:
	s_mov_b32 s0, 0
.LBB55_3044:
	s_delay_alu instid0(SALU_CYCLE_1)
	s_and_not1_b32 vcc_lo, exec_lo, s0
	s_cbranch_vccnz .LBB55_3060
; %bb.3045:
	s_sext_i32_i16 s1, s16
	s_mov_b32 s0, -1
	s_cmp_lt_i32 s1, 2
	s_cbranch_scc1 .LBB55_3055
; %bb.3046:
	s_cmp_lt_i32 s1, 3
	s_cbranch_scc1 .LBB55_3052
; %bb.3047:
	s_cmp_gt_i32 s1, 3
	s_cbranch_scc0 .LBB55_3049
; %bb.3048:
	s_wait_loadcnt 0x0
	v_cvt_f32_f16_e32 v3, v2
	s_mov_b32 s0, 0
	s_delay_alu instid0(VALU_DEP_1) | instskip(NEXT) | instid1(VALU_DEP_1)
	v_cvt_i32_f32_e32 v4, v3
	v_ashrrev_i32_e32 v5, 31, v4
	global_store_b64 v[0:1], v[4:5], off
.LBB55_3049:
	s_and_not1_b32 vcc_lo, exec_lo, s0
	s_cbranch_vccnz .LBB55_3051
; %bb.3050:
	s_wait_loadcnt 0x0
	v_cvt_f32_f16_e32 v3, v2
	s_delay_alu instid0(VALU_DEP_1)
	v_cvt_i32_f32_e32 v3, v3
	global_store_b32 v[0:1], v3, off
.LBB55_3051:
	s_mov_b32 s0, 0
.LBB55_3052:
	s_delay_alu instid0(SALU_CYCLE_1)
	s_and_not1_b32 vcc_lo, exec_lo, s0
	s_cbranch_vccnz .LBB55_3054
; %bb.3053:
	s_wait_loadcnt 0x0
	v_cvt_i16_f16_e32 v3, v2
	global_store_b16 v[0:1], v3, off
.LBB55_3054:
	s_mov_b32 s0, 0
.LBB55_3055:
	s_delay_alu instid0(SALU_CYCLE_1)
	s_and_not1_b32 vcc_lo, exec_lo, s0
	s_cbranch_vccnz .LBB55_3060
; %bb.3056:
	s_sext_i32_i16 s0, s16
	s_delay_alu instid0(SALU_CYCLE_1)
	s_cmp_gt_i32 s0, 0
	s_mov_b32 s0, -1
	s_cbranch_scc0 .LBB55_3058
; %bb.3057:
	s_wait_loadcnt 0x0
	v_cvt_i16_f16_e32 v3, v2
	s_mov_b32 s0, 0
	global_store_b8 v[0:1], v3, off
.LBB55_3058:
	s_and_not1_b32 vcc_lo, exec_lo, s0
	s_cbranch_vccnz .LBB55_3060
; %bb.3059:
	s_wait_loadcnt 0x0
	v_cvt_f32_f16_e32 v2, v2
	s_delay_alu instid0(VALU_DEP_1)
	v_cvt_i32_f32_e32 v2, v2
	global_store_b8 v[0:1], v2, off
	s_endpgm
.LBB55_3060:
	s_endpgm
.LBB55_3061:
	s_or_b32 s12, s12, exec_lo
	s_trap 2
	s_cbranch_execz .LBB55_2534
	s_branch .LBB55_2535
.LBB55_3062:
	s_and_not1_saveexec_b32 s7, s7
	s_cbranch_execz .LBB55_2614
.LBB55_3063:
	v_add_f32_e64 v7, 0x46000000, |v6|
	s_and_not1_b32 s6, s6, exec_lo
	s_delay_alu instid0(VALU_DEP_1) | instskip(NEXT) | instid1(VALU_DEP_1)
	v_and_b32_e32 v7, 0xff, v7
	v_cmp_ne_u32_e32 vcc_lo, 0, v7
	s_and_b32 s9, vcc_lo, exec_lo
	s_delay_alu instid0(SALU_CYCLE_1)
	s_or_b32 s6, s6, s9
	s_or_b32 exec_lo, exec_lo, s7
	v_mov_b32_e32 v8, 0
	s_and_saveexec_b32 s7, s6
	s_cbranch_execnz .LBB55_2615
	s_branch .LBB55_2616
.LBB55_3064:
	s_or_b32 s12, s12, exec_lo
	s_trap 2
	s_cbranch_execz .LBB55_2662
	s_branch .LBB55_2663
.LBB55_3065:
	s_and_not1_saveexec_b32 s6, s6
	s_cbranch_execz .LBB55_2627
.LBB55_3066:
	v_add_f32_e64 v7, 0x42800000, |v6|
	s_and_not1_b32 s3, s3, exec_lo
	s_delay_alu instid0(VALU_DEP_1) | instskip(NEXT) | instid1(VALU_DEP_1)
	v_and_b32_e32 v7, 0xff, v7
	v_cmp_ne_u32_e32 vcc_lo, 0, v7
	s_and_b32 s7, vcc_lo, exec_lo
	s_delay_alu instid0(SALU_CYCLE_1)
	s_or_b32 s3, s3, s7
	s_or_b32 exec_lo, exec_lo, s6
	v_mov_b32_e32 v8, 0
	s_and_saveexec_b32 s6, s3
	s_cbranch_execnz .LBB55_2628
	s_branch .LBB55_2629
.LBB55_3067:
	s_and_not1_saveexec_b32 s8, s8
	s_cbranch_execz .LBB55_2732
.LBB55_3068:
	v_add_f32_e64 v7, 0x46000000, |v6|
	s_and_not1_b32 s7, s7, exec_lo
	s_delay_alu instid0(VALU_DEP_1) | instskip(NEXT) | instid1(VALU_DEP_1)
	v_and_b32_e32 v7, 0xff, v7
	v_cmp_ne_u32_e32 vcc_lo, 0, v7
	s_and_b32 s9, vcc_lo, exec_lo
	s_delay_alu instid0(SALU_CYCLE_1)
	s_or_b32 s7, s7, s9
	s_or_b32 exec_lo, exec_lo, s8
	v_mov_b32_e32 v8, 0
	s_and_saveexec_b32 s8, s7
	s_cbranch_execnz .LBB55_2733
	s_branch .LBB55_2734
.LBB55_3069:
	s_or_b32 s12, s12, exec_lo
	s_trap 2
	s_cbranch_execz .LBB55_2780
	s_branch .LBB55_2781
.LBB55_3070:
	s_and_not1_saveexec_b32 s7, s7
	s_cbranch_execz .LBB55_2745
.LBB55_3071:
	v_add_f32_e64 v7, 0x42800000, |v6|
	s_and_not1_b32 s6, s6, exec_lo
	s_delay_alu instid0(VALU_DEP_1) | instskip(NEXT) | instid1(VALU_DEP_1)
	v_and_b32_e32 v7, 0xff, v7
	v_cmp_ne_u32_e32 vcc_lo, 0, v7
	s_and_b32 s8, vcc_lo, exec_lo
	s_delay_alu instid0(SALU_CYCLE_1)
	s_or_b32 s6, s6, s8
	s_or_b32 exec_lo, exec_lo, s7
	v_mov_b32_e32 v8, 0
	s_and_saveexec_b32 s7, s6
	s_cbranch_execnz .LBB55_2746
	s_branch .LBB55_2747
.LBB55_3072:
	s_and_not1_saveexec_b32 s8, s8
	s_cbranch_execz .LBB55_2850
.LBB55_3073:
	v_add_f32_e64 v7, 0x46000000, |v6|
	s_and_not1_b32 s7, s7, exec_lo
	s_delay_alu instid0(VALU_DEP_1) | instskip(NEXT) | instid1(VALU_DEP_1)
	v_and_b32_e32 v7, 0xff, v7
	v_cmp_ne_u32_e32 vcc_lo, 0, v7
	s_and_b32 s9, vcc_lo, exec_lo
	s_delay_alu instid0(SALU_CYCLE_1)
	s_or_b32 s7, s7, s9
	s_or_b32 exec_lo, exec_lo, s8
	v_mov_b32_e32 v8, 0
	s_and_saveexec_b32 s8, s7
	s_cbranch_execnz .LBB55_2851
	s_branch .LBB55_2852
.LBB55_3074:
	s_or_b32 s12, s12, exec_lo
	s_trap 2
	s_cbranch_execz .LBB55_2898
	s_branch .LBB55_2899
.LBB55_3075:
	s_and_not1_saveexec_b32 s7, s7
	s_cbranch_execz .LBB55_2863
.LBB55_3076:
	v_add_f32_e64 v7, 0x42800000, |v6|
	s_and_not1_b32 s6, s6, exec_lo
	s_delay_alu instid0(VALU_DEP_1) | instskip(NEXT) | instid1(VALU_DEP_1)
	v_and_b32_e32 v7, 0xff, v7
	v_cmp_ne_u32_e32 vcc_lo, 0, v7
	s_and_b32 s8, vcc_lo, exec_lo
	s_delay_alu instid0(SALU_CYCLE_1)
	s_or_b32 s6, s6, s8
	s_or_b32 exec_lo, exec_lo, s7
	v_mov_b32_e32 v8, 0
	s_and_saveexec_b32 s7, s6
	s_cbranch_execnz .LBB55_2864
	s_branch .LBB55_2865
.LBB55_3077:
	s_and_not1_saveexec_b32 s5, s5
	s_cbranch_execz .LBB55_2930
.LBB55_3078:
	v_add_f32_e64 v4, 0x46000000, |v3|
	s_and_not1_b32 s4, s4, exec_lo
	s_delay_alu instid0(VALU_DEP_1) | instskip(NEXT) | instid1(VALU_DEP_1)
	v_and_b32_e32 v4, 0xff, v4
	v_cmp_ne_u32_e32 vcc_lo, 0, v4
	s_and_b32 s6, vcc_lo, exec_lo
	s_delay_alu instid0(SALU_CYCLE_1)
	s_or_b32 s4, s4, s6
	s_or_b32 exec_lo, exec_lo, s5
	v_mov_b32_e32 v5, 0
	s_and_saveexec_b32 s5, s4
	s_cbranch_execnz .LBB55_2931
	s_branch .LBB55_2932
.LBB55_3079:
	s_mov_b32 s2, 0
	s_or_b32 s12, s12, exec_lo
	s_trap 2
	s_branch .LBB55_2976
.LBB55_3080:
	s_and_not1_saveexec_b32 s4, s4
	s_cbranch_execz .LBB55_2942
.LBB55_3081:
	v_add_f32_e64 v4, 0x42800000, |v3|
	s_and_not1_b32 s3, s3, exec_lo
	s_delay_alu instid0(VALU_DEP_1) | instskip(NEXT) | instid1(VALU_DEP_1)
	v_and_b32_e32 v4, 0xff, v4
	v_cmp_ne_u32_e32 vcc_lo, 0, v4
	s_and_b32 s5, vcc_lo, exec_lo
	s_delay_alu instid0(SALU_CYCLE_1)
	s_or_b32 s3, s3, s5
	s_or_b32 exec_lo, exec_lo, s4
	v_mov_b32_e32 v5, 0
	s_and_saveexec_b32 s4, s3
	s_cbranch_execnz .LBB55_2943
	s_branch .LBB55_2944
	.section	.rodata,"a",@progbits
	.p2align	6, 0x0
	.amdhsa_kernel _ZN2at6native32elementwise_kernel_manual_unrollILi128ELi4EZNS0_15gpu_kernel_implIZZZNS0_12prelu_kernelERNS_14TensorIteratorEENKUlvE_clEvENKUlvE2_clEvEUlN3c104HalfES8_E_EEvRNS_18TensorIteratorBaseERKT_EUlibE_EEviT1_
		.amdhsa_group_segment_fixed_size 0
		.amdhsa_private_segment_fixed_size 0
		.amdhsa_kernarg_size 48
		.amdhsa_user_sgpr_count 2
		.amdhsa_user_sgpr_dispatch_ptr 0
		.amdhsa_user_sgpr_queue_ptr 0
		.amdhsa_user_sgpr_kernarg_segment_ptr 1
		.amdhsa_user_sgpr_dispatch_id 0
		.amdhsa_user_sgpr_kernarg_preload_length 0
		.amdhsa_user_sgpr_kernarg_preload_offset 0
		.amdhsa_user_sgpr_private_segment_size 0
		.amdhsa_wavefront_size32 1
		.amdhsa_uses_dynamic_stack 0
		.amdhsa_enable_private_segment 0
		.amdhsa_system_sgpr_workgroup_id_x 1
		.amdhsa_system_sgpr_workgroup_id_y 0
		.amdhsa_system_sgpr_workgroup_id_z 0
		.amdhsa_system_sgpr_workgroup_info 0
		.amdhsa_system_vgpr_workitem_id 0
		.amdhsa_next_free_vgpr 18
		.amdhsa_next_free_sgpr 35
		.amdhsa_named_barrier_count 0
		.amdhsa_reserve_vcc 1
		.amdhsa_float_round_mode_32 0
		.amdhsa_float_round_mode_16_64 0
		.amdhsa_float_denorm_mode_32 3
		.amdhsa_float_denorm_mode_16_64 3
		.amdhsa_fp16_overflow 0
		.amdhsa_memory_ordered 1
		.amdhsa_forward_progress 1
		.amdhsa_inst_pref_size 255
		.amdhsa_round_robin_scheduling 0
		.amdhsa_exception_fp_ieee_invalid_op 0
		.amdhsa_exception_fp_denorm_src 0
		.amdhsa_exception_fp_ieee_div_zero 0
		.amdhsa_exception_fp_ieee_overflow 0
		.amdhsa_exception_fp_ieee_underflow 0
		.amdhsa_exception_fp_ieee_inexact 0
		.amdhsa_exception_int_div_zero 0
	.end_amdhsa_kernel
	.section	.text._ZN2at6native32elementwise_kernel_manual_unrollILi128ELi4EZNS0_15gpu_kernel_implIZZZNS0_12prelu_kernelERNS_14TensorIteratorEENKUlvE_clEvENKUlvE2_clEvEUlN3c104HalfES8_E_EEvRNS_18TensorIteratorBaseERKT_EUlibE_EEviT1_,"axG",@progbits,_ZN2at6native32elementwise_kernel_manual_unrollILi128ELi4EZNS0_15gpu_kernel_implIZZZNS0_12prelu_kernelERNS_14TensorIteratorEENKUlvE_clEvENKUlvE2_clEvEUlN3c104HalfES8_E_EEvRNS_18TensorIteratorBaseERKT_EUlibE_EEviT1_,comdat
.Lfunc_end55:
	.size	_ZN2at6native32elementwise_kernel_manual_unrollILi128ELi4EZNS0_15gpu_kernel_implIZZZNS0_12prelu_kernelERNS_14TensorIteratorEENKUlvE_clEvENKUlvE2_clEvEUlN3c104HalfES8_E_EEvRNS_18TensorIteratorBaseERKT_EUlibE_EEviT1_, .Lfunc_end55-_ZN2at6native32elementwise_kernel_manual_unrollILi128ELi4EZNS0_15gpu_kernel_implIZZZNS0_12prelu_kernelERNS_14TensorIteratorEENKUlvE_clEvENKUlvE2_clEvEUlN3c104HalfES8_E_EEvRNS_18TensorIteratorBaseERKT_EUlibE_EEviT1_
                                        ; -- End function
	.set _ZN2at6native32elementwise_kernel_manual_unrollILi128ELi4EZNS0_15gpu_kernel_implIZZZNS0_12prelu_kernelERNS_14TensorIteratorEENKUlvE_clEvENKUlvE2_clEvEUlN3c104HalfES8_E_EEvRNS_18TensorIteratorBaseERKT_EUlibE_EEviT1_.num_vgpr, 18
	.set _ZN2at6native32elementwise_kernel_manual_unrollILi128ELi4EZNS0_15gpu_kernel_implIZZZNS0_12prelu_kernelERNS_14TensorIteratorEENKUlvE_clEvENKUlvE2_clEvEUlN3c104HalfES8_E_EEvRNS_18TensorIteratorBaseERKT_EUlibE_EEviT1_.num_agpr, 0
	.set _ZN2at6native32elementwise_kernel_manual_unrollILi128ELi4EZNS0_15gpu_kernel_implIZZZNS0_12prelu_kernelERNS_14TensorIteratorEENKUlvE_clEvENKUlvE2_clEvEUlN3c104HalfES8_E_EEvRNS_18TensorIteratorBaseERKT_EUlibE_EEviT1_.numbered_sgpr, 35
	.set _ZN2at6native32elementwise_kernel_manual_unrollILi128ELi4EZNS0_15gpu_kernel_implIZZZNS0_12prelu_kernelERNS_14TensorIteratorEENKUlvE_clEvENKUlvE2_clEvEUlN3c104HalfES8_E_EEvRNS_18TensorIteratorBaseERKT_EUlibE_EEviT1_.num_named_barrier, 0
	.set _ZN2at6native32elementwise_kernel_manual_unrollILi128ELi4EZNS0_15gpu_kernel_implIZZZNS0_12prelu_kernelERNS_14TensorIteratorEENKUlvE_clEvENKUlvE2_clEvEUlN3c104HalfES8_E_EEvRNS_18TensorIteratorBaseERKT_EUlibE_EEviT1_.private_seg_size, 0
	.set _ZN2at6native32elementwise_kernel_manual_unrollILi128ELi4EZNS0_15gpu_kernel_implIZZZNS0_12prelu_kernelERNS_14TensorIteratorEENKUlvE_clEvENKUlvE2_clEvEUlN3c104HalfES8_E_EEvRNS_18TensorIteratorBaseERKT_EUlibE_EEviT1_.uses_vcc, 1
	.set _ZN2at6native32elementwise_kernel_manual_unrollILi128ELi4EZNS0_15gpu_kernel_implIZZZNS0_12prelu_kernelERNS_14TensorIteratorEENKUlvE_clEvENKUlvE2_clEvEUlN3c104HalfES8_E_EEvRNS_18TensorIteratorBaseERKT_EUlibE_EEviT1_.uses_flat_scratch, 0
	.set _ZN2at6native32elementwise_kernel_manual_unrollILi128ELi4EZNS0_15gpu_kernel_implIZZZNS0_12prelu_kernelERNS_14TensorIteratorEENKUlvE_clEvENKUlvE2_clEvEUlN3c104HalfES8_E_EEvRNS_18TensorIteratorBaseERKT_EUlibE_EEviT1_.has_dyn_sized_stack, 0
	.set _ZN2at6native32elementwise_kernel_manual_unrollILi128ELi4EZNS0_15gpu_kernel_implIZZZNS0_12prelu_kernelERNS_14TensorIteratorEENKUlvE_clEvENKUlvE2_clEvEUlN3c104HalfES8_E_EEvRNS_18TensorIteratorBaseERKT_EUlibE_EEviT1_.has_recursion, 0
	.set _ZN2at6native32elementwise_kernel_manual_unrollILi128ELi4EZNS0_15gpu_kernel_implIZZZNS0_12prelu_kernelERNS_14TensorIteratorEENKUlvE_clEvENKUlvE2_clEvEUlN3c104HalfES8_E_EEvRNS_18TensorIteratorBaseERKT_EUlibE_EEviT1_.has_indirect_call, 0
	.section	.AMDGPU.csdata,"",@progbits
; Kernel info:
; codeLenInByte = 64840
; TotalNumSgprs: 37
; NumVgprs: 18
; ScratchSize: 0
; MemoryBound: 0
; FloatMode: 240
; IeeeMode: 1
; LDSByteSize: 0 bytes/workgroup (compile time only)
; SGPRBlocks: 0
; VGPRBlocks: 1
; NumSGPRsForWavesPerEU: 37
; NumVGPRsForWavesPerEU: 18
; NamedBarCnt: 0
; Occupancy: 16
; WaveLimiterHint : 0
; COMPUTE_PGM_RSRC2:SCRATCH_EN: 0
; COMPUTE_PGM_RSRC2:USER_SGPR: 2
; COMPUTE_PGM_RSRC2:TRAP_HANDLER: 0
; COMPUTE_PGM_RSRC2:TGID_X_EN: 1
; COMPUTE_PGM_RSRC2:TGID_Y_EN: 0
; COMPUTE_PGM_RSRC2:TGID_Z_EN: 0
; COMPUTE_PGM_RSRC2:TIDIG_COMP_CNT: 0
	.section	.text._ZN2at6native32elementwise_kernel_manual_unrollILi128ELi4EZNS0_15gpu_kernel_implIZZZNS0_12prelu_kernelERNS_14TensorIteratorEENKUlvE_clEvENKUlvE2_clEvEUlN3c104HalfES8_E_EEvRNS_18TensorIteratorBaseERKT_EUlibE0_EEviT1_,"axG",@progbits,_ZN2at6native32elementwise_kernel_manual_unrollILi128ELi4EZNS0_15gpu_kernel_implIZZZNS0_12prelu_kernelERNS_14TensorIteratorEENKUlvE_clEvENKUlvE2_clEvEUlN3c104HalfES8_E_EEvRNS_18TensorIteratorBaseERKT_EUlibE0_EEviT1_,comdat
	.globl	_ZN2at6native32elementwise_kernel_manual_unrollILi128ELi4EZNS0_15gpu_kernel_implIZZZNS0_12prelu_kernelERNS_14TensorIteratorEENKUlvE_clEvENKUlvE2_clEvEUlN3c104HalfES8_E_EEvRNS_18TensorIteratorBaseERKT_EUlibE0_EEviT1_ ; -- Begin function _ZN2at6native32elementwise_kernel_manual_unrollILi128ELi4EZNS0_15gpu_kernel_implIZZZNS0_12prelu_kernelERNS_14TensorIteratorEENKUlvE_clEvENKUlvE2_clEvEUlN3c104HalfES8_E_EEvRNS_18TensorIteratorBaseERKT_EUlibE0_EEviT1_
	.p2align	8
	.type	_ZN2at6native32elementwise_kernel_manual_unrollILi128ELi4EZNS0_15gpu_kernel_implIZZZNS0_12prelu_kernelERNS_14TensorIteratorEENKUlvE_clEvENKUlvE2_clEvEUlN3c104HalfES8_E_EEvRNS_18TensorIteratorBaseERKT_EUlibE0_EEviT1_,@function
_ZN2at6native32elementwise_kernel_manual_unrollILi128ELi4EZNS0_15gpu_kernel_implIZZZNS0_12prelu_kernelERNS_14TensorIteratorEENKUlvE_clEvENKUlvE2_clEvEUlN3c104HalfES8_E_EEvRNS_18TensorIteratorBaseERKT_EUlibE0_EEviT1_: ; @_ZN2at6native32elementwise_kernel_manual_unrollILi128ELi4EZNS0_15gpu_kernel_implIZZZNS0_12prelu_kernelERNS_14TensorIteratorEENKUlvE_clEvENKUlvE2_clEvEUlN3c104HalfES8_E_EEvRNS_18TensorIteratorBaseERKT_EUlibE0_EEviT1_
; %bb.0:
	s_clause 0x1
	s_load_b32 s26, s[0:1], 0x8
	s_load_b32 s36, s[0:1], 0x0
	s_bfe_u32 s2, ttmp6, 0x4000c
	s_and_b32 s3, ttmp6, 15
	s_add_co_i32 s2, s2, 1
	s_getreg_b32 s4, hwreg(HW_REG_IB_STS2, 6, 4)
	s_mul_i32 s2, ttmp9, s2
	s_mov_b32 s28, 0
	s_add_co_i32 s3, s3, s2
	s_cmp_eq_u32 s4, 0
	s_mov_b32 s25, -1
	s_cselect_b32 s2, ttmp9, s3
	s_mov_b32 s8, 0
	v_lshl_or_b32 v0, s2, 9, v0
	s_add_nc_u64 s[2:3], s[0:1], 8
	s_wait_xcnt 0x0
	s_mov_b32 s0, exec_lo
	s_delay_alu instid0(VALU_DEP_1) | instskip(SKIP_2) | instid1(SALU_CYCLE_1)
	v_or_b32_e32 v5, 0x180, v0
	s_wait_kmcnt 0x0
	s_add_co_i32 s27, s26, -1
	s_cmp_gt_u32 s27, 1
	s_cselect_b32 s29, -1, 0
	v_cmpx_le_i32_e64 s36, v5
	s_xor_b32 s30, exec_lo, s0
	s_cbranch_execz .LBB56_1589
; %bb.1:
	v_mov_b32_e32 v1, 0
	s_cmp_lg_u32 s26, 0
	s_mov_b32 s19, 0
	s_cselect_b32 s37, -1, 0
	s_min_u32 s35, s27, 15
	s_clause 0x1
	global_load_u16 v2, v1, s[2:3] offset:417
	global_load_i8 v3, v1, s[2:3] offset:419
	s_clause 0x5
	s_load_b128 s[8:11], s[2:3], 0x4
	s_load_b64 s[0:1], s[2:3], 0x14
	s_load_b128 s[12:15], s[2:3], 0xc4
	s_load_b64 s[20:21], s[2:3], 0xd4
	s_load_b64 s[16:17], s[2:3], 0x198
	s_load_b128 s[4:7], s[2:3], 0x188
	s_cmp_gt_u32 s26, 1
	s_mov_b32 s23, s19
	s_mov_b32 s40, s19
	;; [unrolled: 1-line block ×3, first 2 shown]
	s_cselect_b32 s34, -1, 0
	s_mov_b32 s38, s19
	s_mov_b32 s41, exec_lo
	s_wait_kmcnt 0x0
	s_mov_b32 s18, s9
	s_mov_b32 s22, s0
	s_wait_loadcnt 0x1
	v_readfirstlane_b32 s31, v2
	s_wait_loadcnt 0x0
	v_readfirstlane_b32 s9, v3
	s_lshr_b32 s33, s31, 8
	v_cmpx_gt_i32_e64 s36, v0
	s_cbranch_execz .LBB56_392
; %bb.2:
	s_and_not1_b32 vcc_lo, exec_lo, s29
	s_cbranch_vccnz .LBB56_8
; %bb.3:
	s_and_not1_b32 vcc_lo, exec_lo, s37
	s_cbranch_vccnz .LBB56_9
; %bb.4:
	v_dual_mov_b32 v2, 0 :: v_dual_mov_b32 v1, v0
	v_dual_mov_b32 v6, 0 :: v_dual_mov_b32 v4, 0
	s_add_co_i32 s0, s35, 1
	s_mov_b64 s[24:25], 0xffffffffffffffe8
	s_and_b32 s0, s0, 30
	s_add_nc_u64 s[24:25], s[2:3], s[24:25]
.LBB56_5:                               ; =>This Inner Loop Header: Depth=1
	s_clause 0x3
	s_load_b128 s[44:47], s[24:25], 0x1c
	s_load_b64 s[38:39], s[24:25], 0x2c
	s_load_b128 s[48:51], s[24:25], 0xdc
	s_load_b64 s[42:43], s[24:25], 0xec
	s_add_co_i32 s0, s0, -2
	s_wait_xcnt 0x0
	s_add_nc_u64 s[24:25], s[24:25], 24
	s_cmp_lg_u32 s0, 0
	s_wait_kmcnt 0x0
	v_mul_hi_u32 v3, s45, v1
	s_delay_alu instid0(VALU_DEP_1) | instskip(NEXT) | instid1(VALU_DEP_1)
	v_add_nc_u32_e32 v3, v1, v3
	v_lshrrev_b32_e32 v3, s46, v3
	s_delay_alu instid0(VALU_DEP_1) | instskip(SKIP_1) | instid1(VALU_DEP_1)
	v_mul_hi_u32 v5, s38, v3
	v_mul_lo_u32 v7, v3, s44
	v_dual_add_nc_u32 v5, v3, v5 :: v_dual_sub_nc_u32 v7, v1, v7
	s_delay_alu instid0(VALU_DEP_1) | instskip(NEXT) | instid1(VALU_DEP_2)
	v_lshrrev_b32_e32 v1, s39, v5
	v_mad_u32 v2, v7, s48, v2
	v_mad_u32 v4, v7, s50, v4
	;; [unrolled: 1-line block ×3, first 2 shown]
	s_delay_alu instid0(VALU_DEP_4) | instskip(NEXT) | instid1(VALU_DEP_1)
	v_mul_lo_u32 v5, v1, s47
	v_sub_nc_u32_e32 v3, v3, v5
	s_delay_alu instid0(VALU_DEP_1)
	v_mad_u32 v2, v3, s51, v2
	v_mad_u32 v4, v3, s43, v4
	;; [unrolled: 1-line block ×3, first 2 shown]
	s_cbranch_scc1 .LBB56_5
; %bb.6:
	s_bitcmp1_b32 s35, 0
	s_cselect_b32 s0, -1, 0
	s_delay_alu instid0(SALU_CYCLE_1)
	s_and_b32 vcc_lo, exec_lo, s0
	s_cbranch_vccnz .LBB56_10
; %bb.7:
	s_clause 0x1
	s_load_b96 s[44:46], s[24:25], 0x1c
	s_load_b96 s[48:50], s[24:25], 0xdc
	s_wait_kmcnt 0x0
	v_mul_hi_u32 v3, s45, v1
	s_delay_alu instid0(VALU_DEP_1) | instskip(NEXT) | instid1(VALU_DEP_1)
	v_add_nc_u32_e32 v3, v1, v3
	v_lshrrev_b32_e32 v3, s46, v3
	s_delay_alu instid0(VALU_DEP_1) | instskip(NEXT) | instid1(VALU_DEP_1)
	v_mul_lo_u32 v3, v3, s44
	v_sub_nc_u32_e32 v1, v1, v3
	s_delay_alu instid0(VALU_DEP_1)
	v_mad_u32 v2, v1, s48, v2
	v_mad_u32 v6, v1, s49, v6
	;; [unrolled: 1-line block ×3, first 2 shown]
	s_cbranch_execz .LBB56_11
	s_branch .LBB56_13
.LBB56_8:
                                        ; implicit-def: $vgpr4
                                        ; implicit-def: $vgpr6
                                        ; implicit-def: $vgpr2
	s_branch .LBB56_11
.LBB56_9:
	v_dual_mov_b32 v4, 0 :: v_dual_mov_b32 v6, 0
	v_mov_b32_e32 v2, 0
.LBB56_10:
	s_cbranch_execnz .LBB56_13
.LBB56_11:
	v_mov_b32_e32 v1, 0
	s_and_not1_b32 vcc_lo, exec_lo, s34
	s_delay_alu instid0(VALU_DEP_1) | instskip(NEXT) | instid1(VALU_DEP_1)
	v_mul_u64_e32 v[2:3], s[18:19], v[0:1]
	v_add_nc_u32_e32 v2, v0, v3
	s_delay_alu instid0(VALU_DEP_1) | instskip(NEXT) | instid1(VALU_DEP_1)
	v_lshrrev_b32_e32 v8, s10, v2
	v_mul_lo_u32 v2, v8, s8
	s_delay_alu instid0(VALU_DEP_1) | instskip(NEXT) | instid1(VALU_DEP_1)
	v_sub_nc_u32_e32 v3, v0, v2
	v_mul_lo_u32 v2, v3, s12
	v_mul_lo_u32 v4, v3, s14
	;; [unrolled: 1-line block ×3, first 2 shown]
	s_cbranch_vccnz .LBB56_13
; %bb.12:
	v_mov_b32_e32 v9, v1
	s_delay_alu instid0(VALU_DEP_1) | instskip(NEXT) | instid1(VALU_DEP_1)
	v_mul_u64_e32 v[10:11], s[22:23], v[8:9]
	v_add_nc_u32_e32 v1, v8, v11
	s_delay_alu instid0(VALU_DEP_1) | instskip(NEXT) | instid1(VALU_DEP_1)
	v_lshrrev_b32_e32 v1, s1, v1
	v_mul_lo_u32 v1, v1, s11
	s_delay_alu instid0(VALU_DEP_1) | instskip(NEXT) | instid1(VALU_DEP_1)
	v_sub_nc_u32_e32 v1, v8, v1
	v_mad_u32 v2, v1, s15, v2
	v_mad_u32 v6, v1, s20, v6
	;; [unrolled: 1-line block ×3, first 2 shown]
.LBB56_13:
	v_mov_b32_e32 v7, 0
	s_and_b32 s0, s33, 0xff
	s_delay_alu instid0(SALU_CYCLE_1) | instskip(NEXT) | instid1(VALU_DEP_1)
	s_cmp_lt_i32 s0, 11
	v_add_nc_u64_e32 v[6:7], s[6:7], v[6:7]
	s_cbranch_scc1 .LBB56_20
; %bb.14:
	s_and_b32 s25, 0xffff, s0
	s_delay_alu instid0(SALU_CYCLE_1)
	s_cmp_gt_i32 s25, 25
	s_cbranch_scc0 .LBB56_29
; %bb.15:
	s_cmp_gt_i32 s25, 28
	s_cbranch_scc0 .LBB56_78
; %bb.16:
	;; [unrolled: 3-line block ×4, first 2 shown]
	s_cmp_eq_u32 s25, 46
	s_mov_b32 s39, 0
	s_cbranch_scc0 .LBB56_86
; %bb.19:
	global_load_b32 v1, v[6:7], off
	s_mov_b32 s38, -1
	s_mov_b32 s24, 0
	s_wait_loadcnt 0x0
	v_lshlrev_b32_e32 v1, 16, v1
	s_delay_alu instid0(VALU_DEP_1)
	v_cvt_f16_f32_e32 v1, v1
	s_branch .LBB56_88
.LBB56_20:
	s_mov_b32 s24, 0
	s_mov_b32 s38, 0
                                        ; implicit-def: $vgpr1
	s_cbranch_execnz .LBB56_154
.LBB56_21:
	s_and_not1_b32 vcc_lo, exec_lo, s38
	s_cbranch_vccnz .LBB56_201
.LBB56_22:
	v_mov_b32_e32 v5, 0
	s_and_b32 s0, s9, 0xff
	s_delay_alu instid0(SALU_CYCLE_1) | instskip(NEXT) | instid1(VALU_DEP_1)
	s_cmp_lt_i32 s0, 11
	v_add_nc_u64_e32 v[4:5], s[16:17], v[4:5]
	s_cbranch_scc1 .LBB56_30
; %bb.23:
	s_and_b32 s38, 0xffff, s0
	s_delay_alu instid0(SALU_CYCLE_1)
	s_cmp_gt_i32 s38, 25
	s_cbranch_scc0 .LBB56_79
; %bb.24:
	s_cmp_gt_i32 s38, 28
	s_cbranch_scc0 .LBB56_81
; %bb.25:
	;; [unrolled: 3-line block ×4, first 2 shown]
	s_cmp_eq_u32 s38, 46
	s_mov_b32 s40, 0
	s_cbranch_scc0 .LBB56_202
; %bb.28:
	global_load_b32 v3, v[4:5], off
	s_mov_b32 s39, -1
	s_mov_b32 s25, 0
	s_wait_loadcnt 0x0
	v_lshlrev_b32_e32 v3, 16, v3
	s_delay_alu instid0(VALU_DEP_1)
	v_cvt_f16_f32_e32 v6, v3
	s_branch .LBB56_204
.LBB56_29:
	s_mov_b32 s24, 0
	s_mov_b32 s38, 0
                                        ; implicit-def: $vgpr1
	s_cbranch_execnz .LBB56_119
	s_branch .LBB56_153
.LBB56_30:
	s_mov_b32 s25, 0
	s_mov_b32 s39, 0
                                        ; implicit-def: $vgpr6
	s_cbranch_execnz .LBB56_341
.LBB56_31:
	s_and_not1_b32 vcc_lo, exec_lo, s39
	s_cbranch_vccnz .LBB56_389
.LBB56_32:
	s_wait_loadcnt 0x0
	s_delay_alu instid0(VALU_DEP_1)
	v_mul_f16_e32 v4, v1, v6
	v_cmp_lt_f16_e32 vcc_lo, 0, v1
	v_mov_b32_e32 v3, 0
	s_and_b32 s38, s31, 0xff
	s_mov_b32 s0, 0
	s_mov_b32 s39, -1
	v_cndmask_b32_e32 v1, v4, v1, vcc_lo
	v_add_nc_u64_e32 v[2:3], s[4:5], v[2:3]
	s_cmp_lt_i32 s38, 11
	s_mov_b32 s40, 0
	s_cbranch_scc1 .LBB56_39
; %bb.33:
	s_and_b32 s39, 0xffff, s38
	s_delay_alu instid0(SALU_CYCLE_1)
	s_cmp_gt_i32 s39, 25
	s_cbranch_scc0 .LBB56_82
; %bb.34:
	s_cmp_gt_i32 s39, 28
	s_cbranch_scc0 .LBB56_85
; %bb.35:
	;; [unrolled: 3-line block ×4, first 2 shown]
	s_mov_b32 s42, 0
	s_mov_b32 s0, -1
	s_cmp_eq_u32 s39, 46
	s_cbranch_scc0 .LBB56_208
; %bb.38:
	v_cvt_f32_f16_e32 v4, v1
	v_cmp_o_f16_e32 vcc_lo, v1, v1
	s_mov_b32 s40, -1
	s_mov_b32 s0, 0
	s_delay_alu instid0(VALU_DEP_2) | instskip(NEXT) | instid1(VALU_DEP_1)
	v_bfe_u32 v5, v4, 16, 1
	v_add3_u32 v4, v4, v5, 0x7fff
	s_delay_alu instid0(VALU_DEP_1) | instskip(NEXT) | instid1(VALU_DEP_1)
	v_lshrrev_b32_e32 v4, 16, v4
	v_cndmask_b32_e32 v4, 0x7fc0, v4, vcc_lo
	global_store_b32 v[2:3], v4, off
	s_branch .LBB56_208
.LBB56_39:
	s_and_b32 vcc_lo, exec_lo, s39
	s_cbranch_vccz .LBB56_277
; %bb.40:
	s_and_b32 s38, 0xffff, s38
	s_mov_b32 s39, -1
	s_cmp_lt_i32 s38, 5
	s_cbranch_scc1 .LBB56_61
; %bb.41:
	s_cmp_lt_i32 s38, 8
	s_cbranch_scc1 .LBB56_51
; %bb.42:
	;; [unrolled: 3-line block ×3, first 2 shown]
	s_cmp_gt_i32 s38, 9
	s_cbranch_scc0 .LBB56_45
; %bb.44:
	s_wait_xcnt 0x0
	v_cvt_f32_f16_e32 v4, v1
	v_mov_b32_e32 v6, 0
	s_mov_b32 s39, 0
	s_delay_alu instid0(VALU_DEP_2) | instskip(NEXT) | instid1(VALU_DEP_2)
	v_cvt_f64_f32_e32 v[4:5], v4
	v_mov_b32_e32 v7, v6
	global_store_b128 v[2:3], v[4:7], off
.LBB56_45:
	s_and_not1_b32 vcc_lo, exec_lo, s39
	s_cbranch_vccnz .LBB56_47
; %bb.46:
	s_wait_xcnt 0x0
	v_cvt_f32_f16_e32 v4, v1
	v_mov_b32_e32 v5, 0
	global_store_b64 v[2:3], v[4:5], off
.LBB56_47:
	s_mov_b32 s39, 0
.LBB56_48:
	s_delay_alu instid0(SALU_CYCLE_1)
	s_and_not1_b32 vcc_lo, exec_lo, s39
	s_cbranch_vccnz .LBB56_50
; %bb.49:
	s_wait_xcnt 0x0
	v_and_b32_e32 v4, 0xffff, v1
	global_store_b32 v[2:3], v4, off
.LBB56_50:
	s_mov_b32 s39, 0
.LBB56_51:
	s_delay_alu instid0(SALU_CYCLE_1)
	s_and_not1_b32 vcc_lo, exec_lo, s39
	s_cbranch_vccnz .LBB56_60
; %bb.52:
	s_cmp_lt_i32 s38, 6
	s_mov_b32 s39, -1
	s_cbranch_scc1 .LBB56_58
; %bb.53:
	s_cmp_gt_i32 s38, 6
	s_cbranch_scc0 .LBB56_55
; %bb.54:
	s_wait_xcnt 0x0
	v_cvt_f32_f16_e32 v4, v1
	s_mov_b32 s39, 0
	s_delay_alu instid0(VALU_DEP_1)
	v_cvt_f64_f32_e32 v[4:5], v4
	global_store_b64 v[2:3], v[4:5], off
.LBB56_55:
	s_and_not1_b32 vcc_lo, exec_lo, s39
	s_cbranch_vccnz .LBB56_57
; %bb.56:
	s_wait_xcnt 0x0
	v_cvt_f32_f16_e32 v4, v1
	global_store_b32 v[2:3], v4, off
.LBB56_57:
	s_mov_b32 s39, 0
.LBB56_58:
	s_delay_alu instid0(SALU_CYCLE_1)
	s_and_not1_b32 vcc_lo, exec_lo, s39
	s_cbranch_vccnz .LBB56_60
; %bb.59:
	global_store_b16 v[2:3], v1, off
.LBB56_60:
	s_mov_b32 s39, 0
.LBB56_61:
	s_delay_alu instid0(SALU_CYCLE_1)
	s_and_not1_b32 vcc_lo, exec_lo, s39
	s_cbranch_vccnz .LBB56_77
; %bb.62:
	s_cmp_lt_i32 s38, 2
	s_mov_b32 s39, -1
	s_cbranch_scc1 .LBB56_72
; %bb.63:
	s_cmp_lt_i32 s38, 3
	s_cbranch_scc1 .LBB56_69
; %bb.64:
	s_cmp_gt_i32 s38, 3
	s_cbranch_scc0 .LBB56_66
; %bb.65:
	s_wait_xcnt 0x0
	v_cvt_f32_f16_e32 v4, v1
	s_mov_b32 s39, 0
	s_delay_alu instid0(VALU_DEP_1) | instskip(NEXT) | instid1(VALU_DEP_1)
	v_cvt_i32_f32_e32 v4, v4
	v_ashrrev_i32_e32 v5, 31, v4
	global_store_b64 v[2:3], v[4:5], off
.LBB56_66:
	s_and_not1_b32 vcc_lo, exec_lo, s39
	s_cbranch_vccnz .LBB56_68
; %bb.67:
	s_wait_xcnt 0x0
	v_cvt_f32_f16_e32 v4, v1
	s_delay_alu instid0(VALU_DEP_1)
	v_cvt_i32_f32_e32 v4, v4
	global_store_b32 v[2:3], v4, off
.LBB56_68:
	s_mov_b32 s39, 0
.LBB56_69:
	s_delay_alu instid0(SALU_CYCLE_1)
	s_and_not1_b32 vcc_lo, exec_lo, s39
	s_cbranch_vccnz .LBB56_71
; %bb.70:
	s_wait_xcnt 0x0
	v_cvt_i16_f16_e32 v4, v1
	global_store_b16 v[2:3], v4, off
.LBB56_71:
	s_mov_b32 s39, 0
.LBB56_72:
	s_delay_alu instid0(SALU_CYCLE_1)
	s_and_not1_b32 vcc_lo, exec_lo, s39
	s_cbranch_vccnz .LBB56_77
; %bb.73:
	s_cmp_gt_i32 s38, 0
	s_mov_b32 s38, -1
	s_cbranch_scc0 .LBB56_75
; %bb.74:
	s_wait_xcnt 0x0
	v_cvt_i16_f16_e32 v4, v1
	s_mov_b32 s38, 0
	global_store_b8 v[2:3], v4, off
.LBB56_75:
	s_and_not1_b32 vcc_lo, exec_lo, s38
	s_cbranch_vccnz .LBB56_77
; %bb.76:
	s_wait_xcnt 0x0
	v_cvt_f32_f16_e32 v1, v1
	s_delay_alu instid0(VALU_DEP_1)
	v_cvt_i32_f32_e32 v1, v1
	global_store_b8 v[2:3], v1, off
.LBB56_77:
	s_branch .LBB56_278
.LBB56_78:
	s_mov_b32 s39, -1
	s_mov_b32 s24, 0
	s_mov_b32 s38, 0
                                        ; implicit-def: $vgpr1
	s_branch .LBB56_100
.LBB56_79:
	s_mov_b32 s40, -1
	s_mov_b32 s25, 0
	s_mov_b32 s39, 0
                                        ; implicit-def: $vgpr6
	s_branch .LBB56_305
.LBB56_80:
	s_mov_b32 s39, -1
	s_mov_b32 s24, 0
	s_mov_b32 s38, 0
                                        ; implicit-def: $vgpr1
	s_branch .LBB56_95
.LBB56_81:
	s_mov_b32 s40, -1
	s_mov_b32 s25, 0
	s_mov_b32 s39, 0
                                        ; implicit-def: $vgpr6
	s_branch .LBB56_286
.LBB56_82:
	s_mov_b32 s42, -1
	s_branch .LBB56_235
.LBB56_83:
	s_mov_b32 s39, -1
	s_mov_b32 s24, 0
	s_branch .LBB56_87
.LBB56_84:
	s_mov_b32 s40, -1
	s_mov_b32 s25, 0
	s_mov_b32 s39, 0
                                        ; implicit-def: $vgpr6
	s_branch .LBB56_281
.LBB56_85:
	s_mov_b32 s42, -1
	s_branch .LBB56_218
.LBB56_86:
	s_mov_b32 s24, -1
.LBB56_87:
	s_mov_b32 s38, 0
                                        ; implicit-def: $vgpr1
.LBB56_88:
	s_and_b32 vcc_lo, exec_lo, s39
	s_cbranch_vccz .LBB56_94
; %bb.89:
	s_cmp_eq_u32 s25, 44
	s_cbranch_scc0 .LBB56_93
; %bb.90:
	global_load_u8 v1, v[6:7], off
	s_mov_b32 s24, 0
	s_mov_b32 s38, -1
	s_wait_loadcnt 0x0
	v_lshlrev_b32_e32 v3, 23, v1
	v_cmp_ne_u32_e32 vcc_lo, 0xff, v1
	s_delay_alu instid0(VALU_DEP_2) | instskip(NEXT) | instid1(VALU_DEP_1)
	v_cvt_f16_f32_e32 v3, v3
	v_cndmask_b32_e32 v3, 0x7e00, v3, vcc_lo
	v_cmp_ne_u32_e32 vcc_lo, 0, v1
	s_delay_alu instid0(VALU_DEP_2)
	v_cndmask_b32_e32 v1, 0, v3, vcc_lo
	s_branch .LBB56_94
.LBB56_91:
	s_mov_b32 s40, -1
	s_mov_b32 s25, 0
	s_branch .LBB56_203
.LBB56_92:
	s_mov_b32 s42, -1
	s_branch .LBB56_214
.LBB56_93:
	s_mov_b32 s24, -1
                                        ; implicit-def: $vgpr1
.LBB56_94:
	s_mov_b32 s39, 0
.LBB56_95:
	s_delay_alu instid0(SALU_CYCLE_1)
	s_and_b32 vcc_lo, exec_lo, s39
	s_cbranch_vccz .LBB56_99
; %bb.96:
	s_cmp_eq_u32 s25, 29
	s_cbranch_scc0 .LBB56_98
; %bb.97:
	global_load_b64 v[8:9], v[6:7], off
	s_mov_b32 s38, -1
	s_mov_b32 s24, 0
	s_mov_b32 s39, 0
	s_wait_loadcnt 0x0
	v_clz_i32_u32_e32 v1, v9
	s_delay_alu instid0(VALU_DEP_1) | instskip(NEXT) | instid1(VALU_DEP_1)
	v_min_u32_e32 v1, 32, v1
	v_lshlrev_b64_e32 v[8:9], v1, v[8:9]
	v_sub_nc_u32_e32 v1, 32, v1
	s_delay_alu instid0(VALU_DEP_2) | instskip(NEXT) | instid1(VALU_DEP_1)
	v_min_u32_e32 v3, 1, v8
	v_or_b32_e32 v3, v9, v3
	s_delay_alu instid0(VALU_DEP_1) | instskip(NEXT) | instid1(VALU_DEP_1)
	v_cvt_f32_u32_e32 v3, v3
	v_ldexp_f32 v1, v3, v1
	s_delay_alu instid0(VALU_DEP_1)
	v_cvt_f16_f32_e32 v1, v1
	s_branch .LBB56_100
.LBB56_98:
	s_mov_b32 s24, -1
                                        ; implicit-def: $vgpr1
.LBB56_99:
	s_mov_b32 s39, 0
.LBB56_100:
	s_delay_alu instid0(SALU_CYCLE_1)
	s_and_b32 vcc_lo, exec_lo, s39
	s_cbranch_vccz .LBB56_118
; %bb.101:
	s_cmp_lt_i32 s25, 27
	s_cbranch_scc1 .LBB56_104
; %bb.102:
	s_cmp_gt_i32 s25, 27
	s_cbranch_scc0 .LBB56_105
; %bb.103:
	global_load_b32 v1, v[6:7], off
	s_mov_b32 s38, 0
	s_wait_loadcnt 0x0
	v_cvt_f32_u32_e32 v1, v1
	s_delay_alu instid0(VALU_DEP_1)
	v_cvt_f16_f32_e32 v1, v1
	s_branch .LBB56_106
.LBB56_104:
	s_mov_b32 s38, -1
                                        ; implicit-def: $vgpr1
	s_branch .LBB56_109
.LBB56_105:
	s_mov_b32 s38, -1
                                        ; implicit-def: $vgpr1
.LBB56_106:
	s_delay_alu instid0(SALU_CYCLE_1)
	s_and_not1_b32 vcc_lo, exec_lo, s38
	s_cbranch_vccnz .LBB56_108
; %bb.107:
	global_load_u16 v1, v[6:7], off
	s_wait_loadcnt 0x0
	v_cvt_f16_u16_e32 v1, v1
.LBB56_108:
	s_mov_b32 s38, 0
.LBB56_109:
	s_delay_alu instid0(SALU_CYCLE_1)
	s_and_not1_b32 vcc_lo, exec_lo, s38
	s_cbranch_vccnz .LBB56_117
; %bb.110:
	global_load_u8 v3, v[6:7], off
	s_mov_b32 s38, 0
	s_mov_b32 s39, exec_lo
	s_wait_loadcnt 0x0
	v_cmpx_lt_i16_e32 0x7f, v3
	s_xor_b32 s39, exec_lo, s39
	s_cbranch_execz .LBB56_130
; %bb.111:
	s_mov_b32 s38, -1
	s_mov_b32 s40, exec_lo
	v_cmpx_eq_u16_e32 0x80, v3
; %bb.112:
	s_xor_b32 s38, exec_lo, -1
; %bb.113:
	s_or_b32 exec_lo, exec_lo, s40
	s_delay_alu instid0(SALU_CYCLE_1)
	s_and_b32 s38, s38, exec_lo
	s_or_saveexec_b32 s39, s39
	v_mov_b32_e32 v1, 0x7e00
	s_xor_b32 exec_lo, exec_lo, s39
	s_cbranch_execnz .LBB56_131
.LBB56_114:
	s_or_b32 exec_lo, exec_lo, s39
	s_and_saveexec_b32 s39, s38
	s_cbranch_execz .LBB56_116
.LBB56_115:
	v_and_b32_e32 v1, 0xffff, v3
	s_delay_alu instid0(VALU_DEP_1) | instskip(SKIP_1) | instid1(VALU_DEP_2)
	v_and_b32_e32 v5, 7, v1
	v_bfe_u32 v10, v1, 3, 4
	v_clz_i32_u32_e32 v8, v5
	s_delay_alu instid0(VALU_DEP_2) | instskip(NEXT) | instid1(VALU_DEP_2)
	v_cmp_eq_u32_e32 vcc_lo, 0, v10
	v_min_u32_e32 v8, 32, v8
	s_delay_alu instid0(VALU_DEP_1) | instskip(NEXT) | instid1(VALU_DEP_1)
	v_subrev_nc_u32_e32 v9, 28, v8
	v_dual_lshlrev_b32 v1, v9, v1 :: v_dual_sub_nc_u32 v8, 29, v8
	s_delay_alu instid0(VALU_DEP_1) | instskip(NEXT) | instid1(VALU_DEP_1)
	v_dual_lshlrev_b32 v3, 24, v3 :: v_dual_bitop2_b32 v1, 7, v1 bitop3:0x40
	v_dual_cndmask_b32 v8, v10, v8 :: v_dual_cndmask_b32 v1, v5, v1
	s_delay_alu instid0(VALU_DEP_2) | instskip(NEXT) | instid1(VALU_DEP_2)
	v_and_b32_e32 v3, 0x80000000, v3
	v_lshl_add_u32 v5, v8, 23, 0x3b800000
	s_delay_alu instid0(VALU_DEP_3) | instskip(NEXT) | instid1(VALU_DEP_1)
	v_lshlrev_b32_e32 v1, 20, v1
	v_or3_b32 v1, v3, v5, v1
	s_delay_alu instid0(VALU_DEP_1)
	v_cvt_f16_f32_e32 v1, v1
.LBB56_116:
	s_or_b32 exec_lo, exec_lo, s39
.LBB56_117:
	s_mov_b32 s38, -1
.LBB56_118:
	s_branch .LBB56_153
.LBB56_119:
	s_cmp_gt_i32 s25, 22
	s_cbranch_scc0 .LBB56_129
; %bb.120:
	s_cmp_lt_i32 s25, 24
	s_cbranch_scc1 .LBB56_132
; %bb.121:
	s_cmp_gt_i32 s25, 24
	s_cbranch_scc0 .LBB56_133
; %bb.122:
	global_load_u8 v3, v[6:7], off
	s_mov_b32 s38, 0
	s_mov_b32 s39, exec_lo
	s_wait_loadcnt 0x0
	v_cmpx_lt_i16_e32 0x7f, v3
	s_xor_b32 s39, exec_lo, s39
	s_cbranch_execz .LBB56_145
; %bb.123:
	s_mov_b32 s38, -1
	s_mov_b32 s40, exec_lo
	v_cmpx_eq_u16_e32 0x80, v3
; %bb.124:
	s_xor_b32 s38, exec_lo, -1
; %bb.125:
	s_or_b32 exec_lo, exec_lo, s40
	s_delay_alu instid0(SALU_CYCLE_1)
	s_and_b32 s38, s38, exec_lo
	s_or_saveexec_b32 s39, s39
	v_mov_b32_e32 v1, 0x7e00
	s_xor_b32 exec_lo, exec_lo, s39
	s_cbranch_execnz .LBB56_146
.LBB56_126:
	s_or_b32 exec_lo, exec_lo, s39
	s_and_saveexec_b32 s39, s38
	s_cbranch_execz .LBB56_128
.LBB56_127:
	v_and_b32_e32 v1, 0xffff, v3
	s_delay_alu instid0(VALU_DEP_1) | instskip(SKIP_1) | instid1(VALU_DEP_2)
	v_and_b32_e32 v5, 3, v1
	v_bfe_u32 v10, v1, 2, 5
	v_clz_i32_u32_e32 v8, v5
	s_delay_alu instid0(VALU_DEP_2) | instskip(NEXT) | instid1(VALU_DEP_2)
	v_cmp_eq_u32_e32 vcc_lo, 0, v10
	v_min_u32_e32 v8, 32, v8
	s_delay_alu instid0(VALU_DEP_1) | instskip(NEXT) | instid1(VALU_DEP_1)
	v_subrev_nc_u32_e32 v9, 29, v8
	v_dual_lshlrev_b32 v1, v9, v1 :: v_dual_sub_nc_u32 v8, 30, v8
	s_delay_alu instid0(VALU_DEP_1) | instskip(NEXT) | instid1(VALU_DEP_1)
	v_dual_lshlrev_b32 v3, 24, v3 :: v_dual_bitop2_b32 v1, 3, v1 bitop3:0x40
	v_dual_cndmask_b32 v8, v10, v8 :: v_dual_cndmask_b32 v1, v5, v1
	s_delay_alu instid0(VALU_DEP_2) | instskip(NEXT) | instid1(VALU_DEP_2)
	v_and_b32_e32 v3, 0x80000000, v3
	v_lshl_add_u32 v5, v8, 23, 0x37800000
	s_delay_alu instid0(VALU_DEP_3) | instskip(NEXT) | instid1(VALU_DEP_1)
	v_lshlrev_b32_e32 v1, 21, v1
	v_or3_b32 v1, v3, v5, v1
	s_delay_alu instid0(VALU_DEP_1)
	v_cvt_f16_f32_e32 v1, v1
.LBB56_128:
	s_or_b32 exec_lo, exec_lo, s39
	s_mov_b32 s38, 0
	s_branch .LBB56_134
.LBB56_129:
	s_mov_b32 s39, -1
                                        ; implicit-def: $vgpr1
	s_branch .LBB56_140
.LBB56_130:
	s_or_saveexec_b32 s39, s39
	v_mov_b32_e32 v1, 0x7e00
	s_xor_b32 exec_lo, exec_lo, s39
	s_cbranch_execz .LBB56_114
.LBB56_131:
	v_cmp_ne_u16_e32 vcc_lo, 0, v3
	v_mov_b32_e32 v1, v3
	s_and_not1_b32 s38, s38, exec_lo
	s_and_b32 s40, vcc_lo, exec_lo
	s_delay_alu instid0(SALU_CYCLE_1)
	s_or_b32 s38, s38, s40
	s_or_b32 exec_lo, exec_lo, s39
	s_and_saveexec_b32 s39, s38
	s_cbranch_execnz .LBB56_115
	s_branch .LBB56_116
.LBB56_132:
	s_mov_b32 s38, -1
                                        ; implicit-def: $vgpr1
	s_branch .LBB56_137
.LBB56_133:
	s_mov_b32 s38, -1
                                        ; implicit-def: $vgpr1
.LBB56_134:
	s_delay_alu instid0(SALU_CYCLE_1)
	s_and_b32 vcc_lo, exec_lo, s38
	s_cbranch_vccz .LBB56_136
; %bb.135:
	global_load_u8 v1, v[6:7], off
	s_wait_loadcnt 0x0
	v_lshlrev_b32_e32 v1, 24, v1
	s_delay_alu instid0(VALU_DEP_1) | instskip(NEXT) | instid1(VALU_DEP_1)
	v_and_b32_e32 v3, 0x7f000000, v1
	v_clz_i32_u32_e32 v5, v3
	v_add_nc_u32_e32 v9, 0x1000000, v3
	v_cmp_ne_u32_e32 vcc_lo, 0, v3
	s_delay_alu instid0(VALU_DEP_3) | instskip(NEXT) | instid1(VALU_DEP_1)
	v_min_u32_e32 v5, 32, v5
	v_sub_nc_u32_e64 v5, v5, 4 clamp
	s_delay_alu instid0(VALU_DEP_1) | instskip(NEXT) | instid1(VALU_DEP_1)
	v_dual_lshlrev_b32 v8, v5, v3 :: v_dual_lshlrev_b32 v5, 23, v5
	v_lshrrev_b32_e32 v8, 4, v8
	s_delay_alu instid0(VALU_DEP_1) | instskip(SKIP_1) | instid1(VALU_DEP_2)
	v_sub_nc_u32_e32 v5, v8, v5
	v_ashrrev_i32_e32 v8, 8, v9
	v_add_nc_u32_e32 v5, 0x3c000000, v5
	s_delay_alu instid0(VALU_DEP_1) | instskip(NEXT) | instid1(VALU_DEP_1)
	v_and_or_b32 v5, 0x7f800000, v8, v5
	v_cndmask_b32_e32 v3, 0, v5, vcc_lo
	s_delay_alu instid0(VALU_DEP_1) | instskip(NEXT) | instid1(VALU_DEP_1)
	v_and_or_b32 v1, 0x80000000, v1, v3
	v_cvt_f16_f32_e32 v1, v1
.LBB56_136:
	s_mov_b32 s38, 0
.LBB56_137:
	s_delay_alu instid0(SALU_CYCLE_1)
	s_and_not1_b32 vcc_lo, exec_lo, s38
	s_cbranch_vccnz .LBB56_139
; %bb.138:
	global_load_u8 v1, v[6:7], off
	s_wait_loadcnt 0x0
	v_lshlrev_b32_e32 v3, 25, v1
	v_lshlrev_b16 v1, 8, v1
	s_delay_alu instid0(VALU_DEP_1) | instskip(SKIP_1) | instid1(VALU_DEP_2)
	v_and_or_b32 v8, 0x7f00, v1, 0.5
	v_bfe_i32 v1, v1, 0, 16
	v_dual_add_f32 v8, -0.5, v8 :: v_dual_lshrrev_b32 v5, 4, v3
	v_cmp_gt_u32_e32 vcc_lo, 0x8000000, v3
	s_delay_alu instid0(VALU_DEP_2) | instskip(NEXT) | instid1(VALU_DEP_1)
	v_or_b32_e32 v5, 0x70000000, v5
	v_mul_f32_e32 v5, 0x7800000, v5
	s_delay_alu instid0(VALU_DEP_1) | instskip(NEXT) | instid1(VALU_DEP_1)
	v_cndmask_b32_e32 v3, v5, v8, vcc_lo
	v_and_or_b32 v1, 0x80000000, v1, v3
	s_delay_alu instid0(VALU_DEP_1)
	v_cvt_f16_f32_e32 v1, v1
.LBB56_139:
	s_mov_b32 s39, 0
	s_mov_b32 s38, -1
.LBB56_140:
	s_and_not1_b32 vcc_lo, exec_lo, s39
	s_cbranch_vccnz .LBB56_153
; %bb.141:
	s_cmp_gt_i32 s25, 14
	s_cbranch_scc0 .LBB56_144
; %bb.142:
	s_cmp_eq_u32 s25, 15
	s_cbranch_scc0 .LBB56_147
; %bb.143:
	global_load_u16 v1, v[6:7], off
	s_mov_b32 s38, -1
	s_mov_b32 s24, 0
	s_wait_loadcnt 0x0
	v_lshlrev_b32_e32 v1, 16, v1
	s_delay_alu instid0(VALU_DEP_1)
	v_cvt_f16_f32_e32 v1, v1
	s_branch .LBB56_148
.LBB56_144:
	s_mov_b32 s39, -1
                                        ; implicit-def: $vgpr1
	s_branch .LBB56_149
.LBB56_145:
	s_or_saveexec_b32 s39, s39
	v_mov_b32_e32 v1, 0x7e00
	s_xor_b32 exec_lo, exec_lo, s39
	s_cbranch_execz .LBB56_126
.LBB56_146:
	v_cmp_ne_u16_e32 vcc_lo, 0, v3
	v_mov_b32_e32 v1, v3
	s_and_not1_b32 s38, s38, exec_lo
	s_and_b32 s40, vcc_lo, exec_lo
	s_delay_alu instid0(SALU_CYCLE_1)
	s_or_b32 s38, s38, s40
	s_or_b32 exec_lo, exec_lo, s39
	s_and_saveexec_b32 s39, s38
	s_cbranch_execnz .LBB56_127
	s_branch .LBB56_128
.LBB56_147:
	s_mov_b32 s24, -1
                                        ; implicit-def: $vgpr1
.LBB56_148:
	s_mov_b32 s39, 0
.LBB56_149:
	s_delay_alu instid0(SALU_CYCLE_1)
	s_and_b32 vcc_lo, exec_lo, s39
	s_cbranch_vccz .LBB56_153
; %bb.150:
	s_cmp_eq_u32 s25, 11
	s_cbranch_scc0 .LBB56_152
; %bb.151:
	global_load_u8 v1, v[6:7], off
	s_mov_b32 s24, 0
	s_mov_b32 s38, -1
	s_wait_loadcnt 0x0
	v_cmp_ne_u16_e32 vcc_lo, 0, v1
	v_cndmask_b32_e64 v1, 0, 0x3c00, vcc_lo
	s_branch .LBB56_153
.LBB56_152:
	s_mov_b32 s24, -1
                                        ; implicit-def: $vgpr1
.LBB56_153:
	s_branch .LBB56_21
.LBB56_154:
	s_and_b32 s0, 0xffff, s0
	s_delay_alu instid0(SALU_CYCLE_1)
	s_cmp_lt_i32 s0, 5
	s_cbranch_scc1 .LBB56_159
; %bb.155:
	s_cmp_lt_i32 s0, 8
	s_cbranch_scc1 .LBB56_160
; %bb.156:
	;; [unrolled: 3-line block ×3, first 2 shown]
	s_cmp_gt_i32 s0, 9
	s_cbranch_scc0 .LBB56_162
; %bb.158:
	global_load_b64 v[8:9], v[6:7], off
	s_mov_b32 s25, 0
	s_wait_loadcnt 0x0
	v_and_or_b32 v1, 0x1ff, v9, v8
	v_lshrrev_b32_e32 v3, 8, v9
	v_bfe_u32 v5, v9, 20, 11
	s_delay_alu instid0(VALU_DEP_3) | instskip(NEXT) | instid1(VALU_DEP_2)
	v_cmp_ne_u32_e32 vcc_lo, 0, v1
	v_sub_nc_u32_e32 v8, 0x3f1, v5
	v_add_nc_u32_e32 v5, 0xfffffc10, v5
	v_cndmask_b32_e64 v1, 0, 1, vcc_lo
	s_delay_alu instid0(VALU_DEP_1) | instskip(NEXT) | instid1(VALU_DEP_4)
	v_and_or_b32 v1, 0xffe, v3, v1
	v_med3_i32 v3, v8, 0, 13
	s_delay_alu instid0(VALU_DEP_2) | instskip(NEXT) | instid1(VALU_DEP_1)
	v_or_b32_e32 v8, 0x1000, v1
	v_lshrrev_b32_e32 v10, v3, v8
	s_delay_alu instid0(VALU_DEP_1) | instskip(NEXT) | instid1(VALU_DEP_1)
	v_lshlrev_b32_e32 v3, v3, v10
	v_cmp_ne_u32_e32 vcc_lo, v3, v8
	v_lshl_or_b32 v8, v5, 12, v1
	v_cndmask_b32_e64 v3, 0, 1, vcc_lo
	v_cmp_gt_i32_e32 vcc_lo, 1, v5
	s_delay_alu instid0(VALU_DEP_2) | instskip(NEXT) | instid1(VALU_DEP_1)
	v_or_b32_e32 v3, v10, v3
	v_cndmask_b32_e32 v3, v8, v3, vcc_lo
	s_delay_alu instid0(VALU_DEP_1) | instskip(NEXT) | instid1(VALU_DEP_1)
	v_dual_lshrrev_b32 v3, 2, v3 :: v_dual_bitop2_b32 v8, 7, v3 bitop3:0x40
	v_cmp_lt_i32_e32 vcc_lo, 5, v8
	v_cndmask_b32_e64 v10, 0, 1, vcc_lo
	v_cmp_eq_u32_e32 vcc_lo, 3, v8
	v_cndmask_b32_e64 v8, 0, 1, vcc_lo
	v_cmp_ne_u32_e32 vcc_lo, 0, v1
	s_delay_alu instid0(VALU_DEP_2) | instskip(NEXT) | instid1(VALU_DEP_1)
	v_or_b32_e32 v8, v8, v10
	v_dual_mov_b32 v10, 0x7e00 :: v_dual_add_nc_u32 v3, v3, v8
	s_delay_alu instid0(VALU_DEP_1) | instskip(SKIP_1) | instid1(VALU_DEP_3)
	v_cndmask_b32_e32 v1, 0x7c00, v10, vcc_lo
	v_cmp_gt_i32_e32 vcc_lo, 31, v5
	v_cndmask_b32_e32 v3, 0x7c00, v3, vcc_lo
	v_cmp_eq_u32_e32 vcc_lo, 0x40f, v5
	s_delay_alu instid0(VALU_DEP_2) | instskip(SKIP_1) | instid1(VALU_DEP_1)
	v_cndmask_b32_e32 v1, v3, v1, vcc_lo
	v_lshrrev_b32_e32 v3, 16, v9
	v_and_or_b32 v1, 0x8000, v3, v1
	s_branch .LBB56_163
.LBB56_159:
                                        ; implicit-def: $vgpr1
	s_branch .LBB56_181
.LBB56_160:
	s_mov_b32 s25, -1
                                        ; implicit-def: $vgpr1
	s_branch .LBB56_169
.LBB56_161:
	s_mov_b32 s25, -1
                                        ; implicit-def: $vgpr1
	s_branch .LBB56_166
.LBB56_162:
	s_mov_b32 s25, -1
                                        ; implicit-def: $vgpr1
.LBB56_163:
	s_delay_alu instid0(SALU_CYCLE_1)
	s_and_not1_b32 vcc_lo, exec_lo, s25
	s_cbranch_vccnz .LBB56_165
; %bb.164:
	global_load_b32 v1, v[6:7], off
	s_wait_loadcnt 0x0
	v_cvt_f16_f32_e32 v1, v1
.LBB56_165:
	s_mov_b32 s25, 0
.LBB56_166:
	s_delay_alu instid0(SALU_CYCLE_1)
	s_and_not1_b32 vcc_lo, exec_lo, s25
	s_cbranch_vccnz .LBB56_168
; %bb.167:
	global_load_b32 v1, v[6:7], off
.LBB56_168:
	s_mov_b32 s25, 0
.LBB56_169:
	s_delay_alu instid0(SALU_CYCLE_1)
	s_and_not1_b32 vcc_lo, exec_lo, s25
	s_cbranch_vccnz .LBB56_180
; %bb.170:
	s_cmp_lt_i32 s0, 6
	s_cbranch_scc1 .LBB56_173
; %bb.171:
	s_cmp_gt_i32 s0, 6
	s_cbranch_scc0 .LBB56_174
; %bb.172:
	global_load_b64 v[8:9], v[6:7], off
	s_mov_b32 s25, 0
	s_wait_loadcnt 0x0
	v_and_or_b32 v1, 0x1ff, v9, v8
	v_lshrrev_b32_e32 v3, 8, v9
	v_bfe_u32 v5, v9, 20, 11
	s_delay_alu instid0(VALU_DEP_3) | instskip(NEXT) | instid1(VALU_DEP_2)
	v_cmp_ne_u32_e32 vcc_lo, 0, v1
	v_sub_nc_u32_e32 v8, 0x3f1, v5
	v_add_nc_u32_e32 v5, 0xfffffc10, v5
	v_cndmask_b32_e64 v1, 0, 1, vcc_lo
	s_delay_alu instid0(VALU_DEP_1) | instskip(NEXT) | instid1(VALU_DEP_4)
	v_and_or_b32 v1, 0xffe, v3, v1
	v_med3_i32 v3, v8, 0, 13
	s_delay_alu instid0(VALU_DEP_2) | instskip(NEXT) | instid1(VALU_DEP_1)
	v_or_b32_e32 v8, 0x1000, v1
	v_lshrrev_b32_e32 v10, v3, v8
	s_delay_alu instid0(VALU_DEP_1) | instskip(NEXT) | instid1(VALU_DEP_1)
	v_lshlrev_b32_e32 v3, v3, v10
	v_cmp_ne_u32_e32 vcc_lo, v3, v8
	v_lshl_or_b32 v8, v5, 12, v1
	v_cndmask_b32_e64 v3, 0, 1, vcc_lo
	v_cmp_gt_i32_e32 vcc_lo, 1, v5
	s_delay_alu instid0(VALU_DEP_2) | instskip(NEXT) | instid1(VALU_DEP_1)
	v_or_b32_e32 v3, v10, v3
	v_cndmask_b32_e32 v3, v8, v3, vcc_lo
	s_delay_alu instid0(VALU_DEP_1) | instskip(NEXT) | instid1(VALU_DEP_1)
	v_dual_lshrrev_b32 v3, 2, v3 :: v_dual_bitop2_b32 v8, 7, v3 bitop3:0x40
	v_cmp_lt_i32_e32 vcc_lo, 5, v8
	v_cndmask_b32_e64 v10, 0, 1, vcc_lo
	v_cmp_eq_u32_e32 vcc_lo, 3, v8
	v_cndmask_b32_e64 v8, 0, 1, vcc_lo
	v_cmp_ne_u32_e32 vcc_lo, 0, v1
	s_delay_alu instid0(VALU_DEP_2) | instskip(NEXT) | instid1(VALU_DEP_1)
	v_or_b32_e32 v8, v8, v10
	v_dual_mov_b32 v10, 0x7e00 :: v_dual_add_nc_u32 v3, v3, v8
	s_delay_alu instid0(VALU_DEP_1) | instskip(SKIP_1) | instid1(VALU_DEP_3)
	v_cndmask_b32_e32 v1, 0x7c00, v10, vcc_lo
	v_cmp_gt_i32_e32 vcc_lo, 31, v5
	v_cndmask_b32_e32 v3, 0x7c00, v3, vcc_lo
	v_cmp_eq_u32_e32 vcc_lo, 0x40f, v5
	s_delay_alu instid0(VALU_DEP_2) | instskip(SKIP_1) | instid1(VALU_DEP_1)
	v_cndmask_b32_e32 v1, v3, v1, vcc_lo
	v_lshrrev_b32_e32 v3, 16, v9
	v_and_or_b32 v1, 0x8000, v3, v1
	s_branch .LBB56_175
.LBB56_173:
	s_mov_b32 s25, -1
                                        ; implicit-def: $vgpr1
	s_branch .LBB56_178
.LBB56_174:
	s_mov_b32 s25, -1
                                        ; implicit-def: $vgpr1
.LBB56_175:
	s_delay_alu instid0(SALU_CYCLE_1)
	s_and_not1_b32 vcc_lo, exec_lo, s25
	s_cbranch_vccnz .LBB56_177
; %bb.176:
	s_wait_loadcnt 0x0
	global_load_b32 v1, v[6:7], off
	s_wait_loadcnt 0x0
	v_cvt_f16_f32_e32 v1, v1
.LBB56_177:
	s_mov_b32 s25, 0
.LBB56_178:
	s_delay_alu instid0(SALU_CYCLE_1)
	s_and_not1_b32 vcc_lo, exec_lo, s25
	s_cbranch_vccnz .LBB56_180
; %bb.179:
	s_wait_loadcnt 0x0
	global_load_u16 v1, v[6:7], off
.LBB56_180:
	s_cbranch_execnz .LBB56_200
.LBB56_181:
	s_cmp_lt_i32 s0, 2
	s_cbranch_scc1 .LBB56_185
; %bb.182:
	s_cmp_lt_i32 s0, 3
	s_cbranch_scc1 .LBB56_186
; %bb.183:
	s_cmp_gt_i32 s0, 3
	s_cbranch_scc0 .LBB56_187
; %bb.184:
	global_load_b64 v[8:9], v[6:7], off
	s_mov_b32 s25, 0
	s_wait_loadcnt 0x0
	v_xor_b32_e32 v1, v8, v9
	v_cls_i32_e32 v3, v9
	s_delay_alu instid0(VALU_DEP_2) | instskip(NEXT) | instid1(VALU_DEP_1)
	v_ashrrev_i32_e32 v1, 31, v1
	v_add_nc_u32_e32 v1, 32, v1
	s_delay_alu instid0(VALU_DEP_1) | instskip(NEXT) | instid1(VALU_DEP_1)
	v_add_min_u32_e64 v1, v3, -1, v1
	v_lshlrev_b64_e32 v[8:9], v1, v[8:9]
	v_sub_nc_u32_e32 v1, 32, v1
	s_delay_alu instid0(VALU_DEP_2) | instskip(NEXT) | instid1(VALU_DEP_1)
	v_min_u32_e32 v3, 1, v8
	v_or_b32_e32 v3, v9, v3
	s_delay_alu instid0(VALU_DEP_1) | instskip(NEXT) | instid1(VALU_DEP_1)
	v_cvt_f32_i32_e32 v3, v3
	v_ldexp_f32 v1, v3, v1
	s_delay_alu instid0(VALU_DEP_1)
	v_cvt_f16_f32_e32 v1, v1
	s_branch .LBB56_188
.LBB56_185:
	s_mov_b32 s25, -1
                                        ; implicit-def: $vgpr1
	s_branch .LBB56_194
.LBB56_186:
	s_mov_b32 s25, -1
                                        ; implicit-def: $vgpr1
	s_branch .LBB56_191
.LBB56_187:
	s_mov_b32 s25, -1
                                        ; implicit-def: $vgpr1
.LBB56_188:
	s_delay_alu instid0(SALU_CYCLE_1)
	s_and_not1_b32 vcc_lo, exec_lo, s25
	s_cbranch_vccnz .LBB56_190
; %bb.189:
	s_wait_loadcnt 0x0
	global_load_b32 v1, v[6:7], off
	s_wait_loadcnt 0x0
	v_cvt_f32_i32_e32 v1, v1
	s_delay_alu instid0(VALU_DEP_1)
	v_cvt_f16_f32_e32 v1, v1
.LBB56_190:
	s_mov_b32 s25, 0
.LBB56_191:
	s_delay_alu instid0(SALU_CYCLE_1)
	s_and_not1_b32 vcc_lo, exec_lo, s25
	s_cbranch_vccnz .LBB56_193
; %bb.192:
	s_wait_loadcnt 0x0
	global_load_u16 v1, v[6:7], off
	s_wait_loadcnt 0x0
	v_cvt_f16_i16_e32 v1, v1
.LBB56_193:
	s_mov_b32 s25, 0
.LBB56_194:
	s_delay_alu instid0(SALU_CYCLE_1)
	s_and_not1_b32 vcc_lo, exec_lo, s25
	s_cbranch_vccnz .LBB56_200
; %bb.195:
	s_cmp_gt_i32 s0, 0
	s_mov_b32 s0, 0
	s_cbranch_scc0 .LBB56_197
; %bb.196:
	s_wait_loadcnt 0x0
	global_load_i8 v1, v[6:7], off
	s_wait_loadcnt 0x0
	v_cvt_f16_i16_e32 v1, v1
	s_branch .LBB56_198
.LBB56_197:
	s_mov_b32 s0, -1
                                        ; implicit-def: $vgpr1
.LBB56_198:
	s_delay_alu instid0(SALU_CYCLE_1)
	s_and_not1_b32 vcc_lo, exec_lo, s0
	s_cbranch_vccnz .LBB56_200
; %bb.199:
	s_wait_loadcnt 0x0
	global_load_u8 v1, v[6:7], off
	s_wait_loadcnt 0x0
	v_cvt_f16_u16_e32 v1, v1
.LBB56_200:
	s_branch .LBB56_22
.LBB56_201:
	s_mov_b32 s0, 0
	s_mov_b32 s25, 0
	s_branch .LBB56_390
.LBB56_202:
	s_mov_b32 s25, -1
.LBB56_203:
	s_mov_b32 s39, 0
                                        ; implicit-def: $vgpr6
.LBB56_204:
	s_and_b32 vcc_lo, exec_lo, s40
	s_cbranch_vccz .LBB56_280
; %bb.205:
	s_cmp_eq_u32 s38, 44
	s_cbranch_scc0 .LBB56_279
; %bb.206:
	global_load_u8 v3, v[4:5], off
	s_mov_b32 s25, 0
	s_mov_b32 s39, -1
	s_wait_loadcnt 0x0
	v_lshlrev_b32_e32 v6, 23, v3
	v_cmp_ne_u32_e32 vcc_lo, 0xff, v3
	s_delay_alu instid0(VALU_DEP_2) | instskip(NEXT) | instid1(VALU_DEP_1)
	v_cvt_f16_f32_e32 v6, v6
	v_cndmask_b32_e32 v6, 0x7e00, v6, vcc_lo
	v_cmp_ne_u32_e32 vcc_lo, 0, v3
	s_delay_alu instid0(VALU_DEP_2)
	v_cndmask_b32_e32 v6, 0, v6, vcc_lo
	s_branch .LBB56_280
.LBB56_207:
	s_mov_b32 s42, -1
.LBB56_208:
	s_delay_alu instid0(SALU_CYCLE_1)
	s_and_b32 vcc_lo, exec_lo, s42
	s_cbranch_vccz .LBB56_213
; %bb.209:
	s_cmp_eq_u32 s39, 44
	s_mov_b32 s0, -1
	s_cbranch_scc0 .LBB56_213
; %bb.210:
	s_wait_xcnt 0x0
	v_cvt_f32_f16_e32 v4, v1
	v_mov_b32_e32 v5, 0xff
	s_mov_b32 s40, exec_lo
	s_delay_alu instid0(VALU_DEP_2) | instskip(NEXT) | instid1(VALU_DEP_1)
	v_bfe_u32 v6, v4, 23, 8
	v_cmpx_ne_u32_e32 0xff, v6
	s_cbranch_execz .LBB56_212
; %bb.211:
	v_and_b32_e32 v5, 0x400000, v4
	v_and_or_b32 v6, 0x3fffff, v4, v6
	v_lshrrev_b32_e32 v4, 23, v4
	s_delay_alu instid0(VALU_DEP_3) | instskip(NEXT) | instid1(VALU_DEP_3)
	v_cmp_ne_u32_e32 vcc_lo, 0, v5
	v_cmp_ne_u32_e64 s0, 0, v6
	s_and_b32 s0, vcc_lo, s0
	s_delay_alu instid0(SALU_CYCLE_1) | instskip(NEXT) | instid1(VALU_DEP_1)
	v_cndmask_b32_e64 v5, 0, 1, s0
	v_add_nc_u32_e32 v5, v4, v5
.LBB56_212:
	s_or_b32 exec_lo, exec_lo, s40
	s_mov_b32 s40, -1
	s_mov_b32 s0, 0
	global_store_b8 v[2:3], v5, off
.LBB56_213:
	s_mov_b32 s42, 0
.LBB56_214:
	s_delay_alu instid0(SALU_CYCLE_1)
	s_and_b32 vcc_lo, exec_lo, s42
	s_cbranch_vccz .LBB56_217
; %bb.215:
	s_cmp_eq_u32 s39, 29
	s_mov_b32 s0, -1
	s_cbranch_scc0 .LBB56_217
; %bb.216:
	s_wait_xcnt 0x0
	v_cvt_f32_f16_e32 v4, v1
	v_mov_b32_e32 v5, 0
	s_mov_b32 s40, -1
	s_mov_b32 s0, 0
	s_mov_b32 s42, 0
	v_cvt_u32_f32_e32 v4, v4
	global_store_b64 v[2:3], v[4:5], off
	s_branch .LBB56_218
.LBB56_217:
	s_mov_b32 s42, 0
.LBB56_218:
	s_delay_alu instid0(SALU_CYCLE_1)
	s_and_b32 vcc_lo, exec_lo, s42
	s_cbranch_vccz .LBB56_234
; %bb.219:
	s_cmp_lt_i32 s39, 27
	s_mov_b32 s40, -1
	s_cbranch_scc1 .LBB56_225
; %bb.220:
	s_cmp_gt_i32 s39, 27
	s_cbranch_scc0 .LBB56_222
; %bb.221:
	s_wait_xcnt 0x0
	v_cvt_f32_f16_e32 v4, v1
	s_mov_b32 s40, 0
	s_delay_alu instid0(VALU_DEP_1)
	v_cvt_u32_f32_e32 v4, v4
	global_store_b32 v[2:3], v4, off
.LBB56_222:
	s_and_not1_b32 vcc_lo, exec_lo, s40
	s_cbranch_vccnz .LBB56_224
; %bb.223:
	s_wait_xcnt 0x0
	v_cvt_u16_f16_e32 v4, v1
	global_store_b16 v[2:3], v4, off
.LBB56_224:
	s_mov_b32 s40, 0
.LBB56_225:
	s_delay_alu instid0(SALU_CYCLE_1)
	s_and_not1_b32 vcc_lo, exec_lo, s40
	s_cbranch_vccnz .LBB56_233
; %bb.226:
	s_wait_xcnt 0x0
	v_cvt_f32_f16_e32 v4, v1
	v_mov_b32_e32 v6, 0x80
	s_mov_b32 s40, exec_lo
	s_delay_alu instid0(VALU_DEP_2) | instskip(NEXT) | instid1(VALU_DEP_1)
	v_and_b32_e32 v5, 0x7fffffff, v4
	v_cmpx_gt_u32_e32 0x43800000, v5
	s_cbranch_execz .LBB56_232
; %bb.227:
	v_cmp_lt_u32_e32 vcc_lo, 0x3bffffff, v5
	s_mov_b32 s42, 0
                                        ; implicit-def: $vgpr5
	s_and_saveexec_b32 s43, vcc_lo
	s_delay_alu instid0(SALU_CYCLE_1)
	s_xor_b32 s43, exec_lo, s43
	s_cbranch_execz .LBB56_432
; %bb.228:
	v_bfe_u32 v5, v4, 20, 1
	s_mov_b32 s42, exec_lo
	s_delay_alu instid0(VALU_DEP_1) | instskip(NEXT) | instid1(VALU_DEP_1)
	v_add3_u32 v5, v4, v5, 0x487ffff
	v_lshrrev_b32_e32 v5, 20, v5
	s_and_not1_saveexec_b32 s43, s43
	s_cbranch_execnz .LBB56_433
.LBB56_229:
	s_or_b32 exec_lo, exec_lo, s43
	v_mov_b32_e32 v6, 0
	s_and_saveexec_b32 s43, s42
.LBB56_230:
	v_lshrrev_b32_e32 v4, 24, v4
	s_delay_alu instid0(VALU_DEP_1)
	v_and_or_b32 v6, 0x80, v4, v5
.LBB56_231:
	s_or_b32 exec_lo, exec_lo, s43
.LBB56_232:
	s_delay_alu instid0(SALU_CYCLE_1)
	s_or_b32 exec_lo, exec_lo, s40
	global_store_b8 v[2:3], v6, off
.LBB56_233:
	s_mov_b32 s40, -1
.LBB56_234:
	s_mov_b32 s42, 0
.LBB56_235:
	s_delay_alu instid0(SALU_CYCLE_1)
	s_and_b32 vcc_lo, exec_lo, s42
	s_cbranch_vccz .LBB56_276
; %bb.236:
	s_cmp_gt_i32 s39, 22
	s_mov_b32 s42, -1
	s_cbranch_scc0 .LBB56_268
; %bb.237:
	s_cmp_lt_i32 s39, 24
	s_mov_b32 s40, -1
	s_cbranch_scc1 .LBB56_257
; %bb.238:
	s_cmp_gt_i32 s39, 24
	s_cbranch_scc0 .LBB56_246
; %bb.239:
	s_wait_xcnt 0x0
	v_cvt_f32_f16_e32 v4, v1
	v_mov_b32_e32 v6, 0x80
	s_mov_b32 s40, exec_lo
	s_delay_alu instid0(VALU_DEP_2) | instskip(NEXT) | instid1(VALU_DEP_1)
	v_and_b32_e32 v5, 0x7fffffff, v4
	v_cmpx_gt_u32_e32 0x47800000, v5
	s_cbranch_execz .LBB56_245
; %bb.240:
	v_cmp_lt_u32_e32 vcc_lo, 0x37ffffff, v5
	s_mov_b32 s42, 0
                                        ; implicit-def: $vgpr5
	s_and_saveexec_b32 s43, vcc_lo
	s_delay_alu instid0(SALU_CYCLE_1)
	s_xor_b32 s43, exec_lo, s43
	s_cbranch_execz .LBB56_551
; %bb.241:
	v_bfe_u32 v5, v4, 21, 1
	s_mov_b32 s42, exec_lo
	s_delay_alu instid0(VALU_DEP_1) | instskip(NEXT) | instid1(VALU_DEP_1)
	v_add3_u32 v5, v4, v5, 0x88fffff
	v_lshrrev_b32_e32 v5, 21, v5
	s_and_not1_saveexec_b32 s43, s43
	s_cbranch_execnz .LBB56_552
.LBB56_242:
	s_or_b32 exec_lo, exec_lo, s43
	v_mov_b32_e32 v6, 0
	s_and_saveexec_b32 s43, s42
.LBB56_243:
	v_lshrrev_b32_e32 v4, 24, v4
	s_delay_alu instid0(VALU_DEP_1)
	v_and_or_b32 v6, 0x80, v4, v5
.LBB56_244:
	s_or_b32 exec_lo, exec_lo, s43
.LBB56_245:
	s_delay_alu instid0(SALU_CYCLE_1)
	s_or_b32 exec_lo, exec_lo, s40
	s_mov_b32 s40, 0
	global_store_b8 v[2:3], v6, off
.LBB56_246:
	s_and_b32 vcc_lo, exec_lo, s40
	s_cbranch_vccz .LBB56_256
; %bb.247:
	s_wait_xcnt 0x0
	v_cvt_f32_f16_e32 v4, v1
	s_mov_b32 s40, exec_lo
                                        ; implicit-def: $vgpr5
	s_delay_alu instid0(VALU_DEP_1) | instskip(NEXT) | instid1(VALU_DEP_1)
	v_and_b32_e32 v6, 0x7fffffff, v4
	v_cmpx_gt_u32_e32 0x43f00000, v6
	s_xor_b32 s40, exec_lo, s40
	s_cbranch_execz .LBB56_253
; %bb.248:
	s_mov_b32 s42, exec_lo
                                        ; implicit-def: $vgpr5
	v_cmpx_lt_u32_e32 0x3c7fffff, v6
	s_xor_b32 s42, exec_lo, s42
; %bb.249:
	v_bfe_u32 v5, v4, 20, 1
	s_delay_alu instid0(VALU_DEP_1) | instskip(NEXT) | instid1(VALU_DEP_1)
	v_add3_u32 v5, v4, v5, 0x407ffff
	v_and_b32_e32 v6, 0xff00000, v5
	v_lshrrev_b32_e32 v5, 20, v5
	s_delay_alu instid0(VALU_DEP_2) | instskip(NEXT) | instid1(VALU_DEP_2)
	v_cmp_ne_u32_e32 vcc_lo, 0x7f00000, v6
	v_cndmask_b32_e32 v5, 0x7e, v5, vcc_lo
; %bb.250:
	s_and_not1_saveexec_b32 s42, s42
; %bb.251:
	v_add_f32_e64 v5, 0x46800000, |v4|
; %bb.252:
	s_or_b32 exec_lo, exec_lo, s42
                                        ; implicit-def: $vgpr6
.LBB56_253:
	s_and_not1_saveexec_b32 s40, s40
; %bb.254:
	v_mov_b32_e32 v5, 0x7f
	v_cmp_lt_u32_e32 vcc_lo, 0x7f800000, v6
	s_delay_alu instid0(VALU_DEP_2)
	v_cndmask_b32_e32 v5, 0x7e, v5, vcc_lo
; %bb.255:
	s_or_b32 exec_lo, exec_lo, s40
	v_lshrrev_b32_e32 v4, 24, v4
	s_delay_alu instid0(VALU_DEP_1)
	v_and_or_b32 v4, 0x80, v4, v5
	global_store_b8 v[2:3], v4, off
.LBB56_256:
	s_mov_b32 s40, 0
.LBB56_257:
	s_delay_alu instid0(SALU_CYCLE_1)
	s_and_not1_b32 vcc_lo, exec_lo, s40
	s_cbranch_vccnz .LBB56_267
; %bb.258:
	s_wait_xcnt 0x0
	v_cvt_f32_f16_e32 v4, v1
	s_mov_b32 s40, exec_lo
                                        ; implicit-def: $vgpr5
	s_delay_alu instid0(VALU_DEP_1) | instskip(NEXT) | instid1(VALU_DEP_1)
	v_and_b32_e32 v6, 0x7fffffff, v4
	v_cmpx_gt_u32_e32 0x47800000, v6
	s_xor_b32 s40, exec_lo, s40
	s_cbranch_execz .LBB56_264
; %bb.259:
	s_mov_b32 s42, exec_lo
                                        ; implicit-def: $vgpr5
	v_cmpx_lt_u32_e32 0x387fffff, v6
	s_xor_b32 s42, exec_lo, s42
; %bb.260:
	v_bfe_u32 v5, v4, 21, 1
	s_delay_alu instid0(VALU_DEP_1) | instskip(NEXT) | instid1(VALU_DEP_1)
	v_add3_u32 v5, v4, v5, 0x80fffff
	v_lshrrev_b32_e32 v5, 21, v5
; %bb.261:
	s_and_not1_saveexec_b32 s42, s42
; %bb.262:
	v_add_f32_e64 v5, 0x43000000, |v4|
; %bb.263:
	s_or_b32 exec_lo, exec_lo, s42
                                        ; implicit-def: $vgpr6
.LBB56_264:
	s_and_not1_saveexec_b32 s40, s40
; %bb.265:
	v_mov_b32_e32 v5, 0x7f
	v_cmp_lt_u32_e32 vcc_lo, 0x7f800000, v6
	s_delay_alu instid0(VALU_DEP_2)
	v_cndmask_b32_e32 v5, 0x7c, v5, vcc_lo
; %bb.266:
	s_or_b32 exec_lo, exec_lo, s40
	v_lshrrev_b32_e32 v4, 24, v4
	s_delay_alu instid0(VALU_DEP_1)
	v_and_or_b32 v4, 0x80, v4, v5
	global_store_b8 v[2:3], v4, off
.LBB56_267:
	s_mov_b32 s42, 0
	s_mov_b32 s40, -1
.LBB56_268:
	s_and_not1_b32 vcc_lo, exec_lo, s42
	s_cbranch_vccnz .LBB56_276
; %bb.269:
	s_cmp_gt_i32 s39, 14
	s_mov_b32 s42, -1
	s_cbranch_scc0 .LBB56_273
; %bb.270:
	s_cmp_eq_u32 s39, 15
	s_mov_b32 s0, -1
	s_cbranch_scc0 .LBB56_272
; %bb.271:
	s_wait_xcnt 0x0
	v_cvt_f32_f16_e32 v4, v1
	v_cmp_o_f16_e32 vcc_lo, v1, v1
	s_mov_b32 s40, -1
	s_mov_b32 s0, 0
	s_delay_alu instid0(VALU_DEP_2) | instskip(NEXT) | instid1(VALU_DEP_1)
	v_bfe_u32 v5, v4, 16, 1
	v_add3_u32 v4, v4, v5, 0x7fff
	s_delay_alu instid0(VALU_DEP_1) | instskip(NEXT) | instid1(VALU_DEP_1)
	v_lshrrev_b32_e32 v4, 16, v4
	v_cndmask_b32_e32 v4, 0x7fc0, v4, vcc_lo
	global_store_b16 v[2:3], v4, off
.LBB56_272:
	s_mov_b32 s42, 0
.LBB56_273:
	s_delay_alu instid0(SALU_CYCLE_1)
	s_and_b32 vcc_lo, exec_lo, s42
	s_cbranch_vccz .LBB56_276
; %bb.274:
	s_cmp_eq_u32 s39, 11
	s_mov_b32 s0, -1
	s_cbranch_scc0 .LBB56_276
; %bb.275:
	s_wait_xcnt 0x0
	v_and_b32_e32 v4, 0x7fff, v1
	s_mov_b32 s0, 0
	s_mov_b32 s40, -1
	s_delay_alu instid0(VALU_DEP_1)
	v_cmp_ne_u16_e32 vcc_lo, 0, v4
	v_cndmask_b32_e64 v4, 0, 1, vcc_lo
	global_store_b8 v[2:3], v4, off
.LBB56_276:
.LBB56_277:
	s_and_not1_b32 vcc_lo, exec_lo, s40
	s_cbranch_vccnz .LBB56_390
.LBB56_278:
	v_add_nc_u32_e32 v0, 0x80, v0
	s_mov_b32 s42, -1
	s_branch .LBB56_391
.LBB56_279:
	s_mov_b32 s25, -1
                                        ; implicit-def: $vgpr6
.LBB56_280:
	s_mov_b32 s40, 0
.LBB56_281:
	s_delay_alu instid0(SALU_CYCLE_1)
	s_and_b32 vcc_lo, exec_lo, s40
	s_cbranch_vccz .LBB56_285
; %bb.282:
	s_cmp_eq_u32 s38, 29
	s_cbranch_scc0 .LBB56_284
; %bb.283:
	global_load_b64 v[6:7], v[4:5], off
	s_mov_b32 s39, -1
	s_mov_b32 s25, 0
	s_mov_b32 s40, 0
	s_wait_loadcnt 0x0
	v_clz_i32_u32_e32 v3, v7
	s_delay_alu instid0(VALU_DEP_1) | instskip(NEXT) | instid1(VALU_DEP_1)
	v_min_u32_e32 v3, 32, v3
	v_lshlrev_b64_e32 v[6:7], v3, v[6:7]
	v_sub_nc_u32_e32 v3, 32, v3
	s_delay_alu instid0(VALU_DEP_2) | instskip(NEXT) | instid1(VALU_DEP_1)
	v_min_u32_e32 v6, 1, v6
	v_or_b32_e32 v6, v7, v6
	s_delay_alu instid0(VALU_DEP_1) | instskip(NEXT) | instid1(VALU_DEP_1)
	v_cvt_f32_u32_e32 v6, v6
	v_ldexp_f32 v3, v6, v3
	s_delay_alu instid0(VALU_DEP_1)
	v_cvt_f16_f32_e32 v6, v3
	s_branch .LBB56_286
.LBB56_284:
	s_mov_b32 s25, -1
                                        ; implicit-def: $vgpr6
.LBB56_285:
	s_mov_b32 s40, 0
.LBB56_286:
	s_delay_alu instid0(SALU_CYCLE_1)
	s_and_b32 vcc_lo, exec_lo, s40
	s_cbranch_vccz .LBB56_304
; %bb.287:
	s_cmp_lt_i32 s38, 27
	s_cbranch_scc1 .LBB56_290
; %bb.288:
	s_cmp_gt_i32 s38, 27
	s_cbranch_scc0 .LBB56_291
; %bb.289:
	global_load_b32 v3, v[4:5], off
	s_mov_b32 s39, 0
	s_wait_loadcnt 0x0
	v_cvt_f32_u32_e32 v3, v3
	s_delay_alu instid0(VALU_DEP_1)
	v_cvt_f16_f32_e32 v6, v3
	s_branch .LBB56_292
.LBB56_290:
	s_mov_b32 s39, -1
                                        ; implicit-def: $vgpr6
	s_branch .LBB56_295
.LBB56_291:
	s_mov_b32 s39, -1
                                        ; implicit-def: $vgpr6
.LBB56_292:
	s_delay_alu instid0(SALU_CYCLE_1)
	s_and_not1_b32 vcc_lo, exec_lo, s39
	s_cbranch_vccnz .LBB56_294
; %bb.293:
	global_load_u16 v3, v[4:5], off
	s_wait_loadcnt 0x0
	v_cvt_f16_u16_e32 v6, v3
.LBB56_294:
	s_mov_b32 s39, 0
.LBB56_295:
	s_delay_alu instid0(SALU_CYCLE_1)
	s_and_not1_b32 vcc_lo, exec_lo, s39
	s_cbranch_vccnz .LBB56_303
; %bb.296:
	global_load_u8 v3, v[4:5], off
	s_mov_b32 s39, 0
	s_mov_b32 s40, exec_lo
	s_wait_loadcnt 0x0
	v_cmpx_lt_i16_e32 0x7f, v3
	s_xor_b32 s40, exec_lo, s40
	s_cbranch_execz .LBB56_317
; %bb.297:
	s_mov_b32 s39, -1
	s_mov_b32 s42, exec_lo
	v_cmpx_eq_u16_e32 0x80, v3
; %bb.298:
	s_xor_b32 s39, exec_lo, -1
; %bb.299:
	s_or_b32 exec_lo, exec_lo, s42
	s_delay_alu instid0(SALU_CYCLE_1)
	s_and_b32 s39, s39, exec_lo
	s_or_saveexec_b32 s40, s40
	v_mov_b32_e32 v6, 0x7e00
	s_xor_b32 exec_lo, exec_lo, s40
	s_cbranch_execnz .LBB56_318
.LBB56_300:
	s_or_b32 exec_lo, exec_lo, s40
	s_and_saveexec_b32 s40, s39
	s_cbranch_execz .LBB56_302
.LBB56_301:
	v_and_b32_e32 v6, 0xffff, v3
	s_delay_alu instid0(VALU_DEP_1) | instskip(SKIP_1) | instid1(VALU_DEP_2)
	v_and_b32_e32 v7, 7, v6
	v_bfe_u32 v10, v6, 3, 4
	v_clz_i32_u32_e32 v8, v7
	s_delay_alu instid0(VALU_DEP_2) | instskip(NEXT) | instid1(VALU_DEP_2)
	v_cmp_eq_u32_e32 vcc_lo, 0, v10
	v_min_u32_e32 v8, 32, v8
	s_delay_alu instid0(VALU_DEP_1) | instskip(NEXT) | instid1(VALU_DEP_1)
	v_subrev_nc_u32_e32 v9, 28, v8
	v_dual_lshlrev_b32 v6, v9, v6 :: v_dual_sub_nc_u32 v8, 29, v8
	s_delay_alu instid0(VALU_DEP_1) | instskip(NEXT) | instid1(VALU_DEP_1)
	v_dual_lshlrev_b32 v3, 24, v3 :: v_dual_bitop2_b32 v6, 7, v6 bitop3:0x40
	v_dual_cndmask_b32 v8, v10, v8, vcc_lo :: v_dual_cndmask_b32 v6, v7, v6, vcc_lo
	s_delay_alu instid0(VALU_DEP_2) | instskip(NEXT) | instid1(VALU_DEP_2)
	v_and_b32_e32 v3, 0x80000000, v3
	v_lshl_add_u32 v7, v8, 23, 0x3b800000
	s_delay_alu instid0(VALU_DEP_3) | instskip(NEXT) | instid1(VALU_DEP_1)
	v_lshlrev_b32_e32 v6, 20, v6
	v_or3_b32 v3, v3, v7, v6
	s_delay_alu instid0(VALU_DEP_1)
	v_cvt_f16_f32_e32 v6, v3
.LBB56_302:
	s_or_b32 exec_lo, exec_lo, s40
.LBB56_303:
	s_mov_b32 s39, -1
.LBB56_304:
	s_mov_b32 s40, 0
.LBB56_305:
	s_delay_alu instid0(SALU_CYCLE_1)
	s_and_b32 vcc_lo, exec_lo, s40
	s_cbranch_vccz .LBB56_340
; %bb.306:
	s_cmp_gt_i32 s38, 22
	s_cbranch_scc0 .LBB56_316
; %bb.307:
	s_cmp_lt_i32 s38, 24
	s_cbranch_scc1 .LBB56_319
; %bb.308:
	s_cmp_gt_i32 s38, 24
	s_cbranch_scc0 .LBB56_320
; %bb.309:
	global_load_u8 v3, v[4:5], off
	s_mov_b32 s39, 0
	s_mov_b32 s40, exec_lo
	s_wait_loadcnt 0x0
	v_cmpx_lt_i16_e32 0x7f, v3
	s_xor_b32 s40, exec_lo, s40
	s_cbranch_execz .LBB56_332
; %bb.310:
	s_mov_b32 s39, -1
	s_mov_b32 s42, exec_lo
	v_cmpx_eq_u16_e32 0x80, v3
; %bb.311:
	s_xor_b32 s39, exec_lo, -1
; %bb.312:
	s_or_b32 exec_lo, exec_lo, s42
	s_delay_alu instid0(SALU_CYCLE_1)
	s_and_b32 s39, s39, exec_lo
	s_or_saveexec_b32 s40, s40
	v_mov_b32_e32 v6, 0x7e00
	s_xor_b32 exec_lo, exec_lo, s40
	s_cbranch_execnz .LBB56_333
.LBB56_313:
	s_or_b32 exec_lo, exec_lo, s40
	s_and_saveexec_b32 s40, s39
	s_cbranch_execz .LBB56_315
.LBB56_314:
	v_and_b32_e32 v6, 0xffff, v3
	s_delay_alu instid0(VALU_DEP_1) | instskip(SKIP_1) | instid1(VALU_DEP_2)
	v_and_b32_e32 v7, 3, v6
	v_bfe_u32 v10, v6, 2, 5
	v_clz_i32_u32_e32 v8, v7
	s_delay_alu instid0(VALU_DEP_2) | instskip(NEXT) | instid1(VALU_DEP_2)
	v_cmp_eq_u32_e32 vcc_lo, 0, v10
	v_min_u32_e32 v8, 32, v8
	s_delay_alu instid0(VALU_DEP_1) | instskip(NEXT) | instid1(VALU_DEP_1)
	v_subrev_nc_u32_e32 v9, 29, v8
	v_dual_lshlrev_b32 v6, v9, v6 :: v_dual_sub_nc_u32 v8, 30, v8
	s_delay_alu instid0(VALU_DEP_1) | instskip(NEXT) | instid1(VALU_DEP_1)
	v_dual_lshlrev_b32 v3, 24, v3 :: v_dual_bitop2_b32 v6, 3, v6 bitop3:0x40
	v_dual_cndmask_b32 v8, v10, v8, vcc_lo :: v_dual_cndmask_b32 v6, v7, v6, vcc_lo
	s_delay_alu instid0(VALU_DEP_2) | instskip(NEXT) | instid1(VALU_DEP_2)
	v_and_b32_e32 v3, 0x80000000, v3
	v_lshl_add_u32 v7, v8, 23, 0x37800000
	s_delay_alu instid0(VALU_DEP_3) | instskip(NEXT) | instid1(VALU_DEP_1)
	v_lshlrev_b32_e32 v6, 21, v6
	v_or3_b32 v3, v3, v7, v6
	s_delay_alu instid0(VALU_DEP_1)
	v_cvt_f16_f32_e32 v6, v3
.LBB56_315:
	s_or_b32 exec_lo, exec_lo, s40
	s_mov_b32 s39, 0
	s_branch .LBB56_321
.LBB56_316:
	s_mov_b32 s40, -1
                                        ; implicit-def: $vgpr6
	s_branch .LBB56_327
.LBB56_317:
	s_or_saveexec_b32 s40, s40
	v_mov_b32_e32 v6, 0x7e00
	s_xor_b32 exec_lo, exec_lo, s40
	s_cbranch_execz .LBB56_300
.LBB56_318:
	v_cmp_ne_u16_e32 vcc_lo, 0, v3
	v_mov_b32_e32 v6, v3
	s_and_not1_b32 s39, s39, exec_lo
	s_and_b32 s42, vcc_lo, exec_lo
	s_delay_alu instid0(SALU_CYCLE_1)
	s_or_b32 s39, s39, s42
	s_or_b32 exec_lo, exec_lo, s40
	s_and_saveexec_b32 s40, s39
	s_cbranch_execnz .LBB56_301
	s_branch .LBB56_302
.LBB56_319:
	s_mov_b32 s39, -1
                                        ; implicit-def: $vgpr6
	s_branch .LBB56_324
.LBB56_320:
	s_mov_b32 s39, -1
                                        ; implicit-def: $vgpr6
.LBB56_321:
	s_delay_alu instid0(SALU_CYCLE_1)
	s_and_b32 vcc_lo, exec_lo, s39
	s_cbranch_vccz .LBB56_323
; %bb.322:
	global_load_u8 v3, v[4:5], off
	s_wait_loadcnt 0x0
	v_lshlrev_b32_e32 v3, 24, v3
	s_delay_alu instid0(VALU_DEP_1) | instskip(NEXT) | instid1(VALU_DEP_1)
	v_and_b32_e32 v6, 0x7f000000, v3
	v_clz_i32_u32_e32 v7, v6
	v_cmp_ne_u32_e32 vcc_lo, 0, v6
	v_add_nc_u32_e32 v9, 0x1000000, v6
	s_delay_alu instid0(VALU_DEP_3) | instskip(NEXT) | instid1(VALU_DEP_1)
	v_min_u32_e32 v7, 32, v7
	v_sub_nc_u32_e64 v7, v7, 4 clamp
	s_delay_alu instid0(VALU_DEP_1) | instskip(NEXT) | instid1(VALU_DEP_1)
	v_dual_lshlrev_b32 v8, v7, v6 :: v_dual_lshlrev_b32 v7, 23, v7
	v_lshrrev_b32_e32 v8, 4, v8
	s_delay_alu instid0(VALU_DEP_1) | instskip(NEXT) | instid1(VALU_DEP_1)
	v_dual_sub_nc_u32 v7, v8, v7 :: v_dual_ashrrev_i32 v8, 8, v9
	v_add_nc_u32_e32 v7, 0x3c000000, v7
	s_delay_alu instid0(VALU_DEP_1) | instskip(NEXT) | instid1(VALU_DEP_1)
	v_and_or_b32 v7, 0x7f800000, v8, v7
	v_cndmask_b32_e32 v6, 0, v7, vcc_lo
	s_delay_alu instid0(VALU_DEP_1) | instskip(NEXT) | instid1(VALU_DEP_1)
	v_and_or_b32 v3, 0x80000000, v3, v6
	v_cvt_f16_f32_e32 v6, v3
.LBB56_323:
	s_mov_b32 s39, 0
.LBB56_324:
	s_delay_alu instid0(SALU_CYCLE_1)
	s_and_not1_b32 vcc_lo, exec_lo, s39
	s_cbranch_vccnz .LBB56_326
; %bb.325:
	global_load_u8 v3, v[4:5], off
	s_wait_loadcnt 0x0
	v_lshlrev_b32_e32 v6, 25, v3
	v_lshlrev_b16 v3, 8, v3
	s_delay_alu instid0(VALU_DEP_1) | instskip(SKIP_1) | instid1(VALU_DEP_2)
	v_and_or_b32 v8, 0x7f00, v3, 0.5
	v_bfe_i32 v3, v3, 0, 16
	v_dual_add_f32 v8, -0.5, v8 :: v_dual_lshrrev_b32 v7, 4, v6
	v_cmp_gt_u32_e32 vcc_lo, 0x8000000, v6
	s_delay_alu instid0(VALU_DEP_2) | instskip(NEXT) | instid1(VALU_DEP_1)
	v_or_b32_e32 v7, 0x70000000, v7
	v_mul_f32_e32 v7, 0x7800000, v7
	s_delay_alu instid0(VALU_DEP_1) | instskip(NEXT) | instid1(VALU_DEP_1)
	v_cndmask_b32_e32 v6, v7, v8, vcc_lo
	v_and_or_b32 v3, 0x80000000, v3, v6
	s_delay_alu instid0(VALU_DEP_1)
	v_cvt_f16_f32_e32 v6, v3
.LBB56_326:
	s_mov_b32 s40, 0
	s_mov_b32 s39, -1
.LBB56_327:
	s_and_not1_b32 vcc_lo, exec_lo, s40
	s_cbranch_vccnz .LBB56_340
; %bb.328:
	s_cmp_gt_i32 s38, 14
	s_cbranch_scc0 .LBB56_331
; %bb.329:
	s_cmp_eq_u32 s38, 15
	s_cbranch_scc0 .LBB56_334
; %bb.330:
	global_load_u16 v3, v[4:5], off
	s_mov_b32 s39, -1
	s_mov_b32 s25, 0
	s_wait_loadcnt 0x0
	v_lshlrev_b32_e32 v3, 16, v3
	s_delay_alu instid0(VALU_DEP_1)
	v_cvt_f16_f32_e32 v6, v3
	s_branch .LBB56_335
.LBB56_331:
	s_mov_b32 s40, -1
                                        ; implicit-def: $vgpr6
	s_branch .LBB56_336
.LBB56_332:
	s_or_saveexec_b32 s40, s40
	v_mov_b32_e32 v6, 0x7e00
	s_xor_b32 exec_lo, exec_lo, s40
	s_cbranch_execz .LBB56_313
.LBB56_333:
	v_cmp_ne_u16_e32 vcc_lo, 0, v3
	v_mov_b32_e32 v6, v3
	s_and_not1_b32 s39, s39, exec_lo
	s_and_b32 s42, vcc_lo, exec_lo
	s_delay_alu instid0(SALU_CYCLE_1)
	s_or_b32 s39, s39, s42
	s_or_b32 exec_lo, exec_lo, s40
	s_and_saveexec_b32 s40, s39
	s_cbranch_execnz .LBB56_314
	s_branch .LBB56_315
.LBB56_334:
	s_mov_b32 s25, -1
                                        ; implicit-def: $vgpr6
.LBB56_335:
	s_mov_b32 s40, 0
.LBB56_336:
	s_delay_alu instid0(SALU_CYCLE_1)
	s_and_b32 vcc_lo, exec_lo, s40
	s_cbranch_vccz .LBB56_340
; %bb.337:
	s_cmp_eq_u32 s38, 11
	s_cbranch_scc0 .LBB56_339
; %bb.338:
	global_load_u8 v3, v[4:5], off
	s_mov_b32 s25, 0
	s_mov_b32 s39, -1
	s_wait_loadcnt 0x0
	v_cmp_ne_u16_e32 vcc_lo, 0, v3
	v_cndmask_b32_e64 v6, 0, 0x3c00, vcc_lo
	s_branch .LBB56_340
.LBB56_339:
	s_mov_b32 s25, -1
                                        ; implicit-def: $vgpr6
.LBB56_340:
	s_branch .LBB56_31
.LBB56_341:
	s_and_b32 s0, 0xffff, s0
	s_delay_alu instid0(SALU_CYCLE_1)
	s_cmp_lt_i32 s0, 5
	s_cbranch_scc1 .LBB56_346
; %bb.342:
	s_cmp_lt_i32 s0, 8
	s_cbranch_scc1 .LBB56_347
; %bb.343:
	s_cmp_lt_i32 s0, 9
	s_cbranch_scc1 .LBB56_348
; %bb.344:
	s_cmp_gt_i32 s0, 9
	s_cbranch_scc0 .LBB56_349
; %bb.345:
	global_load_b64 v[6:7], v[4:5], off
	s_mov_b32 s38, 0
	s_wait_loadcnt 0x0
	v_and_or_b32 v3, 0x1ff, v7, v6
	v_lshrrev_b32_e32 v6, 8, v7
	v_bfe_u32 v8, v7, 20, 11
	s_delay_alu instid0(VALU_DEP_3) | instskip(NEXT) | instid1(VALU_DEP_2)
	v_cmp_ne_u32_e32 vcc_lo, 0, v3
	v_sub_nc_u32_e32 v9, 0x3f1, v8
	v_add_nc_u32_e32 v8, 0xfffffc10, v8
	v_cndmask_b32_e64 v3, 0, 1, vcc_lo
	s_delay_alu instid0(VALU_DEP_1) | instskip(NEXT) | instid1(VALU_DEP_4)
	v_and_or_b32 v3, 0xffe, v6, v3
	v_med3_i32 v6, v9, 0, 13
	s_delay_alu instid0(VALU_DEP_2) | instskip(NEXT) | instid1(VALU_DEP_1)
	v_or_b32_e32 v9, 0x1000, v3
	v_lshrrev_b32_e32 v10, v6, v9
	s_delay_alu instid0(VALU_DEP_1) | instskip(NEXT) | instid1(VALU_DEP_1)
	v_lshlrev_b32_e32 v6, v6, v10
	v_cmp_ne_u32_e32 vcc_lo, v6, v9
	v_lshl_or_b32 v9, v8, 12, v3
	v_cndmask_b32_e64 v6, 0, 1, vcc_lo
	v_cmp_gt_i32_e32 vcc_lo, 1, v8
	s_delay_alu instid0(VALU_DEP_2) | instskip(NEXT) | instid1(VALU_DEP_1)
	v_or_b32_e32 v6, v10, v6
	v_cndmask_b32_e32 v6, v9, v6, vcc_lo
	s_delay_alu instid0(VALU_DEP_1) | instskip(NEXT) | instid1(VALU_DEP_1)
	v_dual_lshrrev_b32 v6, 2, v6 :: v_dual_bitop2_b32 v9, 7, v6 bitop3:0x40
	v_cmp_lt_i32_e32 vcc_lo, 5, v9
	v_cndmask_b32_e64 v10, 0, 1, vcc_lo
	v_cmp_eq_u32_e32 vcc_lo, 3, v9
	v_cndmask_b32_e64 v9, 0, 1, vcc_lo
	v_cmp_ne_u32_e32 vcc_lo, 0, v3
	s_delay_alu instid0(VALU_DEP_2) | instskip(SKIP_1) | instid1(VALU_DEP_1)
	v_or_b32_e32 v9, v9, v10
	v_mov_b32_e32 v10, 0x7e00
	v_dual_cndmask_b32 v3, 0x7c00, v10 :: v_dual_add_nc_u32 v6, v6, v9
	v_cmp_gt_i32_e32 vcc_lo, 31, v8
	s_delay_alu instid0(VALU_DEP_2) | instskip(SKIP_1) | instid1(VALU_DEP_2)
	v_cndmask_b32_e32 v6, 0x7c00, v6, vcc_lo
	v_cmp_eq_u32_e32 vcc_lo, 0x40f, v8
	v_cndmask_b32_e32 v3, v6, v3, vcc_lo
	v_lshrrev_b32_e32 v6, 16, v7
	s_delay_alu instid0(VALU_DEP_1)
	v_and_or_b32 v6, 0x8000, v6, v3
	s_branch .LBB56_350
.LBB56_346:
	s_mov_b32 s38, -1
                                        ; implicit-def: $vgpr6
	s_branch .LBB56_368
.LBB56_347:
	s_mov_b32 s38, -1
                                        ; implicit-def: $vgpr6
	s_branch .LBB56_356
.LBB56_348:
	s_mov_b32 s38, -1
                                        ; implicit-def: $vgpr6
	s_branch .LBB56_353
.LBB56_349:
	s_mov_b32 s38, -1
                                        ; implicit-def: $vgpr6
.LBB56_350:
	s_delay_alu instid0(SALU_CYCLE_1)
	s_and_not1_b32 vcc_lo, exec_lo, s38
	s_cbranch_vccnz .LBB56_352
; %bb.351:
	global_load_b32 v3, v[4:5], off
	s_wait_loadcnt 0x0
	v_cvt_f16_f32_e32 v6, v3
.LBB56_352:
	s_mov_b32 s38, 0
.LBB56_353:
	s_delay_alu instid0(SALU_CYCLE_1)
	s_and_not1_b32 vcc_lo, exec_lo, s38
	s_cbranch_vccnz .LBB56_355
; %bb.354:
	global_load_b32 v6, v[4:5], off
.LBB56_355:
	s_mov_b32 s38, 0
.LBB56_356:
	s_delay_alu instid0(SALU_CYCLE_1)
	s_and_not1_b32 vcc_lo, exec_lo, s38
	s_cbranch_vccnz .LBB56_367
; %bb.357:
	s_cmp_lt_i32 s0, 6
	s_cbranch_scc1 .LBB56_360
; %bb.358:
	s_cmp_gt_i32 s0, 6
	s_cbranch_scc0 .LBB56_361
; %bb.359:
	s_wait_loadcnt 0x0
	global_load_b64 v[6:7], v[4:5], off
	s_mov_b32 s38, 0
	s_wait_loadcnt 0x0
	v_and_or_b32 v3, 0x1ff, v7, v6
	v_lshrrev_b32_e32 v6, 8, v7
	v_bfe_u32 v8, v7, 20, 11
	s_delay_alu instid0(VALU_DEP_3) | instskip(NEXT) | instid1(VALU_DEP_2)
	v_cmp_ne_u32_e32 vcc_lo, 0, v3
	v_sub_nc_u32_e32 v9, 0x3f1, v8
	v_add_nc_u32_e32 v8, 0xfffffc10, v8
	v_cndmask_b32_e64 v3, 0, 1, vcc_lo
	s_delay_alu instid0(VALU_DEP_1) | instskip(NEXT) | instid1(VALU_DEP_4)
	v_and_or_b32 v3, 0xffe, v6, v3
	v_med3_i32 v6, v9, 0, 13
	s_delay_alu instid0(VALU_DEP_2) | instskip(NEXT) | instid1(VALU_DEP_1)
	v_or_b32_e32 v9, 0x1000, v3
	v_lshrrev_b32_e32 v10, v6, v9
	s_delay_alu instid0(VALU_DEP_1) | instskip(NEXT) | instid1(VALU_DEP_1)
	v_lshlrev_b32_e32 v6, v6, v10
	v_cmp_ne_u32_e32 vcc_lo, v6, v9
	v_lshl_or_b32 v9, v8, 12, v3
	v_cndmask_b32_e64 v6, 0, 1, vcc_lo
	v_cmp_gt_i32_e32 vcc_lo, 1, v8
	s_delay_alu instid0(VALU_DEP_2) | instskip(NEXT) | instid1(VALU_DEP_1)
	v_or_b32_e32 v6, v10, v6
	v_cndmask_b32_e32 v6, v9, v6, vcc_lo
	s_delay_alu instid0(VALU_DEP_1) | instskip(NEXT) | instid1(VALU_DEP_1)
	v_dual_lshrrev_b32 v6, 2, v6 :: v_dual_bitop2_b32 v9, 7, v6 bitop3:0x40
	v_cmp_lt_i32_e32 vcc_lo, 5, v9
	v_cndmask_b32_e64 v10, 0, 1, vcc_lo
	v_cmp_eq_u32_e32 vcc_lo, 3, v9
	v_cndmask_b32_e64 v9, 0, 1, vcc_lo
	v_cmp_ne_u32_e32 vcc_lo, 0, v3
	s_delay_alu instid0(VALU_DEP_2) | instskip(SKIP_1) | instid1(VALU_DEP_1)
	v_or_b32_e32 v9, v9, v10
	v_mov_b32_e32 v10, 0x7e00
	v_dual_cndmask_b32 v3, 0x7c00, v10 :: v_dual_add_nc_u32 v6, v6, v9
	v_cmp_gt_i32_e32 vcc_lo, 31, v8
	s_delay_alu instid0(VALU_DEP_2) | instskip(SKIP_1) | instid1(VALU_DEP_2)
	v_cndmask_b32_e32 v6, 0x7c00, v6, vcc_lo
	v_cmp_eq_u32_e32 vcc_lo, 0x40f, v8
	v_cndmask_b32_e32 v3, v6, v3, vcc_lo
	v_lshrrev_b32_e32 v6, 16, v7
	s_delay_alu instid0(VALU_DEP_1)
	v_and_or_b32 v6, 0x8000, v6, v3
	s_branch .LBB56_362
.LBB56_360:
	s_mov_b32 s38, -1
                                        ; implicit-def: $vgpr6
	s_branch .LBB56_365
.LBB56_361:
	s_mov_b32 s38, -1
                                        ; implicit-def: $vgpr6
.LBB56_362:
	s_delay_alu instid0(SALU_CYCLE_1)
	s_and_not1_b32 vcc_lo, exec_lo, s38
	s_cbranch_vccnz .LBB56_364
; %bb.363:
	global_load_b32 v3, v[4:5], off
	s_wait_loadcnt 0x0
	v_cvt_f16_f32_e32 v6, v3
.LBB56_364:
	s_mov_b32 s38, 0
.LBB56_365:
	s_delay_alu instid0(SALU_CYCLE_1)
	s_and_not1_b32 vcc_lo, exec_lo, s38
	s_cbranch_vccnz .LBB56_367
; %bb.366:
	s_wait_loadcnt 0x0
	global_load_u16 v6, v[4:5], off
.LBB56_367:
	s_mov_b32 s38, 0
.LBB56_368:
	s_delay_alu instid0(SALU_CYCLE_1)
	s_and_not1_b32 vcc_lo, exec_lo, s38
	s_cbranch_vccnz .LBB56_388
; %bb.369:
	s_cmp_lt_i32 s0, 2
	s_cbranch_scc1 .LBB56_373
; %bb.370:
	s_cmp_lt_i32 s0, 3
	s_cbranch_scc1 .LBB56_374
; %bb.371:
	s_cmp_gt_i32 s0, 3
	s_cbranch_scc0 .LBB56_375
; %bb.372:
	s_wait_loadcnt 0x0
	global_load_b64 v[6:7], v[4:5], off
	s_mov_b32 s38, 0
	s_wait_loadcnt 0x0
	v_xor_b32_e32 v3, v6, v7
	v_cls_i32_e32 v8, v7
	s_delay_alu instid0(VALU_DEP_2) | instskip(NEXT) | instid1(VALU_DEP_1)
	v_ashrrev_i32_e32 v3, 31, v3
	v_add_nc_u32_e32 v3, 32, v3
	s_delay_alu instid0(VALU_DEP_1) | instskip(NEXT) | instid1(VALU_DEP_1)
	v_add_min_u32_e64 v3, v8, -1, v3
	v_lshlrev_b64_e32 v[6:7], v3, v[6:7]
	v_sub_nc_u32_e32 v3, 32, v3
	s_delay_alu instid0(VALU_DEP_2) | instskip(NEXT) | instid1(VALU_DEP_1)
	v_min_u32_e32 v6, 1, v6
	v_or_b32_e32 v6, v7, v6
	s_delay_alu instid0(VALU_DEP_1) | instskip(NEXT) | instid1(VALU_DEP_1)
	v_cvt_f32_i32_e32 v6, v6
	v_ldexp_f32 v3, v6, v3
	s_delay_alu instid0(VALU_DEP_1)
	v_cvt_f16_f32_e32 v6, v3
	s_branch .LBB56_376
.LBB56_373:
	s_mov_b32 s38, -1
                                        ; implicit-def: $vgpr6
	s_branch .LBB56_382
.LBB56_374:
	s_mov_b32 s38, -1
                                        ; implicit-def: $vgpr6
	s_branch .LBB56_379
.LBB56_375:
	s_mov_b32 s38, -1
                                        ; implicit-def: $vgpr6
.LBB56_376:
	s_delay_alu instid0(SALU_CYCLE_1)
	s_and_not1_b32 vcc_lo, exec_lo, s38
	s_cbranch_vccnz .LBB56_378
; %bb.377:
	global_load_b32 v3, v[4:5], off
	s_wait_loadcnt 0x0
	v_cvt_f32_i32_e32 v3, v3
	s_delay_alu instid0(VALU_DEP_1)
	v_cvt_f16_f32_e32 v6, v3
.LBB56_378:
	s_mov_b32 s38, 0
.LBB56_379:
	s_delay_alu instid0(SALU_CYCLE_1)
	s_and_not1_b32 vcc_lo, exec_lo, s38
	s_cbranch_vccnz .LBB56_381
; %bb.380:
	global_load_u16 v3, v[4:5], off
	s_wait_loadcnt 0x0
	v_cvt_f16_i16_e32 v6, v3
.LBB56_381:
	s_mov_b32 s38, 0
.LBB56_382:
	s_delay_alu instid0(SALU_CYCLE_1)
	s_and_not1_b32 vcc_lo, exec_lo, s38
	s_cbranch_vccnz .LBB56_388
; %bb.383:
	s_cmp_gt_i32 s0, 0
	s_mov_b32 s0, 0
	s_cbranch_scc0 .LBB56_385
; %bb.384:
	global_load_i8 v3, v[4:5], off
	s_wait_loadcnt 0x0
	v_cvt_f16_i16_e32 v6, v3
	s_branch .LBB56_386
.LBB56_385:
	s_mov_b32 s0, -1
                                        ; implicit-def: $vgpr6
.LBB56_386:
	s_delay_alu instid0(SALU_CYCLE_1)
	s_and_not1_b32 vcc_lo, exec_lo, s0
	s_cbranch_vccnz .LBB56_388
; %bb.387:
	global_load_u8 v3, v[4:5], off
	s_wait_loadcnt 0x0
	v_cvt_f16_u16_e32 v6, v3
.LBB56_388:
	s_branch .LBB56_32
.LBB56_389:
	s_mov_b32 s0, 0
.LBB56_390:
	s_mov_b32 s42, 0
                                        ; implicit-def: $vgpr0
.LBB56_391:
	s_and_b32 s38, s0, exec_lo
	s_and_b32 s39, s25, exec_lo
	;; [unrolled: 1-line block ×3, first 2 shown]
	s_or_not1_b32 s25, s42, exec_lo
.LBB56_392:
	s_wait_xcnt 0x0
	s_or_b32 exec_lo, exec_lo, s41
	s_mov_b32 s43, 0
	s_mov_b32 s24, 0
                                        ; implicit-def: $sgpr0
                                        ; implicit-def: $vgpr6_vgpr7
                                        ; implicit-def: $vgpr4
                                        ; implicit-def: $vgpr2
                                        ; implicit-def: $vgpr8
	s_and_saveexec_b32 s41, s25
	s_cbranch_execz .LBB56_400
; %bb.393:
	s_mov_b32 s47, -1
	s_mov_b32 s42, s40
	s_mov_b32 s44, s39
	;; [unrolled: 1-line block ×3, first 2 shown]
	s_mov_b32 s45, exec_lo
	v_cmpx_gt_i32_e64 s36, v0
	s_cbranch_execz .LBB56_720
; %bb.394:
	s_and_not1_b32 vcc_lo, exec_lo, s29
	s_cbranch_vccnz .LBB56_403
; %bb.395:
	s_and_not1_b32 vcc_lo, exec_lo, s37
	s_cbranch_vccnz .LBB56_404
; %bb.396:
	s_wait_loadcnt 0x0
	v_dual_mov_b32 v2, 0 :: v_dual_mov_b32 v1, v0
	v_dual_mov_b32 v6, 0 :: v_dual_mov_b32 v4, 0
	s_add_co_i32 s0, s35, 1
	s_mov_b64 s[24:25], 0xffffffffffffffe8
	s_and_b32 s0, s0, 30
	s_add_nc_u64 s[24:25], s[2:3], s[24:25]
.LBB56_397:                             ; =>This Inner Loop Header: Depth=1
	s_clause 0x3
	s_load_b128 s[48:51], s[24:25], 0x1c
	s_load_b64 s[42:43], s[24:25], 0x2c
	s_load_b128 s[52:55], s[24:25], 0xdc
	s_load_b64 s[46:47], s[24:25], 0xec
	s_add_co_i32 s0, s0, -2
	s_wait_xcnt 0x0
	s_add_nc_u64 s[24:25], s[24:25], 24
	s_cmp_eq_u32 s0, 0
	s_wait_kmcnt 0x0
	v_mul_hi_u32 v3, s49, v1
	s_delay_alu instid0(VALU_DEP_1) | instskip(NEXT) | instid1(VALU_DEP_1)
	v_add_nc_u32_e32 v3, v1, v3
	v_lshrrev_b32_e32 v3, s50, v3
	s_delay_alu instid0(VALU_DEP_1) | instskip(SKIP_1) | instid1(VALU_DEP_1)
	v_mul_hi_u32 v5, s42, v3
	v_mul_lo_u32 v7, v3, s48
	v_dual_add_nc_u32 v5, v3, v5 :: v_dual_sub_nc_u32 v7, v1, v7
	s_delay_alu instid0(VALU_DEP_1) | instskip(NEXT) | instid1(VALU_DEP_2)
	v_lshrrev_b32_e32 v1, s43, v5
	v_mad_u32 v2, v7, s52, v2
	v_mad_u32 v4, v7, s54, v4
	;; [unrolled: 1-line block ×3, first 2 shown]
	s_delay_alu instid0(VALU_DEP_4) | instskip(NEXT) | instid1(VALU_DEP_1)
	v_mul_lo_u32 v5, v1, s51
	v_sub_nc_u32_e32 v3, v3, v5
	s_delay_alu instid0(VALU_DEP_1)
	v_mad_u32 v2, v3, s55, v2
	v_mad_u32 v4, v3, s47, v4
	;; [unrolled: 1-line block ×3, first 2 shown]
	s_cbranch_scc0 .LBB56_397
; %bb.398:
	s_bitcmp1_b32 s35, 0
	s_cselect_b32 s0, -1, 0
	s_delay_alu instid0(SALU_CYCLE_1)
	s_and_b32 vcc_lo, exec_lo, s0
	s_cbranch_vccnz .LBB56_405
; %bb.399:
	s_clause 0x1
	s_load_b96 s[48:50], s[24:25], 0x1c
	s_load_b96 s[52:54], s[24:25], 0xdc
	s_wait_kmcnt 0x0
	v_mul_hi_u32 v3, s49, v1
	s_delay_alu instid0(VALU_DEP_1) | instskip(NEXT) | instid1(VALU_DEP_1)
	v_add_nc_u32_e32 v3, v1, v3
	v_lshrrev_b32_e32 v3, s50, v3
	s_delay_alu instid0(VALU_DEP_1) | instskip(NEXT) | instid1(VALU_DEP_1)
	v_mul_lo_u32 v3, v3, s48
	v_sub_nc_u32_e32 v1, v1, v3
	s_delay_alu instid0(VALU_DEP_1)
	v_mad_u32 v2, v1, s52, v2
	v_mad_u32 v6, v1, s53, v6
	;; [unrolled: 1-line block ×3, first 2 shown]
	s_branch .LBB56_405
.LBB56_400:
	s_or_b32 exec_lo, exec_lo, s41
	s_mov_b32 s1, 0
	s_and_saveexec_b32 s6, s40
	s_cbranch_execnz .LBB56_1294
.LBB56_401:
	s_or_b32 exec_lo, exec_lo, s6
	s_and_saveexec_b32 s6, s19
	s_delay_alu instid0(SALU_CYCLE_1)
	s_xor_b32 s6, exec_lo, s6
	s_cbranch_execz .LBB56_1295
.LBB56_402:
	s_wait_loadcnt 0x0
	global_load_u8 v0, v[6:7], off
	s_or_b32 s24, s24, exec_lo
	s_wait_loadcnt 0x0
	v_cmp_ne_u16_e32 vcc_lo, 0, v0
	v_cndmask_b32_e64 v8, 0, 0x3c00, vcc_lo
	s_wait_xcnt 0x0
	s_or_b32 exec_lo, exec_lo, s6
	s_and_saveexec_b32 s6, s43
	s_cbranch_execz .LBB56_1341
	s_branch .LBB56_1296
.LBB56_403:
                                        ; implicit-def: $vgpr4
                                        ; implicit-def: $vgpr6
                                        ; implicit-def: $vgpr2
	s_branch .LBB56_406
.LBB56_404:
	s_wait_loadcnt 0x0
	v_dual_mov_b32 v4, 0 :: v_dual_mov_b32 v6, 0
	v_mov_b32_e32 v2, 0
.LBB56_405:
	s_cbranch_execnz .LBB56_408
.LBB56_406:
	s_wait_loadcnt 0x0
	v_mov_b32_e32 v1, 0
	s_and_not1_b32 vcc_lo, exec_lo, s34
	s_delay_alu instid0(VALU_DEP_1) | instskip(NEXT) | instid1(VALU_DEP_1)
	v_mul_u64_e32 v[2:3], s[18:19], v[0:1]
	v_add_nc_u32_e32 v2, v0, v3
	s_delay_alu instid0(VALU_DEP_1) | instskip(NEXT) | instid1(VALU_DEP_1)
	v_lshrrev_b32_e32 v8, s10, v2
	v_mul_lo_u32 v2, v8, s8
	s_delay_alu instid0(VALU_DEP_1) | instskip(NEXT) | instid1(VALU_DEP_1)
	v_sub_nc_u32_e32 v3, v0, v2
	v_mul_lo_u32 v2, v3, s12
	v_mul_lo_u32 v4, v3, s14
	;; [unrolled: 1-line block ×3, first 2 shown]
	s_cbranch_vccnz .LBB56_408
; %bb.407:
	v_mov_b32_e32 v9, v1
	s_delay_alu instid0(VALU_DEP_1) | instskip(NEXT) | instid1(VALU_DEP_1)
	v_mul_u64_e32 v[10:11], s[22:23], v[8:9]
	v_add_nc_u32_e32 v1, v8, v11
	s_delay_alu instid0(VALU_DEP_1) | instskip(NEXT) | instid1(VALU_DEP_1)
	v_lshrrev_b32_e32 v1, s1, v1
	v_mul_lo_u32 v1, v1, s11
	s_delay_alu instid0(VALU_DEP_1) | instskip(NEXT) | instid1(VALU_DEP_1)
	v_sub_nc_u32_e32 v1, v8, v1
	v_mad_u32 v2, v1, s15, v2
	v_mad_u32 v6, v1, s20, v6
	;; [unrolled: 1-line block ×3, first 2 shown]
.LBB56_408:
	v_mov_b32_e32 v7, 0
	s_and_b32 s0, s33, 0xff
	s_delay_alu instid0(SALU_CYCLE_1) | instskip(SKIP_1) | instid1(VALU_DEP_1)
	s_cmp_lt_i32 s0, 11
	s_wait_loadcnt 0x0
	v_add_nc_u64_e32 v[6:7], s[6:7], v[6:7]
	s_cbranch_scc1 .LBB56_415
; %bb.409:
	s_and_b32 s25, 0xffff, s0
	s_delay_alu instid0(SALU_CYCLE_1)
	s_cmp_gt_i32 s25, 25
	s_cbranch_scc0 .LBB56_424
; %bb.410:
	s_cmp_gt_i32 s25, 28
	s_cbranch_scc0 .LBB56_426
; %bb.411:
	s_cmp_gt_i32 s25, 43
	s_cbranch_scc0 .LBB56_428
; %bb.412:
	s_cmp_gt_i32 s25, 45
	s_cbranch_scc0 .LBB56_430
; %bb.413:
	s_cmp_eq_u32 s25, 46
	s_mov_b32 s43, 0
	s_cbranch_scc0 .LBB56_434
; %bb.414:
	global_load_b32 v1, v[6:7], off
	s_mov_b32 s42, -1
	s_mov_b32 s24, 0
	s_wait_loadcnt 0x0
	v_lshlrev_b32_e32 v1, 16, v1
	s_delay_alu instid0(VALU_DEP_1)
	v_cvt_f16_f32_e32 v1, v1
	s_branch .LBB56_436
.LBB56_415:
	s_mov_b32 s42, 0
	s_mov_b32 s24, s40
                                        ; implicit-def: $vgpr1
	s_cbranch_execnz .LBB56_502
.LBB56_416:
	s_and_not1_b32 vcc_lo, exec_lo, s42
	s_cbranch_vccnz .LBB56_550
.LBB56_417:
	v_mov_b32_e32 v5, 0
	s_and_b32 s0, s9, 0xff
	s_delay_alu instid0(SALU_CYCLE_1) | instskip(NEXT) | instid1(VALU_DEP_1)
	s_cmp_lt_i32 s0, 11
	v_add_nc_u64_e32 v[4:5], s[16:17], v[4:5]
	s_cbranch_scc1 .LBB56_425
; %bb.418:
	s_and_b32 s42, 0xffff, s0
	s_delay_alu instid0(SALU_CYCLE_1)
	s_cmp_gt_i32 s42, 25
	s_cbranch_scc0 .LBB56_427
; %bb.419:
	s_cmp_gt_i32 s42, 28
	s_cbranch_scc0 .LBB56_429
; %bb.420:
	;; [unrolled: 3-line block ×4, first 2 shown]
	s_cmp_eq_u32 s42, 46
	s_mov_b32 s44, 0
	s_cbranch_scc0 .LBB56_553
; %bb.423:
	global_load_b32 v3, v[4:5], off
	s_mov_b32 s43, -1
	s_mov_b32 s25, 0
	s_wait_loadcnt 0x0
	v_lshlrev_b32_e32 v3, 16, v3
	s_wait_xcnt 0x1
	s_delay_alu instid0(VALU_DEP_1)
	v_cvt_f16_f32_e32 v6, v3
	s_branch .LBB56_555
.LBB56_424:
	s_mov_b32 s43, -1
	s_mov_b32 s42, 0
	s_mov_b32 s24, s40
                                        ; implicit-def: $vgpr1
	s_branch .LBB56_466
.LBB56_425:
	s_mov_b32 s42, -1
	s_mov_b32 s43, 0
	s_mov_b32 s25, s39
                                        ; implicit-def: $vgpr6
	s_branch .LBB56_620
.LBB56_426:
	s_mov_b32 s43, -1
	s_mov_b32 s42, 0
	s_mov_b32 s24, s40
                                        ; implicit-def: $vgpr1
	s_branch .LBB56_447
.LBB56_427:
	s_mov_b32 s44, -1
	s_mov_b32 s43, 0
	s_mov_b32 s25, s39
                                        ; implicit-def: $vgpr6
	s_branch .LBB56_584
.LBB56_428:
	s_mov_b32 s43, -1
	s_mov_b32 s42, 0
	s_mov_b32 s24, s40
                                        ; implicit-def: $vgpr1
	s_branch .LBB56_442
.LBB56_429:
	s_mov_b32 s44, -1
	s_mov_b32 s43, 0
	s_mov_b32 s25, s39
                                        ; implicit-def: $vgpr6
	s_branch .LBB56_565
.LBB56_430:
	s_mov_b32 s43, -1
	s_mov_b32 s42, 0
	s_mov_b32 s24, s40
	s_branch .LBB56_435
.LBB56_431:
	s_mov_b32 s44, -1
	s_mov_b32 s43, 0
	s_mov_b32 s25, s39
                                        ; implicit-def: $vgpr6
	s_branch .LBB56_560
.LBB56_432:
	s_and_not1_saveexec_b32 s43, s43
	s_cbranch_execz .LBB56_229
.LBB56_433:
	v_add_f32_e64 v5, 0x46000000, |v4|
	s_and_not1_b32 s42, s42, exec_lo
	s_delay_alu instid0(VALU_DEP_1) | instskip(NEXT) | instid1(VALU_DEP_1)
	v_and_b32_e32 v5, 0xff, v5
	v_cmp_ne_u32_e32 vcc_lo, 0, v5
	s_and_b32 s44, vcc_lo, exec_lo
	s_delay_alu instid0(SALU_CYCLE_1)
	s_or_b32 s42, s42, s44
	s_or_b32 exec_lo, exec_lo, s43
	v_mov_b32_e32 v6, 0
	s_and_saveexec_b32 s43, s42
	s_cbranch_execnz .LBB56_230
	s_branch .LBB56_231
.LBB56_434:
	s_mov_b32 s24, -1
	s_mov_b32 s42, 0
.LBB56_435:
                                        ; implicit-def: $vgpr1
.LBB56_436:
	s_and_b32 vcc_lo, exec_lo, s43
	s_cbranch_vccz .LBB56_441
; %bb.437:
	s_cmp_eq_u32 s25, 44
	s_cbranch_scc0 .LBB56_440
; %bb.438:
	global_load_u8 v1, v[6:7], off
	s_mov_b32 s24, 0
	s_mov_b32 s42, -1
	s_wait_loadcnt 0x0
	v_lshlrev_b32_e32 v3, 23, v1
	v_cmp_ne_u32_e32 vcc_lo, 0xff, v1
	s_delay_alu instid0(VALU_DEP_2) | instskip(NEXT) | instid1(VALU_DEP_1)
	v_cvt_f16_f32_e32 v3, v3
	v_cndmask_b32_e32 v3, 0x7e00, v3, vcc_lo
	v_cmp_ne_u32_e32 vcc_lo, 0, v1
	s_delay_alu instid0(VALU_DEP_2)
	v_cndmask_b32_e32 v1, 0, v3, vcc_lo
	s_branch .LBB56_441
.LBB56_439:
	s_mov_b32 s44, -1
	s_mov_b32 s43, 0
	s_mov_b32 s25, s39
	s_branch .LBB56_554
.LBB56_440:
	s_mov_b32 s24, -1
                                        ; implicit-def: $vgpr1
.LBB56_441:
	s_mov_b32 s43, 0
.LBB56_442:
	s_delay_alu instid0(SALU_CYCLE_1)
	s_and_b32 vcc_lo, exec_lo, s43
	s_cbranch_vccz .LBB56_446
; %bb.443:
	s_cmp_eq_u32 s25, 29
	s_cbranch_scc0 .LBB56_445
; %bb.444:
	global_load_b64 v[8:9], v[6:7], off
	s_mov_b32 s42, -1
	s_mov_b32 s24, 0
	s_mov_b32 s43, 0
	s_wait_loadcnt 0x0
	v_clz_i32_u32_e32 v1, v9
	s_delay_alu instid0(VALU_DEP_1) | instskip(NEXT) | instid1(VALU_DEP_1)
	v_min_u32_e32 v1, 32, v1
	v_lshlrev_b64_e32 v[8:9], v1, v[8:9]
	v_sub_nc_u32_e32 v1, 32, v1
	s_delay_alu instid0(VALU_DEP_2) | instskip(NEXT) | instid1(VALU_DEP_1)
	v_min_u32_e32 v3, 1, v8
	v_or_b32_e32 v3, v9, v3
	s_delay_alu instid0(VALU_DEP_1) | instskip(NEXT) | instid1(VALU_DEP_1)
	v_cvt_f32_u32_e32 v3, v3
	v_ldexp_f32 v1, v3, v1
	s_delay_alu instid0(VALU_DEP_1)
	v_cvt_f16_f32_e32 v1, v1
	s_branch .LBB56_447
.LBB56_445:
	s_mov_b32 s24, -1
                                        ; implicit-def: $vgpr1
.LBB56_446:
	s_mov_b32 s43, 0
.LBB56_447:
	s_delay_alu instid0(SALU_CYCLE_1)
	s_and_b32 vcc_lo, exec_lo, s43
	s_cbranch_vccz .LBB56_465
; %bb.448:
	s_cmp_lt_i32 s25, 27
	s_cbranch_scc1 .LBB56_451
; %bb.449:
	s_cmp_gt_i32 s25, 27
	s_cbranch_scc0 .LBB56_452
; %bb.450:
	global_load_b32 v1, v[6:7], off
	s_mov_b32 s42, 0
	s_wait_loadcnt 0x0
	v_cvt_f32_u32_e32 v1, v1
	s_delay_alu instid0(VALU_DEP_1)
	v_cvt_f16_f32_e32 v1, v1
	s_branch .LBB56_453
.LBB56_451:
	s_mov_b32 s42, -1
                                        ; implicit-def: $vgpr1
	s_branch .LBB56_456
.LBB56_452:
	s_mov_b32 s42, -1
                                        ; implicit-def: $vgpr1
.LBB56_453:
	s_delay_alu instid0(SALU_CYCLE_1)
	s_and_not1_b32 vcc_lo, exec_lo, s42
	s_cbranch_vccnz .LBB56_455
; %bb.454:
	global_load_u16 v1, v[6:7], off
	s_wait_loadcnt 0x0
	v_cvt_f16_u16_e32 v1, v1
.LBB56_455:
	s_mov_b32 s42, 0
.LBB56_456:
	s_delay_alu instid0(SALU_CYCLE_1)
	s_and_not1_b32 vcc_lo, exec_lo, s42
	s_cbranch_vccnz .LBB56_464
; %bb.457:
	global_load_u8 v3, v[6:7], off
	s_mov_b32 s42, 0
	s_mov_b32 s43, exec_lo
	s_wait_loadcnt 0x0
	v_cmpx_lt_i16_e32 0x7f, v3
	s_xor_b32 s43, exec_lo, s43
	s_cbranch_execz .LBB56_478
; %bb.458:
	s_mov_b32 s42, -1
	s_mov_b32 s44, exec_lo
	v_cmpx_eq_u16_e32 0x80, v3
; %bb.459:
	s_xor_b32 s42, exec_lo, -1
; %bb.460:
	s_or_b32 exec_lo, exec_lo, s44
	s_delay_alu instid0(SALU_CYCLE_1)
	s_and_b32 s42, s42, exec_lo
	s_or_saveexec_b32 s43, s43
	v_mov_b32_e32 v1, 0x7e00
	s_xor_b32 exec_lo, exec_lo, s43
	s_cbranch_execnz .LBB56_479
.LBB56_461:
	s_or_b32 exec_lo, exec_lo, s43
	s_and_saveexec_b32 s43, s42
	s_cbranch_execz .LBB56_463
.LBB56_462:
	v_and_b32_e32 v1, 0xffff, v3
	s_delay_alu instid0(VALU_DEP_1) | instskip(SKIP_1) | instid1(VALU_DEP_2)
	v_and_b32_e32 v5, 7, v1
	v_bfe_u32 v10, v1, 3, 4
	v_clz_i32_u32_e32 v8, v5
	s_delay_alu instid0(VALU_DEP_2) | instskip(NEXT) | instid1(VALU_DEP_2)
	v_cmp_eq_u32_e32 vcc_lo, 0, v10
	v_min_u32_e32 v8, 32, v8
	s_delay_alu instid0(VALU_DEP_1) | instskip(NEXT) | instid1(VALU_DEP_1)
	v_subrev_nc_u32_e32 v9, 28, v8
	v_dual_lshlrev_b32 v1, v9, v1 :: v_dual_sub_nc_u32 v8, 29, v8
	s_delay_alu instid0(VALU_DEP_1) | instskip(NEXT) | instid1(VALU_DEP_1)
	v_dual_lshlrev_b32 v3, 24, v3 :: v_dual_bitop2_b32 v1, 7, v1 bitop3:0x40
	v_dual_cndmask_b32 v8, v10, v8 :: v_dual_cndmask_b32 v1, v5, v1
	s_delay_alu instid0(VALU_DEP_2) | instskip(NEXT) | instid1(VALU_DEP_2)
	v_and_b32_e32 v3, 0x80000000, v3
	v_lshl_add_u32 v5, v8, 23, 0x3b800000
	s_delay_alu instid0(VALU_DEP_3) | instskip(NEXT) | instid1(VALU_DEP_1)
	v_lshlrev_b32_e32 v1, 20, v1
	v_or3_b32 v1, v3, v5, v1
	s_delay_alu instid0(VALU_DEP_1)
	v_cvt_f16_f32_e32 v1, v1
.LBB56_463:
	s_or_b32 exec_lo, exec_lo, s43
.LBB56_464:
	s_mov_b32 s42, -1
.LBB56_465:
	s_mov_b32 s43, 0
.LBB56_466:
	s_delay_alu instid0(SALU_CYCLE_1)
	s_and_b32 vcc_lo, exec_lo, s43
	s_cbranch_vccz .LBB56_501
; %bb.467:
	s_cmp_gt_i32 s25, 22
	s_cbranch_scc0 .LBB56_477
; %bb.468:
	s_cmp_lt_i32 s25, 24
	s_cbranch_scc1 .LBB56_480
; %bb.469:
	s_cmp_gt_i32 s25, 24
	s_cbranch_scc0 .LBB56_481
; %bb.470:
	global_load_u8 v3, v[6:7], off
	s_mov_b32 s42, 0
	s_mov_b32 s43, exec_lo
	s_wait_loadcnt 0x0
	v_cmpx_lt_i16_e32 0x7f, v3
	s_xor_b32 s43, exec_lo, s43
	s_cbranch_execz .LBB56_493
; %bb.471:
	s_mov_b32 s42, -1
	s_mov_b32 s44, exec_lo
	v_cmpx_eq_u16_e32 0x80, v3
; %bb.472:
	s_xor_b32 s42, exec_lo, -1
; %bb.473:
	s_or_b32 exec_lo, exec_lo, s44
	s_delay_alu instid0(SALU_CYCLE_1)
	s_and_b32 s42, s42, exec_lo
	s_or_saveexec_b32 s43, s43
	v_mov_b32_e32 v1, 0x7e00
	s_xor_b32 exec_lo, exec_lo, s43
	s_cbranch_execnz .LBB56_494
.LBB56_474:
	s_or_b32 exec_lo, exec_lo, s43
	s_and_saveexec_b32 s43, s42
	s_cbranch_execz .LBB56_476
.LBB56_475:
	v_and_b32_e32 v1, 0xffff, v3
	s_delay_alu instid0(VALU_DEP_1) | instskip(SKIP_1) | instid1(VALU_DEP_2)
	v_and_b32_e32 v5, 3, v1
	v_bfe_u32 v10, v1, 2, 5
	v_clz_i32_u32_e32 v8, v5
	s_delay_alu instid0(VALU_DEP_2) | instskip(NEXT) | instid1(VALU_DEP_2)
	v_cmp_eq_u32_e32 vcc_lo, 0, v10
	v_min_u32_e32 v8, 32, v8
	s_delay_alu instid0(VALU_DEP_1) | instskip(NEXT) | instid1(VALU_DEP_1)
	v_subrev_nc_u32_e32 v9, 29, v8
	v_dual_lshlrev_b32 v1, v9, v1 :: v_dual_sub_nc_u32 v8, 30, v8
	s_delay_alu instid0(VALU_DEP_1) | instskip(NEXT) | instid1(VALU_DEP_1)
	v_dual_lshlrev_b32 v3, 24, v3 :: v_dual_bitop2_b32 v1, 3, v1 bitop3:0x40
	v_dual_cndmask_b32 v8, v10, v8 :: v_dual_cndmask_b32 v1, v5, v1
	s_delay_alu instid0(VALU_DEP_2) | instskip(NEXT) | instid1(VALU_DEP_2)
	v_and_b32_e32 v3, 0x80000000, v3
	v_lshl_add_u32 v5, v8, 23, 0x37800000
	s_delay_alu instid0(VALU_DEP_3) | instskip(NEXT) | instid1(VALU_DEP_1)
	v_lshlrev_b32_e32 v1, 21, v1
	v_or3_b32 v1, v3, v5, v1
	s_delay_alu instid0(VALU_DEP_1)
	v_cvt_f16_f32_e32 v1, v1
.LBB56_476:
	s_or_b32 exec_lo, exec_lo, s43
	s_mov_b32 s42, 0
	s_branch .LBB56_482
.LBB56_477:
	s_mov_b32 s43, -1
                                        ; implicit-def: $vgpr1
	s_branch .LBB56_488
.LBB56_478:
	s_or_saveexec_b32 s43, s43
	v_mov_b32_e32 v1, 0x7e00
	s_xor_b32 exec_lo, exec_lo, s43
	s_cbranch_execz .LBB56_461
.LBB56_479:
	v_cmp_ne_u16_e32 vcc_lo, 0, v3
	v_mov_b32_e32 v1, v3
	s_and_not1_b32 s42, s42, exec_lo
	s_and_b32 s44, vcc_lo, exec_lo
	s_delay_alu instid0(SALU_CYCLE_1)
	s_or_b32 s42, s42, s44
	s_or_b32 exec_lo, exec_lo, s43
	s_and_saveexec_b32 s43, s42
	s_cbranch_execnz .LBB56_462
	s_branch .LBB56_463
.LBB56_480:
	s_mov_b32 s42, -1
                                        ; implicit-def: $vgpr1
	s_branch .LBB56_485
.LBB56_481:
	s_mov_b32 s42, -1
                                        ; implicit-def: $vgpr1
.LBB56_482:
	s_delay_alu instid0(SALU_CYCLE_1)
	s_and_b32 vcc_lo, exec_lo, s42
	s_cbranch_vccz .LBB56_484
; %bb.483:
	global_load_u8 v1, v[6:7], off
	s_wait_loadcnt 0x0
	v_lshlrev_b32_e32 v1, 24, v1
	s_delay_alu instid0(VALU_DEP_1) | instskip(NEXT) | instid1(VALU_DEP_1)
	v_and_b32_e32 v3, 0x7f000000, v1
	v_clz_i32_u32_e32 v5, v3
	v_add_nc_u32_e32 v9, 0x1000000, v3
	v_cmp_ne_u32_e32 vcc_lo, 0, v3
	s_delay_alu instid0(VALU_DEP_3) | instskip(NEXT) | instid1(VALU_DEP_1)
	v_min_u32_e32 v5, 32, v5
	v_sub_nc_u32_e64 v5, v5, 4 clamp
	s_delay_alu instid0(VALU_DEP_1) | instskip(NEXT) | instid1(VALU_DEP_1)
	v_dual_lshlrev_b32 v8, v5, v3 :: v_dual_lshlrev_b32 v5, 23, v5
	v_lshrrev_b32_e32 v8, 4, v8
	s_delay_alu instid0(VALU_DEP_1) | instskip(SKIP_1) | instid1(VALU_DEP_2)
	v_sub_nc_u32_e32 v5, v8, v5
	v_ashrrev_i32_e32 v8, 8, v9
	v_add_nc_u32_e32 v5, 0x3c000000, v5
	s_delay_alu instid0(VALU_DEP_1) | instskip(NEXT) | instid1(VALU_DEP_1)
	v_and_or_b32 v5, 0x7f800000, v8, v5
	v_cndmask_b32_e32 v3, 0, v5, vcc_lo
	s_delay_alu instid0(VALU_DEP_1) | instskip(NEXT) | instid1(VALU_DEP_1)
	v_and_or_b32 v1, 0x80000000, v1, v3
	v_cvt_f16_f32_e32 v1, v1
.LBB56_484:
	s_mov_b32 s42, 0
.LBB56_485:
	s_delay_alu instid0(SALU_CYCLE_1)
	s_and_not1_b32 vcc_lo, exec_lo, s42
	s_cbranch_vccnz .LBB56_487
; %bb.486:
	global_load_u8 v1, v[6:7], off
	s_wait_loadcnt 0x0
	v_lshlrev_b32_e32 v3, 25, v1
	v_lshlrev_b16 v1, 8, v1
	s_delay_alu instid0(VALU_DEP_1) | instskip(SKIP_1) | instid1(VALU_DEP_2)
	v_and_or_b32 v8, 0x7f00, v1, 0.5
	v_bfe_i32 v1, v1, 0, 16
	v_dual_add_f32 v8, -0.5, v8 :: v_dual_lshrrev_b32 v5, 4, v3
	v_cmp_gt_u32_e32 vcc_lo, 0x8000000, v3
	s_delay_alu instid0(VALU_DEP_2) | instskip(NEXT) | instid1(VALU_DEP_1)
	v_or_b32_e32 v5, 0x70000000, v5
	v_mul_f32_e32 v5, 0x7800000, v5
	s_delay_alu instid0(VALU_DEP_1) | instskip(NEXT) | instid1(VALU_DEP_1)
	v_cndmask_b32_e32 v3, v5, v8, vcc_lo
	v_and_or_b32 v1, 0x80000000, v1, v3
	s_delay_alu instid0(VALU_DEP_1)
	v_cvt_f16_f32_e32 v1, v1
.LBB56_487:
	s_mov_b32 s43, 0
	s_mov_b32 s42, -1
.LBB56_488:
	s_and_not1_b32 vcc_lo, exec_lo, s43
	s_cbranch_vccnz .LBB56_501
; %bb.489:
	s_cmp_gt_i32 s25, 14
	s_cbranch_scc0 .LBB56_492
; %bb.490:
	s_cmp_eq_u32 s25, 15
	s_cbranch_scc0 .LBB56_495
; %bb.491:
	global_load_u16 v1, v[6:7], off
	s_mov_b32 s42, -1
	s_mov_b32 s24, 0
	s_wait_loadcnt 0x0
	v_lshlrev_b32_e32 v1, 16, v1
	s_delay_alu instid0(VALU_DEP_1)
	v_cvt_f16_f32_e32 v1, v1
	s_branch .LBB56_496
.LBB56_492:
	s_mov_b32 s43, -1
                                        ; implicit-def: $vgpr1
	s_branch .LBB56_497
.LBB56_493:
	s_or_saveexec_b32 s43, s43
	v_mov_b32_e32 v1, 0x7e00
	s_xor_b32 exec_lo, exec_lo, s43
	s_cbranch_execz .LBB56_474
.LBB56_494:
	v_cmp_ne_u16_e32 vcc_lo, 0, v3
	v_mov_b32_e32 v1, v3
	s_and_not1_b32 s42, s42, exec_lo
	s_and_b32 s44, vcc_lo, exec_lo
	s_delay_alu instid0(SALU_CYCLE_1)
	s_or_b32 s42, s42, s44
	s_or_b32 exec_lo, exec_lo, s43
	s_and_saveexec_b32 s43, s42
	s_cbranch_execnz .LBB56_475
	s_branch .LBB56_476
.LBB56_495:
	s_mov_b32 s24, -1
                                        ; implicit-def: $vgpr1
.LBB56_496:
	s_mov_b32 s43, 0
.LBB56_497:
	s_delay_alu instid0(SALU_CYCLE_1)
	s_and_b32 vcc_lo, exec_lo, s43
	s_cbranch_vccz .LBB56_501
; %bb.498:
	s_cmp_eq_u32 s25, 11
	s_cbranch_scc0 .LBB56_500
; %bb.499:
	global_load_u8 v1, v[6:7], off
	s_mov_b32 s24, 0
	s_mov_b32 s42, -1
	s_wait_loadcnt 0x0
	v_cmp_ne_u16_e32 vcc_lo, 0, v1
	v_cndmask_b32_e64 v1, 0, 0x3c00, vcc_lo
	s_branch .LBB56_501
.LBB56_500:
	s_mov_b32 s24, -1
                                        ; implicit-def: $vgpr1
.LBB56_501:
	s_branch .LBB56_416
.LBB56_502:
	s_and_b32 s0, 0xffff, s0
	s_delay_alu instid0(SALU_CYCLE_1)
	s_cmp_lt_i32 s0, 5
	s_cbranch_scc1 .LBB56_507
; %bb.503:
	s_cmp_lt_i32 s0, 8
	s_cbranch_scc1 .LBB56_508
; %bb.504:
	;; [unrolled: 3-line block ×3, first 2 shown]
	s_cmp_gt_i32 s0, 9
	s_cbranch_scc0 .LBB56_510
; %bb.506:
	global_load_b64 v[8:9], v[6:7], off
	s_mov_b32 s25, 0
	s_wait_loadcnt 0x0
	v_and_or_b32 v1, 0x1ff, v9, v8
	v_lshrrev_b32_e32 v3, 8, v9
	v_bfe_u32 v5, v9, 20, 11
	s_delay_alu instid0(VALU_DEP_3) | instskip(NEXT) | instid1(VALU_DEP_2)
	v_cmp_ne_u32_e32 vcc_lo, 0, v1
	v_sub_nc_u32_e32 v8, 0x3f1, v5
	v_add_nc_u32_e32 v5, 0xfffffc10, v5
	v_cndmask_b32_e64 v1, 0, 1, vcc_lo
	s_delay_alu instid0(VALU_DEP_1) | instskip(NEXT) | instid1(VALU_DEP_4)
	v_and_or_b32 v1, 0xffe, v3, v1
	v_med3_i32 v3, v8, 0, 13
	s_delay_alu instid0(VALU_DEP_2) | instskip(NEXT) | instid1(VALU_DEP_1)
	v_or_b32_e32 v8, 0x1000, v1
	v_lshrrev_b32_e32 v10, v3, v8
	s_delay_alu instid0(VALU_DEP_1) | instskip(NEXT) | instid1(VALU_DEP_1)
	v_lshlrev_b32_e32 v3, v3, v10
	v_cmp_ne_u32_e32 vcc_lo, v3, v8
	v_lshl_or_b32 v8, v5, 12, v1
	v_cndmask_b32_e64 v3, 0, 1, vcc_lo
	v_cmp_gt_i32_e32 vcc_lo, 1, v5
	s_delay_alu instid0(VALU_DEP_2) | instskip(NEXT) | instid1(VALU_DEP_1)
	v_or_b32_e32 v3, v10, v3
	v_cndmask_b32_e32 v3, v8, v3, vcc_lo
	s_delay_alu instid0(VALU_DEP_1) | instskip(NEXT) | instid1(VALU_DEP_1)
	v_dual_lshrrev_b32 v3, 2, v3 :: v_dual_bitop2_b32 v8, 7, v3 bitop3:0x40
	v_cmp_lt_i32_e32 vcc_lo, 5, v8
	v_cndmask_b32_e64 v10, 0, 1, vcc_lo
	v_cmp_eq_u32_e32 vcc_lo, 3, v8
	v_cndmask_b32_e64 v8, 0, 1, vcc_lo
	v_cmp_ne_u32_e32 vcc_lo, 0, v1
	s_delay_alu instid0(VALU_DEP_2) | instskip(NEXT) | instid1(VALU_DEP_1)
	v_or_b32_e32 v8, v8, v10
	v_dual_mov_b32 v10, 0x7e00 :: v_dual_add_nc_u32 v3, v3, v8
	s_delay_alu instid0(VALU_DEP_1) | instskip(SKIP_1) | instid1(VALU_DEP_3)
	v_cndmask_b32_e32 v1, 0x7c00, v10, vcc_lo
	v_cmp_gt_i32_e32 vcc_lo, 31, v5
	v_cndmask_b32_e32 v3, 0x7c00, v3, vcc_lo
	v_cmp_eq_u32_e32 vcc_lo, 0x40f, v5
	s_delay_alu instid0(VALU_DEP_2) | instskip(SKIP_1) | instid1(VALU_DEP_1)
	v_cndmask_b32_e32 v1, v3, v1, vcc_lo
	v_lshrrev_b32_e32 v3, 16, v9
	v_and_or_b32 v1, 0x8000, v3, v1
	s_branch .LBB56_511
.LBB56_507:
	s_mov_b32 s25, -1
                                        ; implicit-def: $vgpr1
	s_branch .LBB56_529
.LBB56_508:
	s_mov_b32 s25, -1
                                        ; implicit-def: $vgpr1
	s_branch .LBB56_517
.LBB56_509:
	s_mov_b32 s25, -1
                                        ; implicit-def: $vgpr1
	s_branch .LBB56_514
.LBB56_510:
	s_mov_b32 s25, -1
                                        ; implicit-def: $vgpr1
.LBB56_511:
	s_delay_alu instid0(SALU_CYCLE_1)
	s_and_not1_b32 vcc_lo, exec_lo, s25
	s_cbranch_vccnz .LBB56_513
; %bb.512:
	global_load_b32 v1, v[6:7], off
	s_wait_loadcnt 0x0
	v_cvt_f16_f32_e32 v1, v1
.LBB56_513:
	s_mov_b32 s25, 0
.LBB56_514:
	s_delay_alu instid0(SALU_CYCLE_1)
	s_and_not1_b32 vcc_lo, exec_lo, s25
	s_cbranch_vccnz .LBB56_516
; %bb.515:
	global_load_b32 v1, v[6:7], off
.LBB56_516:
	s_mov_b32 s25, 0
.LBB56_517:
	s_delay_alu instid0(SALU_CYCLE_1)
	s_and_not1_b32 vcc_lo, exec_lo, s25
	s_cbranch_vccnz .LBB56_528
; %bb.518:
	s_cmp_lt_i32 s0, 6
	s_cbranch_scc1 .LBB56_521
; %bb.519:
	s_cmp_gt_i32 s0, 6
	s_cbranch_scc0 .LBB56_522
; %bb.520:
	global_load_b64 v[8:9], v[6:7], off
	s_mov_b32 s25, 0
	s_wait_loadcnt 0x0
	v_and_or_b32 v1, 0x1ff, v9, v8
	v_lshrrev_b32_e32 v3, 8, v9
	v_bfe_u32 v5, v9, 20, 11
	s_delay_alu instid0(VALU_DEP_3) | instskip(NEXT) | instid1(VALU_DEP_2)
	v_cmp_ne_u32_e32 vcc_lo, 0, v1
	v_sub_nc_u32_e32 v8, 0x3f1, v5
	v_add_nc_u32_e32 v5, 0xfffffc10, v5
	v_cndmask_b32_e64 v1, 0, 1, vcc_lo
	s_delay_alu instid0(VALU_DEP_1) | instskip(NEXT) | instid1(VALU_DEP_4)
	v_and_or_b32 v1, 0xffe, v3, v1
	v_med3_i32 v3, v8, 0, 13
	s_delay_alu instid0(VALU_DEP_2) | instskip(NEXT) | instid1(VALU_DEP_1)
	v_or_b32_e32 v8, 0x1000, v1
	v_lshrrev_b32_e32 v10, v3, v8
	s_delay_alu instid0(VALU_DEP_1) | instskip(NEXT) | instid1(VALU_DEP_1)
	v_lshlrev_b32_e32 v3, v3, v10
	v_cmp_ne_u32_e32 vcc_lo, v3, v8
	v_lshl_or_b32 v8, v5, 12, v1
	v_cndmask_b32_e64 v3, 0, 1, vcc_lo
	v_cmp_gt_i32_e32 vcc_lo, 1, v5
	s_delay_alu instid0(VALU_DEP_2) | instskip(NEXT) | instid1(VALU_DEP_1)
	v_or_b32_e32 v3, v10, v3
	v_cndmask_b32_e32 v3, v8, v3, vcc_lo
	s_delay_alu instid0(VALU_DEP_1) | instskip(NEXT) | instid1(VALU_DEP_1)
	v_dual_lshrrev_b32 v3, 2, v3 :: v_dual_bitop2_b32 v8, 7, v3 bitop3:0x40
	v_cmp_lt_i32_e32 vcc_lo, 5, v8
	v_cndmask_b32_e64 v10, 0, 1, vcc_lo
	v_cmp_eq_u32_e32 vcc_lo, 3, v8
	v_cndmask_b32_e64 v8, 0, 1, vcc_lo
	v_cmp_ne_u32_e32 vcc_lo, 0, v1
	s_delay_alu instid0(VALU_DEP_2) | instskip(NEXT) | instid1(VALU_DEP_1)
	v_or_b32_e32 v8, v8, v10
	v_dual_mov_b32 v10, 0x7e00 :: v_dual_add_nc_u32 v3, v3, v8
	s_delay_alu instid0(VALU_DEP_1) | instskip(SKIP_1) | instid1(VALU_DEP_3)
	v_cndmask_b32_e32 v1, 0x7c00, v10, vcc_lo
	v_cmp_gt_i32_e32 vcc_lo, 31, v5
	v_cndmask_b32_e32 v3, 0x7c00, v3, vcc_lo
	v_cmp_eq_u32_e32 vcc_lo, 0x40f, v5
	s_delay_alu instid0(VALU_DEP_2) | instskip(SKIP_1) | instid1(VALU_DEP_1)
	v_cndmask_b32_e32 v1, v3, v1, vcc_lo
	v_lshrrev_b32_e32 v3, 16, v9
	v_and_or_b32 v1, 0x8000, v3, v1
	s_branch .LBB56_523
.LBB56_521:
	s_mov_b32 s25, -1
                                        ; implicit-def: $vgpr1
	s_branch .LBB56_526
.LBB56_522:
	s_mov_b32 s25, -1
                                        ; implicit-def: $vgpr1
.LBB56_523:
	s_delay_alu instid0(SALU_CYCLE_1)
	s_and_not1_b32 vcc_lo, exec_lo, s25
	s_cbranch_vccnz .LBB56_525
; %bb.524:
	s_wait_loadcnt 0x0
	global_load_b32 v1, v[6:7], off
	s_wait_loadcnt 0x0
	v_cvt_f16_f32_e32 v1, v1
.LBB56_525:
	s_mov_b32 s25, 0
.LBB56_526:
	s_delay_alu instid0(SALU_CYCLE_1)
	s_and_not1_b32 vcc_lo, exec_lo, s25
	s_cbranch_vccnz .LBB56_528
; %bb.527:
	s_wait_loadcnt 0x0
	global_load_u16 v1, v[6:7], off
.LBB56_528:
	s_mov_b32 s25, 0
.LBB56_529:
	s_delay_alu instid0(SALU_CYCLE_1)
	s_and_not1_b32 vcc_lo, exec_lo, s25
	s_cbranch_vccnz .LBB56_549
; %bb.530:
	s_cmp_lt_i32 s0, 2
	s_cbranch_scc1 .LBB56_534
; %bb.531:
	s_cmp_lt_i32 s0, 3
	s_cbranch_scc1 .LBB56_535
; %bb.532:
	s_cmp_gt_i32 s0, 3
	s_cbranch_scc0 .LBB56_536
; %bb.533:
	global_load_b64 v[8:9], v[6:7], off
	s_mov_b32 s25, 0
	s_wait_loadcnt 0x0
	v_xor_b32_e32 v1, v8, v9
	v_cls_i32_e32 v3, v9
	s_delay_alu instid0(VALU_DEP_2) | instskip(NEXT) | instid1(VALU_DEP_1)
	v_ashrrev_i32_e32 v1, 31, v1
	v_add_nc_u32_e32 v1, 32, v1
	s_delay_alu instid0(VALU_DEP_1) | instskip(NEXT) | instid1(VALU_DEP_1)
	v_add_min_u32_e64 v1, v3, -1, v1
	v_lshlrev_b64_e32 v[8:9], v1, v[8:9]
	v_sub_nc_u32_e32 v1, 32, v1
	s_delay_alu instid0(VALU_DEP_2) | instskip(NEXT) | instid1(VALU_DEP_1)
	v_min_u32_e32 v3, 1, v8
	v_or_b32_e32 v3, v9, v3
	s_delay_alu instid0(VALU_DEP_1) | instskip(NEXT) | instid1(VALU_DEP_1)
	v_cvt_f32_i32_e32 v3, v3
	v_ldexp_f32 v1, v3, v1
	s_delay_alu instid0(VALU_DEP_1)
	v_cvt_f16_f32_e32 v1, v1
	s_branch .LBB56_537
.LBB56_534:
	s_mov_b32 s25, -1
                                        ; implicit-def: $vgpr1
	s_branch .LBB56_543
.LBB56_535:
	s_mov_b32 s25, -1
                                        ; implicit-def: $vgpr1
	s_branch .LBB56_540
.LBB56_536:
	s_mov_b32 s25, -1
                                        ; implicit-def: $vgpr1
.LBB56_537:
	s_delay_alu instid0(SALU_CYCLE_1)
	s_and_not1_b32 vcc_lo, exec_lo, s25
	s_cbranch_vccnz .LBB56_539
; %bb.538:
	s_wait_loadcnt 0x0
	global_load_b32 v1, v[6:7], off
	s_wait_loadcnt 0x0
	v_cvt_f32_i32_e32 v1, v1
	s_delay_alu instid0(VALU_DEP_1)
	v_cvt_f16_f32_e32 v1, v1
.LBB56_539:
	s_mov_b32 s25, 0
.LBB56_540:
	s_delay_alu instid0(SALU_CYCLE_1)
	s_and_not1_b32 vcc_lo, exec_lo, s25
	s_cbranch_vccnz .LBB56_542
; %bb.541:
	s_wait_loadcnt 0x0
	global_load_u16 v1, v[6:7], off
	s_wait_loadcnt 0x0
	v_cvt_f16_i16_e32 v1, v1
.LBB56_542:
	s_mov_b32 s25, 0
.LBB56_543:
	s_delay_alu instid0(SALU_CYCLE_1)
	s_and_not1_b32 vcc_lo, exec_lo, s25
	s_cbranch_vccnz .LBB56_549
; %bb.544:
	s_cmp_gt_i32 s0, 0
	s_mov_b32 s0, 0
	s_cbranch_scc0 .LBB56_546
; %bb.545:
	s_wait_loadcnt 0x0
	global_load_i8 v1, v[6:7], off
	s_wait_loadcnt 0x0
	v_cvt_f16_i16_e32 v1, v1
	s_branch .LBB56_547
.LBB56_546:
	s_mov_b32 s0, -1
                                        ; implicit-def: $vgpr1
.LBB56_547:
	s_delay_alu instid0(SALU_CYCLE_1)
	s_and_not1_b32 vcc_lo, exec_lo, s0
	s_cbranch_vccnz .LBB56_549
; %bb.548:
	s_wait_loadcnt 0x0
	global_load_u8 v1, v[6:7], off
	s_wait_loadcnt 0x0
	v_cvt_f16_u16_e32 v1, v1
.LBB56_549:
	s_branch .LBB56_417
.LBB56_550:
	s_mov_b32 s46, 0
	s_mov_b32 s0, s38
	;; [unrolled: 1-line block ×3, first 2 shown]
	s_branch .LBB56_718
.LBB56_551:
	s_and_not1_saveexec_b32 s43, s43
	s_cbranch_execz .LBB56_242
.LBB56_552:
	v_add_f32_e64 v5, 0x42800000, |v4|
	s_and_not1_b32 s42, s42, exec_lo
	s_delay_alu instid0(VALU_DEP_1) | instskip(NEXT) | instid1(VALU_DEP_1)
	v_and_b32_e32 v5, 0xff, v5
	v_cmp_ne_u32_e32 vcc_lo, 0, v5
	s_and_b32 s44, vcc_lo, exec_lo
	s_delay_alu instid0(SALU_CYCLE_1)
	s_or_b32 s42, s42, s44
	s_or_b32 exec_lo, exec_lo, s43
	v_mov_b32_e32 v6, 0
	s_and_saveexec_b32 s43, s42
	s_cbranch_execnz .LBB56_243
	s_branch .LBB56_244
.LBB56_553:
	s_mov_b32 s25, -1
	s_mov_b32 s43, 0
.LBB56_554:
                                        ; implicit-def: $vgpr6
.LBB56_555:
	s_and_b32 vcc_lo, exec_lo, s44
	s_cbranch_vccz .LBB56_559
; %bb.556:
	s_cmp_eq_u32 s42, 44
	s_cbranch_scc0 .LBB56_558
; %bb.557:
	global_load_u8 v3, v[4:5], off
	s_mov_b32 s25, 0
	s_mov_b32 s43, -1
	s_wait_loadcnt 0x0
	s_wait_xcnt 0x1
	v_lshlrev_b32_e32 v6, 23, v3
	v_cmp_ne_u32_e32 vcc_lo, 0xff, v3
	s_delay_alu instid0(VALU_DEP_2) | instskip(NEXT) | instid1(VALU_DEP_1)
	v_cvt_f16_f32_e32 v6, v6
	v_cndmask_b32_e32 v6, 0x7e00, v6, vcc_lo
	v_cmp_ne_u32_e32 vcc_lo, 0, v3
	s_delay_alu instid0(VALU_DEP_2)
	v_cndmask_b32_e32 v6, 0, v6, vcc_lo
	s_branch .LBB56_559
.LBB56_558:
	s_mov_b32 s25, -1
                                        ; implicit-def: $vgpr6
.LBB56_559:
	s_mov_b32 s44, 0
.LBB56_560:
	s_delay_alu instid0(SALU_CYCLE_1)
	s_and_b32 vcc_lo, exec_lo, s44
	s_cbranch_vccz .LBB56_564
; %bb.561:
	s_cmp_eq_u32 s42, 29
	s_cbranch_scc0 .LBB56_563
; %bb.562:
	global_load_b64 v[6:7], v[4:5], off
	s_mov_b32 s43, -1
	s_mov_b32 s25, 0
	s_mov_b32 s44, 0
	s_wait_loadcnt 0x0
	v_clz_i32_u32_e32 v3, v7
	s_delay_alu instid0(VALU_DEP_1) | instskip(NEXT) | instid1(VALU_DEP_1)
	v_min_u32_e32 v3, 32, v3
	v_lshlrev_b64_e32 v[6:7], v3, v[6:7]
	v_sub_nc_u32_e32 v3, 32, v3
	s_delay_alu instid0(VALU_DEP_2) | instskip(NEXT) | instid1(VALU_DEP_1)
	v_min_u32_e32 v6, 1, v6
	v_or_b32_e32 v6, v7, v6
	s_delay_alu instid0(VALU_DEP_1) | instskip(NEXT) | instid1(VALU_DEP_1)
	v_cvt_f32_u32_e32 v6, v6
	v_ldexp_f32 v3, v6, v3
	s_delay_alu instid0(VALU_DEP_1)
	v_cvt_f16_f32_e32 v6, v3
	s_branch .LBB56_565
.LBB56_563:
	s_mov_b32 s25, -1
                                        ; implicit-def: $vgpr6
.LBB56_564:
	s_mov_b32 s44, 0
.LBB56_565:
	s_delay_alu instid0(SALU_CYCLE_1)
	s_and_b32 vcc_lo, exec_lo, s44
	s_cbranch_vccz .LBB56_583
; %bb.566:
	s_cmp_lt_i32 s42, 27
	s_cbranch_scc1 .LBB56_569
; %bb.567:
	s_cmp_gt_i32 s42, 27
	s_cbranch_scc0 .LBB56_570
; %bb.568:
	global_load_b32 v3, v[4:5], off
	s_mov_b32 s43, 0
	s_wait_loadcnt 0x0
	v_cvt_f32_u32_e32 v3, v3
	s_wait_xcnt 0x1
	s_delay_alu instid0(VALU_DEP_1)
	v_cvt_f16_f32_e32 v6, v3
	s_branch .LBB56_571
.LBB56_569:
	s_mov_b32 s43, -1
                                        ; implicit-def: $vgpr6
	s_branch .LBB56_574
.LBB56_570:
	s_mov_b32 s43, -1
                                        ; implicit-def: $vgpr6
.LBB56_571:
	s_delay_alu instid0(SALU_CYCLE_1)
	s_and_not1_b32 vcc_lo, exec_lo, s43
	s_cbranch_vccnz .LBB56_573
; %bb.572:
	global_load_u16 v3, v[4:5], off
	s_wait_loadcnt 0x0
	s_wait_xcnt 0x1
	v_cvt_f16_u16_e32 v6, v3
.LBB56_573:
	s_mov_b32 s43, 0
.LBB56_574:
	s_delay_alu instid0(SALU_CYCLE_1)
	s_and_not1_b32 vcc_lo, exec_lo, s43
	s_cbranch_vccnz .LBB56_582
; %bb.575:
	global_load_u8 v3, v[4:5], off
	s_mov_b32 s43, 0
	s_mov_b32 s44, exec_lo
	s_wait_loadcnt 0x0
	v_cmpx_lt_i16_e32 0x7f, v3
	s_xor_b32 s44, exec_lo, s44
	s_cbranch_execz .LBB56_596
; %bb.576:
	s_mov_b32 s43, -1
	s_mov_b32 s46, exec_lo
	v_cmpx_eq_u16_e32 0x80, v3
; %bb.577:
	s_xor_b32 s43, exec_lo, -1
; %bb.578:
	s_or_b32 exec_lo, exec_lo, s46
	s_delay_alu instid0(SALU_CYCLE_1)
	s_and_b32 s43, s43, exec_lo
	s_or_saveexec_b32 s44, s44
	v_mov_b32_e32 v6, 0x7e00
	s_xor_b32 exec_lo, exec_lo, s44
	s_cbranch_execnz .LBB56_597
.LBB56_579:
	s_or_b32 exec_lo, exec_lo, s44
	s_and_saveexec_b32 s44, s43
	s_cbranch_execz .LBB56_581
.LBB56_580:
	v_and_b32_e32 v6, 0xffff, v3
	s_delay_alu instid0(VALU_DEP_1) | instskip(SKIP_1) | instid1(VALU_DEP_2)
	v_and_b32_e32 v7, 7, v6
	v_bfe_u32 v10, v6, 3, 4
	v_clz_i32_u32_e32 v8, v7
	s_delay_alu instid0(VALU_DEP_2) | instskip(NEXT) | instid1(VALU_DEP_2)
	v_cmp_eq_u32_e32 vcc_lo, 0, v10
	v_min_u32_e32 v8, 32, v8
	s_delay_alu instid0(VALU_DEP_1) | instskip(NEXT) | instid1(VALU_DEP_1)
	v_subrev_nc_u32_e32 v9, 28, v8
	v_dual_lshlrev_b32 v6, v9, v6 :: v_dual_sub_nc_u32 v8, 29, v8
	s_delay_alu instid0(VALU_DEP_1) | instskip(NEXT) | instid1(VALU_DEP_1)
	v_dual_lshlrev_b32 v3, 24, v3 :: v_dual_bitop2_b32 v6, 7, v6 bitop3:0x40
	v_dual_cndmask_b32 v8, v10, v8, vcc_lo :: v_dual_cndmask_b32 v6, v7, v6, vcc_lo
	s_delay_alu instid0(VALU_DEP_2) | instskip(NEXT) | instid1(VALU_DEP_2)
	v_and_b32_e32 v3, 0x80000000, v3
	v_lshl_add_u32 v7, v8, 23, 0x3b800000
	s_delay_alu instid0(VALU_DEP_3) | instskip(NEXT) | instid1(VALU_DEP_1)
	v_lshlrev_b32_e32 v6, 20, v6
	v_or3_b32 v3, v3, v7, v6
	s_delay_alu instid0(VALU_DEP_1)
	v_cvt_f16_f32_e32 v6, v3
.LBB56_581:
	s_or_b32 exec_lo, exec_lo, s44
.LBB56_582:
	s_mov_b32 s43, -1
.LBB56_583:
	s_mov_b32 s44, 0
.LBB56_584:
	s_delay_alu instid0(SALU_CYCLE_1)
	s_and_b32 vcc_lo, exec_lo, s44
	s_cbranch_vccz .LBB56_619
; %bb.585:
	s_cmp_gt_i32 s42, 22
	s_cbranch_scc0 .LBB56_595
; %bb.586:
	s_cmp_lt_i32 s42, 24
	s_cbranch_scc1 .LBB56_598
; %bb.587:
	s_cmp_gt_i32 s42, 24
	s_cbranch_scc0 .LBB56_599
; %bb.588:
	global_load_u8 v3, v[4:5], off
	s_mov_b32 s43, 0
	s_mov_b32 s44, exec_lo
	s_wait_loadcnt 0x0
	v_cmpx_lt_i16_e32 0x7f, v3
	s_xor_b32 s44, exec_lo, s44
	s_cbranch_execz .LBB56_611
; %bb.589:
	s_mov_b32 s43, -1
	s_mov_b32 s46, exec_lo
	v_cmpx_eq_u16_e32 0x80, v3
; %bb.590:
	s_xor_b32 s43, exec_lo, -1
; %bb.591:
	s_or_b32 exec_lo, exec_lo, s46
	s_delay_alu instid0(SALU_CYCLE_1)
	s_and_b32 s43, s43, exec_lo
	s_or_saveexec_b32 s44, s44
	v_mov_b32_e32 v6, 0x7e00
	s_xor_b32 exec_lo, exec_lo, s44
	s_cbranch_execnz .LBB56_612
.LBB56_592:
	s_or_b32 exec_lo, exec_lo, s44
	s_and_saveexec_b32 s44, s43
	s_cbranch_execz .LBB56_594
.LBB56_593:
	v_and_b32_e32 v6, 0xffff, v3
	s_delay_alu instid0(VALU_DEP_1) | instskip(SKIP_1) | instid1(VALU_DEP_2)
	v_and_b32_e32 v7, 3, v6
	v_bfe_u32 v10, v6, 2, 5
	v_clz_i32_u32_e32 v8, v7
	s_delay_alu instid0(VALU_DEP_2) | instskip(NEXT) | instid1(VALU_DEP_2)
	v_cmp_eq_u32_e32 vcc_lo, 0, v10
	v_min_u32_e32 v8, 32, v8
	s_delay_alu instid0(VALU_DEP_1) | instskip(NEXT) | instid1(VALU_DEP_1)
	v_subrev_nc_u32_e32 v9, 29, v8
	v_dual_lshlrev_b32 v6, v9, v6 :: v_dual_sub_nc_u32 v8, 30, v8
	s_delay_alu instid0(VALU_DEP_1) | instskip(NEXT) | instid1(VALU_DEP_1)
	v_dual_lshlrev_b32 v3, 24, v3 :: v_dual_bitop2_b32 v6, 3, v6 bitop3:0x40
	v_dual_cndmask_b32 v8, v10, v8, vcc_lo :: v_dual_cndmask_b32 v6, v7, v6, vcc_lo
	s_delay_alu instid0(VALU_DEP_2) | instskip(NEXT) | instid1(VALU_DEP_2)
	v_and_b32_e32 v3, 0x80000000, v3
	v_lshl_add_u32 v7, v8, 23, 0x37800000
	s_delay_alu instid0(VALU_DEP_3) | instskip(NEXT) | instid1(VALU_DEP_1)
	v_lshlrev_b32_e32 v6, 21, v6
	v_or3_b32 v3, v3, v7, v6
	s_delay_alu instid0(VALU_DEP_1)
	v_cvt_f16_f32_e32 v6, v3
.LBB56_594:
	s_or_b32 exec_lo, exec_lo, s44
	s_mov_b32 s43, 0
	s_branch .LBB56_600
.LBB56_595:
	s_mov_b32 s44, -1
                                        ; implicit-def: $vgpr6
	s_branch .LBB56_606
.LBB56_596:
	s_or_saveexec_b32 s44, s44
	v_mov_b32_e32 v6, 0x7e00
	s_xor_b32 exec_lo, exec_lo, s44
	s_cbranch_execz .LBB56_579
.LBB56_597:
	v_cmp_ne_u16_e32 vcc_lo, 0, v3
	v_mov_b32_e32 v6, v3
	s_and_not1_b32 s43, s43, exec_lo
	s_and_b32 s46, vcc_lo, exec_lo
	s_delay_alu instid0(SALU_CYCLE_1)
	s_or_b32 s43, s43, s46
	s_or_b32 exec_lo, exec_lo, s44
	s_and_saveexec_b32 s44, s43
	s_cbranch_execnz .LBB56_580
	s_branch .LBB56_581
.LBB56_598:
	s_mov_b32 s43, -1
                                        ; implicit-def: $vgpr6
	s_branch .LBB56_603
.LBB56_599:
	s_mov_b32 s43, -1
                                        ; implicit-def: $vgpr6
.LBB56_600:
	s_delay_alu instid0(SALU_CYCLE_1)
	s_and_b32 vcc_lo, exec_lo, s43
	s_cbranch_vccz .LBB56_602
; %bb.601:
	global_load_u8 v3, v[4:5], off
	s_wait_loadcnt 0x0
	v_lshlrev_b32_e32 v3, 24, v3
	s_wait_xcnt 0x1
	s_delay_alu instid0(VALU_DEP_1) | instskip(NEXT) | instid1(VALU_DEP_1)
	v_and_b32_e32 v6, 0x7f000000, v3
	v_clz_i32_u32_e32 v7, v6
	v_cmp_ne_u32_e32 vcc_lo, 0, v6
	v_add_nc_u32_e32 v9, 0x1000000, v6
	s_delay_alu instid0(VALU_DEP_3) | instskip(NEXT) | instid1(VALU_DEP_1)
	v_min_u32_e32 v7, 32, v7
	v_sub_nc_u32_e64 v7, v7, 4 clamp
	s_delay_alu instid0(VALU_DEP_1) | instskip(NEXT) | instid1(VALU_DEP_1)
	v_dual_lshlrev_b32 v8, v7, v6 :: v_dual_lshlrev_b32 v7, 23, v7
	v_lshrrev_b32_e32 v8, 4, v8
	s_delay_alu instid0(VALU_DEP_1) | instskip(NEXT) | instid1(VALU_DEP_1)
	v_dual_sub_nc_u32 v7, v8, v7 :: v_dual_ashrrev_i32 v8, 8, v9
	v_add_nc_u32_e32 v7, 0x3c000000, v7
	s_delay_alu instid0(VALU_DEP_1) | instskip(NEXT) | instid1(VALU_DEP_1)
	v_and_or_b32 v7, 0x7f800000, v8, v7
	v_cndmask_b32_e32 v6, 0, v7, vcc_lo
	s_delay_alu instid0(VALU_DEP_1) | instskip(NEXT) | instid1(VALU_DEP_1)
	v_and_or_b32 v3, 0x80000000, v3, v6
	v_cvt_f16_f32_e32 v6, v3
.LBB56_602:
	s_mov_b32 s43, 0
.LBB56_603:
	s_delay_alu instid0(SALU_CYCLE_1)
	s_and_not1_b32 vcc_lo, exec_lo, s43
	s_cbranch_vccnz .LBB56_605
; %bb.604:
	global_load_u8 v3, v[4:5], off
	s_wait_loadcnt 0x0
	s_wait_xcnt 0x1
	v_lshlrev_b32_e32 v6, 25, v3
	v_lshlrev_b16 v3, 8, v3
	s_delay_alu instid0(VALU_DEP_1) | instskip(SKIP_1) | instid1(VALU_DEP_2)
	v_and_or_b32 v8, 0x7f00, v3, 0.5
	v_bfe_i32 v3, v3, 0, 16
	v_dual_add_f32 v8, -0.5, v8 :: v_dual_lshrrev_b32 v7, 4, v6
	v_cmp_gt_u32_e32 vcc_lo, 0x8000000, v6
	s_delay_alu instid0(VALU_DEP_2) | instskip(NEXT) | instid1(VALU_DEP_1)
	v_or_b32_e32 v7, 0x70000000, v7
	v_mul_f32_e32 v7, 0x7800000, v7
	s_delay_alu instid0(VALU_DEP_1) | instskip(NEXT) | instid1(VALU_DEP_1)
	v_cndmask_b32_e32 v6, v7, v8, vcc_lo
	v_and_or_b32 v3, 0x80000000, v3, v6
	s_delay_alu instid0(VALU_DEP_1)
	v_cvt_f16_f32_e32 v6, v3
.LBB56_605:
	s_mov_b32 s44, 0
	s_mov_b32 s43, -1
.LBB56_606:
	s_and_not1_b32 vcc_lo, exec_lo, s44
	s_cbranch_vccnz .LBB56_619
; %bb.607:
	s_cmp_gt_i32 s42, 14
	s_cbranch_scc0 .LBB56_610
; %bb.608:
	s_cmp_eq_u32 s42, 15
	s_cbranch_scc0 .LBB56_613
; %bb.609:
	global_load_u16 v3, v[4:5], off
	s_mov_b32 s43, -1
	s_mov_b32 s25, 0
	s_wait_loadcnt 0x0
	v_lshlrev_b32_e32 v3, 16, v3
	s_wait_xcnt 0x1
	s_delay_alu instid0(VALU_DEP_1)
	v_cvt_f16_f32_e32 v6, v3
	s_branch .LBB56_614
.LBB56_610:
	s_mov_b32 s44, -1
                                        ; implicit-def: $vgpr6
	s_branch .LBB56_615
.LBB56_611:
	s_or_saveexec_b32 s44, s44
	v_mov_b32_e32 v6, 0x7e00
	s_xor_b32 exec_lo, exec_lo, s44
	s_cbranch_execz .LBB56_592
.LBB56_612:
	v_cmp_ne_u16_e32 vcc_lo, 0, v3
	v_mov_b32_e32 v6, v3
	s_and_not1_b32 s43, s43, exec_lo
	s_and_b32 s46, vcc_lo, exec_lo
	s_delay_alu instid0(SALU_CYCLE_1)
	s_or_b32 s43, s43, s46
	s_or_b32 exec_lo, exec_lo, s44
	s_and_saveexec_b32 s44, s43
	s_cbranch_execnz .LBB56_593
	s_branch .LBB56_594
.LBB56_613:
	s_mov_b32 s25, -1
                                        ; implicit-def: $vgpr6
.LBB56_614:
	s_mov_b32 s44, 0
.LBB56_615:
	s_delay_alu instid0(SALU_CYCLE_1)
	s_and_b32 vcc_lo, exec_lo, s44
	s_cbranch_vccz .LBB56_619
; %bb.616:
	s_cmp_eq_u32 s42, 11
	s_cbranch_scc0 .LBB56_618
; %bb.617:
	global_load_u8 v3, v[4:5], off
	s_mov_b32 s25, 0
	s_mov_b32 s43, -1
	s_wait_loadcnt 0x0
	v_cmp_ne_u16_e32 vcc_lo, 0, v3
	s_wait_xcnt 0x1
	v_cndmask_b32_e64 v6, 0, 0x3c00, vcc_lo
	s_branch .LBB56_619
.LBB56_618:
	s_mov_b32 s25, -1
                                        ; implicit-def: $vgpr6
.LBB56_619:
	s_mov_b32 s42, 0
.LBB56_620:
	s_delay_alu instid0(SALU_CYCLE_1)
	s_and_b32 vcc_lo, exec_lo, s42
	s_cbranch_vccz .LBB56_669
; %bb.621:
	s_and_b32 s0, 0xffff, s0
	s_delay_alu instid0(SALU_CYCLE_1)
	s_cmp_lt_i32 s0, 5
	s_cbranch_scc1 .LBB56_626
; %bb.622:
	s_cmp_lt_i32 s0, 8
	s_cbranch_scc1 .LBB56_627
; %bb.623:
	;; [unrolled: 3-line block ×3, first 2 shown]
	s_cmp_gt_i32 s0, 9
	s_cbranch_scc0 .LBB56_629
; %bb.625:
	global_load_b64 v[6:7], v[4:5], off
	s_mov_b32 s42, 0
	s_wait_loadcnt 0x0
	v_and_or_b32 v3, 0x1ff, v7, v6
	v_lshrrev_b32_e32 v6, 8, v7
	v_bfe_u32 v8, v7, 20, 11
	s_delay_alu instid0(VALU_DEP_3) | instskip(NEXT) | instid1(VALU_DEP_2)
	v_cmp_ne_u32_e32 vcc_lo, 0, v3
	v_sub_nc_u32_e32 v9, 0x3f1, v8
	v_add_nc_u32_e32 v8, 0xfffffc10, v8
	v_cndmask_b32_e64 v3, 0, 1, vcc_lo
	s_delay_alu instid0(VALU_DEP_1) | instskip(NEXT) | instid1(VALU_DEP_4)
	v_and_or_b32 v3, 0xffe, v6, v3
	v_med3_i32 v6, v9, 0, 13
	s_delay_alu instid0(VALU_DEP_2) | instskip(NEXT) | instid1(VALU_DEP_1)
	v_or_b32_e32 v9, 0x1000, v3
	v_lshrrev_b32_e32 v10, v6, v9
	s_delay_alu instid0(VALU_DEP_1) | instskip(NEXT) | instid1(VALU_DEP_1)
	v_lshlrev_b32_e32 v6, v6, v10
	v_cmp_ne_u32_e32 vcc_lo, v6, v9
	v_lshl_or_b32 v9, v8, 12, v3
	v_cndmask_b32_e64 v6, 0, 1, vcc_lo
	v_cmp_gt_i32_e32 vcc_lo, 1, v8
	s_delay_alu instid0(VALU_DEP_2) | instskip(NEXT) | instid1(VALU_DEP_1)
	v_or_b32_e32 v6, v10, v6
	v_cndmask_b32_e32 v6, v9, v6, vcc_lo
	s_delay_alu instid0(VALU_DEP_1) | instskip(NEXT) | instid1(VALU_DEP_1)
	v_dual_lshrrev_b32 v6, 2, v6 :: v_dual_bitop2_b32 v9, 7, v6 bitop3:0x40
	v_cmp_lt_i32_e32 vcc_lo, 5, v9
	v_cndmask_b32_e64 v10, 0, 1, vcc_lo
	v_cmp_eq_u32_e32 vcc_lo, 3, v9
	v_cndmask_b32_e64 v9, 0, 1, vcc_lo
	v_cmp_ne_u32_e32 vcc_lo, 0, v3
	s_delay_alu instid0(VALU_DEP_2) | instskip(SKIP_1) | instid1(VALU_DEP_1)
	v_or_b32_e32 v9, v9, v10
	v_mov_b32_e32 v10, 0x7e00
	v_dual_cndmask_b32 v3, 0x7c00, v10 :: v_dual_add_nc_u32 v6, v6, v9
	v_cmp_gt_i32_e32 vcc_lo, 31, v8
	s_delay_alu instid0(VALU_DEP_2) | instskip(SKIP_1) | instid1(VALU_DEP_2)
	v_cndmask_b32_e32 v6, 0x7c00, v6, vcc_lo
	v_cmp_eq_u32_e32 vcc_lo, 0x40f, v8
	v_cndmask_b32_e32 v3, v6, v3, vcc_lo
	v_lshrrev_b32_e32 v6, 16, v7
	s_delay_alu instid0(VALU_DEP_1)
	v_and_or_b32 v6, 0x8000, v6, v3
	s_branch .LBB56_630
.LBB56_626:
	s_mov_b32 s42, -1
                                        ; implicit-def: $vgpr6
	s_branch .LBB56_648
.LBB56_627:
	s_mov_b32 s42, -1
                                        ; implicit-def: $vgpr6
	s_branch .LBB56_636
.LBB56_628:
	s_mov_b32 s42, -1
                                        ; implicit-def: $vgpr6
	s_branch .LBB56_633
.LBB56_629:
	s_mov_b32 s42, -1
                                        ; implicit-def: $vgpr6
.LBB56_630:
	s_delay_alu instid0(SALU_CYCLE_1)
	s_and_not1_b32 vcc_lo, exec_lo, s42
	s_cbranch_vccnz .LBB56_632
; %bb.631:
	global_load_b32 v3, v[4:5], off
	s_wait_loadcnt 0x0
	s_wait_xcnt 0x1
	v_cvt_f16_f32_e32 v6, v3
.LBB56_632:
	s_mov_b32 s42, 0
.LBB56_633:
	s_delay_alu instid0(SALU_CYCLE_1)
	s_and_not1_b32 vcc_lo, exec_lo, s42
	s_cbranch_vccnz .LBB56_635
; %bb.634:
	global_load_b32 v6, v[4:5], off
.LBB56_635:
	s_mov_b32 s42, 0
.LBB56_636:
	s_delay_alu instid0(SALU_CYCLE_1)
	s_and_not1_b32 vcc_lo, exec_lo, s42
	s_cbranch_vccnz .LBB56_647
; %bb.637:
	s_cmp_lt_i32 s0, 6
	s_cbranch_scc1 .LBB56_640
; %bb.638:
	s_cmp_gt_i32 s0, 6
	s_cbranch_scc0 .LBB56_641
; %bb.639:
	s_wait_loadcnt 0x0
	global_load_b64 v[6:7], v[4:5], off
	s_mov_b32 s42, 0
	s_wait_loadcnt 0x0
	v_and_or_b32 v3, 0x1ff, v7, v6
	v_lshrrev_b32_e32 v6, 8, v7
	v_bfe_u32 v8, v7, 20, 11
	s_delay_alu instid0(VALU_DEP_3) | instskip(NEXT) | instid1(VALU_DEP_2)
	v_cmp_ne_u32_e32 vcc_lo, 0, v3
	v_sub_nc_u32_e32 v9, 0x3f1, v8
	v_add_nc_u32_e32 v8, 0xfffffc10, v8
	v_cndmask_b32_e64 v3, 0, 1, vcc_lo
	s_delay_alu instid0(VALU_DEP_1) | instskip(NEXT) | instid1(VALU_DEP_4)
	v_and_or_b32 v3, 0xffe, v6, v3
	v_med3_i32 v6, v9, 0, 13
	s_delay_alu instid0(VALU_DEP_2) | instskip(NEXT) | instid1(VALU_DEP_1)
	v_or_b32_e32 v9, 0x1000, v3
	v_lshrrev_b32_e32 v10, v6, v9
	s_delay_alu instid0(VALU_DEP_1) | instskip(NEXT) | instid1(VALU_DEP_1)
	v_lshlrev_b32_e32 v6, v6, v10
	v_cmp_ne_u32_e32 vcc_lo, v6, v9
	v_lshl_or_b32 v9, v8, 12, v3
	v_cndmask_b32_e64 v6, 0, 1, vcc_lo
	v_cmp_gt_i32_e32 vcc_lo, 1, v8
	s_delay_alu instid0(VALU_DEP_2) | instskip(NEXT) | instid1(VALU_DEP_1)
	v_or_b32_e32 v6, v10, v6
	v_cndmask_b32_e32 v6, v9, v6, vcc_lo
	s_delay_alu instid0(VALU_DEP_1) | instskip(NEXT) | instid1(VALU_DEP_1)
	v_dual_lshrrev_b32 v6, 2, v6 :: v_dual_bitop2_b32 v9, 7, v6 bitop3:0x40
	v_cmp_lt_i32_e32 vcc_lo, 5, v9
	v_cndmask_b32_e64 v10, 0, 1, vcc_lo
	v_cmp_eq_u32_e32 vcc_lo, 3, v9
	v_cndmask_b32_e64 v9, 0, 1, vcc_lo
	v_cmp_ne_u32_e32 vcc_lo, 0, v3
	s_delay_alu instid0(VALU_DEP_2) | instskip(SKIP_1) | instid1(VALU_DEP_1)
	v_or_b32_e32 v9, v9, v10
	v_mov_b32_e32 v10, 0x7e00
	v_dual_cndmask_b32 v3, 0x7c00, v10 :: v_dual_add_nc_u32 v6, v6, v9
	v_cmp_gt_i32_e32 vcc_lo, 31, v8
	s_delay_alu instid0(VALU_DEP_2) | instskip(SKIP_1) | instid1(VALU_DEP_2)
	v_cndmask_b32_e32 v6, 0x7c00, v6, vcc_lo
	v_cmp_eq_u32_e32 vcc_lo, 0x40f, v8
	v_cndmask_b32_e32 v3, v6, v3, vcc_lo
	v_lshrrev_b32_e32 v6, 16, v7
	s_delay_alu instid0(VALU_DEP_1)
	v_and_or_b32 v6, 0x8000, v6, v3
	s_branch .LBB56_642
.LBB56_640:
	s_mov_b32 s42, -1
                                        ; implicit-def: $vgpr6
	s_branch .LBB56_645
.LBB56_641:
	s_mov_b32 s42, -1
                                        ; implicit-def: $vgpr6
.LBB56_642:
	s_delay_alu instid0(SALU_CYCLE_1)
	s_and_not1_b32 vcc_lo, exec_lo, s42
	s_cbranch_vccnz .LBB56_644
; %bb.643:
	global_load_b32 v3, v[4:5], off
	s_wait_loadcnt 0x0
	s_wait_xcnt 0x1
	v_cvt_f16_f32_e32 v6, v3
.LBB56_644:
	s_mov_b32 s42, 0
.LBB56_645:
	s_delay_alu instid0(SALU_CYCLE_1)
	s_and_not1_b32 vcc_lo, exec_lo, s42
	s_cbranch_vccnz .LBB56_647
; %bb.646:
	s_wait_loadcnt 0x0
	global_load_u16 v6, v[4:5], off
.LBB56_647:
	s_mov_b32 s42, 0
.LBB56_648:
	s_delay_alu instid0(SALU_CYCLE_1)
	s_and_not1_b32 vcc_lo, exec_lo, s42
	s_cbranch_vccnz .LBB56_668
; %bb.649:
	s_cmp_lt_i32 s0, 2
	s_cbranch_scc1 .LBB56_653
; %bb.650:
	s_cmp_lt_i32 s0, 3
	s_cbranch_scc1 .LBB56_654
; %bb.651:
	s_cmp_gt_i32 s0, 3
	s_cbranch_scc0 .LBB56_655
; %bb.652:
	s_wait_loadcnt 0x0
	global_load_b64 v[6:7], v[4:5], off
	s_mov_b32 s42, 0
	s_wait_loadcnt 0x0
	v_xor_b32_e32 v3, v6, v7
	v_cls_i32_e32 v8, v7
	s_delay_alu instid0(VALU_DEP_2) | instskip(NEXT) | instid1(VALU_DEP_1)
	v_ashrrev_i32_e32 v3, 31, v3
	v_add_nc_u32_e32 v3, 32, v3
	s_delay_alu instid0(VALU_DEP_1) | instskip(NEXT) | instid1(VALU_DEP_1)
	v_add_min_u32_e64 v3, v8, -1, v3
	v_lshlrev_b64_e32 v[6:7], v3, v[6:7]
	v_sub_nc_u32_e32 v3, 32, v3
	s_delay_alu instid0(VALU_DEP_2) | instskip(NEXT) | instid1(VALU_DEP_1)
	v_min_u32_e32 v6, 1, v6
	v_or_b32_e32 v6, v7, v6
	s_delay_alu instid0(VALU_DEP_1) | instskip(NEXT) | instid1(VALU_DEP_1)
	v_cvt_f32_i32_e32 v6, v6
	v_ldexp_f32 v3, v6, v3
	s_delay_alu instid0(VALU_DEP_1)
	v_cvt_f16_f32_e32 v6, v3
	s_branch .LBB56_656
.LBB56_653:
	s_mov_b32 s42, -1
                                        ; implicit-def: $vgpr6
	s_branch .LBB56_662
.LBB56_654:
	s_mov_b32 s42, -1
                                        ; implicit-def: $vgpr6
	s_branch .LBB56_659
.LBB56_655:
	s_mov_b32 s42, -1
                                        ; implicit-def: $vgpr6
.LBB56_656:
	s_delay_alu instid0(SALU_CYCLE_1)
	s_and_not1_b32 vcc_lo, exec_lo, s42
	s_cbranch_vccnz .LBB56_658
; %bb.657:
	global_load_b32 v3, v[4:5], off
	s_wait_loadcnt 0x0
	v_cvt_f32_i32_e32 v3, v3
	s_wait_xcnt 0x1
	s_delay_alu instid0(VALU_DEP_1)
	v_cvt_f16_f32_e32 v6, v3
.LBB56_658:
	s_mov_b32 s42, 0
.LBB56_659:
	s_delay_alu instid0(SALU_CYCLE_1)
	s_and_not1_b32 vcc_lo, exec_lo, s42
	s_cbranch_vccnz .LBB56_661
; %bb.660:
	global_load_u16 v3, v[4:5], off
	s_wait_loadcnt 0x0
	s_wait_xcnt 0x1
	v_cvt_f16_i16_e32 v6, v3
.LBB56_661:
	s_mov_b32 s42, 0
.LBB56_662:
	s_delay_alu instid0(SALU_CYCLE_1)
	s_and_not1_b32 vcc_lo, exec_lo, s42
	s_cbranch_vccnz .LBB56_668
; %bb.663:
	s_cmp_gt_i32 s0, 0
	s_mov_b32 s0, 0
	s_cbranch_scc0 .LBB56_665
; %bb.664:
	global_load_i8 v3, v[4:5], off
	s_wait_loadcnt 0x0
	s_wait_xcnt 0x1
	v_cvt_f16_i16_e32 v6, v3
	s_branch .LBB56_666
.LBB56_665:
	s_mov_b32 s0, -1
                                        ; implicit-def: $vgpr6
.LBB56_666:
	s_delay_alu instid0(SALU_CYCLE_1)
	s_and_not1_b32 vcc_lo, exec_lo, s0
	s_cbranch_vccnz .LBB56_668
; %bb.667:
	global_load_u8 v3, v[4:5], off
	s_wait_loadcnt 0x0
	s_wait_xcnt 0x1
	v_cvt_f16_u16_e32 v6, v3
.LBB56_668:
	s_mov_b32 s43, -1
.LBB56_669:
	s_delay_alu instid0(SALU_CYCLE_1)
	s_and_not1_b32 vcc_lo, exec_lo, s43
	s_cbranch_vccnz .LBB56_677
; %bb.670:
	s_wait_loadcnt 0x0
	v_mul_f16_e32 v4, v1, v6
	v_cmp_lt_f16_e32 vcc_lo, 0, v1
	v_mov_b32_e32 v3, 0
	s_and_b32 s42, s31, 0xff
	s_mov_b32 s44, 0
	s_mov_b32 s43, -1
	v_cndmask_b32_e32 v1, v4, v1, vcc_lo
	v_add_nc_u64_e32 v[2:3], s[4:5], v[2:3]
	s_cmp_lt_i32 s42, 11
	s_mov_b32 s0, s38
	s_cbranch_scc1 .LBB56_678
; %bb.671:
	s_and_b32 s43, 0xffff, s42
	s_delay_alu instid0(SALU_CYCLE_1)
	s_cmp_gt_i32 s43, 25
	s_cbranch_scc0 .LBB56_743
; %bb.672:
	s_cmp_gt_i32 s43, 28
	s_cbranch_scc0 .LBB56_745
; %bb.673:
	;; [unrolled: 3-line block ×4, first 2 shown]
	s_mov_b32 s46, 0
	s_mov_b32 s0, -1
	s_cmp_eq_u32 s43, 46
	s_cbranch_scc0 .LBB56_750
; %bb.676:
	v_cvt_f32_f16_e32 v4, v1
	v_cmp_o_f16_e32 vcc_lo, v1, v1
	s_mov_b32 s44, -1
	s_mov_b32 s0, 0
	s_delay_alu instid0(VALU_DEP_2) | instskip(NEXT) | instid1(VALU_DEP_1)
	v_bfe_u32 v5, v4, 16, 1
	v_add3_u32 v4, v4, v5, 0x7fff
	s_delay_alu instid0(VALU_DEP_1) | instskip(NEXT) | instid1(VALU_DEP_1)
	v_lshrrev_b32_e32 v4, 16, v4
	v_cndmask_b32_e32 v4, 0x7fc0, v4, vcc_lo
	global_store_b32 v[2:3], v4, off
	s_branch .LBB56_750
.LBB56_677:
	s_mov_b32 s46, 0
	s_mov_b32 s0, s38
	s_branch .LBB56_718
.LBB56_678:
	s_and_b32 vcc_lo, exec_lo, s43
	s_cbranch_vccz .LBB56_819
; %bb.679:
	s_and_b32 s42, 0xffff, s42
	s_mov_b32 s43, -1
	s_cmp_lt_i32 s42, 5
	s_cbranch_scc1 .LBB56_700
; %bb.680:
	s_cmp_lt_i32 s42, 8
	s_cbranch_scc1 .LBB56_690
; %bb.681:
	;; [unrolled: 3-line block ×3, first 2 shown]
	s_cmp_gt_i32 s42, 9
	s_cbranch_scc0 .LBB56_684
; %bb.683:
	s_wait_xcnt 0x0
	v_cvt_f32_f16_e32 v4, v1
	v_mov_b32_e32 v6, 0
	s_mov_b32 s43, 0
	s_delay_alu instid0(VALU_DEP_2) | instskip(NEXT) | instid1(VALU_DEP_2)
	v_cvt_f64_f32_e32 v[4:5], v4
	v_mov_b32_e32 v7, v6
	global_store_b128 v[2:3], v[4:7], off
.LBB56_684:
	s_and_not1_b32 vcc_lo, exec_lo, s43
	s_cbranch_vccnz .LBB56_686
; %bb.685:
	s_wait_xcnt 0x0
	v_cvt_f32_f16_e32 v4, v1
	v_mov_b32_e32 v5, 0
	global_store_b64 v[2:3], v[4:5], off
.LBB56_686:
	s_mov_b32 s43, 0
.LBB56_687:
	s_delay_alu instid0(SALU_CYCLE_1)
	s_and_not1_b32 vcc_lo, exec_lo, s43
	s_cbranch_vccnz .LBB56_689
; %bb.688:
	s_wait_xcnt 0x0
	v_and_b32_e32 v4, 0xffff, v1
	global_store_b32 v[2:3], v4, off
.LBB56_689:
	s_mov_b32 s43, 0
.LBB56_690:
	s_delay_alu instid0(SALU_CYCLE_1)
	s_and_not1_b32 vcc_lo, exec_lo, s43
	s_cbranch_vccnz .LBB56_699
; %bb.691:
	s_cmp_lt_i32 s42, 6
	s_mov_b32 s43, -1
	s_cbranch_scc1 .LBB56_697
; %bb.692:
	s_cmp_gt_i32 s42, 6
	s_cbranch_scc0 .LBB56_694
; %bb.693:
	s_wait_xcnt 0x0
	v_cvt_f32_f16_e32 v4, v1
	s_mov_b32 s43, 0
	s_delay_alu instid0(VALU_DEP_1)
	v_cvt_f64_f32_e32 v[4:5], v4
	global_store_b64 v[2:3], v[4:5], off
.LBB56_694:
	s_and_not1_b32 vcc_lo, exec_lo, s43
	s_cbranch_vccnz .LBB56_696
; %bb.695:
	s_wait_xcnt 0x0
	v_cvt_f32_f16_e32 v4, v1
	global_store_b32 v[2:3], v4, off
.LBB56_696:
	s_mov_b32 s43, 0
.LBB56_697:
	s_delay_alu instid0(SALU_CYCLE_1)
	s_and_not1_b32 vcc_lo, exec_lo, s43
	s_cbranch_vccnz .LBB56_699
; %bb.698:
	global_store_b16 v[2:3], v1, off
.LBB56_699:
	s_mov_b32 s43, 0
.LBB56_700:
	s_delay_alu instid0(SALU_CYCLE_1)
	s_and_not1_b32 vcc_lo, exec_lo, s43
	s_cbranch_vccnz .LBB56_716
; %bb.701:
	s_cmp_lt_i32 s42, 2
	s_mov_b32 s43, -1
	s_cbranch_scc1 .LBB56_711
; %bb.702:
	s_cmp_lt_i32 s42, 3
	s_cbranch_scc1 .LBB56_708
; %bb.703:
	s_cmp_gt_i32 s42, 3
	s_cbranch_scc0 .LBB56_705
; %bb.704:
	s_wait_xcnt 0x0
	v_cvt_f32_f16_e32 v4, v1
	s_mov_b32 s43, 0
	s_delay_alu instid0(VALU_DEP_1) | instskip(NEXT) | instid1(VALU_DEP_1)
	v_cvt_i32_f32_e32 v4, v4
	v_ashrrev_i32_e32 v5, 31, v4
	global_store_b64 v[2:3], v[4:5], off
.LBB56_705:
	s_and_not1_b32 vcc_lo, exec_lo, s43
	s_cbranch_vccnz .LBB56_707
; %bb.706:
	s_wait_xcnt 0x0
	v_cvt_f32_f16_e32 v4, v1
	s_delay_alu instid0(VALU_DEP_1)
	v_cvt_i32_f32_e32 v4, v4
	global_store_b32 v[2:3], v4, off
.LBB56_707:
	s_mov_b32 s43, 0
.LBB56_708:
	s_delay_alu instid0(SALU_CYCLE_1)
	s_and_not1_b32 vcc_lo, exec_lo, s43
	s_cbranch_vccnz .LBB56_710
; %bb.709:
	s_wait_xcnt 0x0
	v_cvt_i16_f16_e32 v4, v1
	global_store_b16 v[2:3], v4, off
.LBB56_710:
	s_mov_b32 s43, 0
.LBB56_711:
	s_delay_alu instid0(SALU_CYCLE_1)
	s_and_not1_b32 vcc_lo, exec_lo, s43
	s_cbranch_vccnz .LBB56_716
; %bb.712:
	s_cmp_gt_i32 s42, 0
	s_mov_b32 s42, -1
	s_cbranch_scc0 .LBB56_714
; %bb.713:
	s_wait_xcnt 0x0
	v_cvt_i16_f16_e32 v4, v1
	s_mov_b32 s42, 0
	global_store_b8 v[2:3], v4, off
.LBB56_714:
	s_and_not1_b32 vcc_lo, exec_lo, s42
	s_cbranch_vccnz .LBB56_716
; %bb.715:
	s_wait_xcnt 0x0
	v_cvt_f32_f16_e32 v1, v1
	s_delay_alu instid0(VALU_DEP_1)
	v_cvt_i32_f32_e32 v1, v1
	global_store_b8 v[2:3], v1, off
.LBB56_716:
	s_branch .LBB56_820
.LBB56_717:
	s_mov_b32 s46, 0
.LBB56_718:
                                        ; implicit-def: $vgpr0
.LBB56_719:
	s_and_not1_b32 s42, s38, exec_lo
	s_and_b32 s0, s0, exec_lo
	s_and_b32 s25, s25, exec_lo
	s_or_b32 s43, s42, s0
	s_and_not1_b32 s0, s39, exec_lo
	s_and_not1_b32 s42, s40, exec_lo
	s_and_b32 s24, s24, exec_lo
	s_or_b32 s44, s0, s25
	s_or_b32 s42, s42, s24
	s_or_not1_b32 s47, s46, exec_lo
.LBB56_720:
	s_wait_xcnt 0x0
	s_or_b32 exec_lo, exec_lo, s45
	s_mov_b32 s25, 0
	s_mov_b32 s46, 0
	;; [unrolled: 1-line block ×3, first 2 shown]
                                        ; implicit-def: $sgpr0
                                        ; implicit-def: $vgpr6_vgpr7
                                        ; implicit-def: $vgpr4
                                        ; implicit-def: $vgpr2
                                        ; implicit-def: $vgpr8
	s_and_saveexec_b32 s45, s47
	s_cbranch_execz .LBB56_1293
; %bb.721:
	s_mov_b32 s51, -1
	s_mov_b32 s47, s42
	s_mov_b32 s49, s44
	;; [unrolled: 1-line block ×3, first 2 shown]
	s_mov_b32 s46, exec_lo
	v_cmpx_gt_i32_e64 s36, v0
	s_cbranch_execz .LBB56_1122
; %bb.722:
	s_and_not1_b32 vcc_lo, exec_lo, s29
	s_cbranch_vccnz .LBB56_728
; %bb.723:
	s_and_not1_b32 vcc_lo, exec_lo, s37
	s_cbranch_vccnz .LBB56_729
; %bb.724:
	s_wait_loadcnt 0x0
	v_dual_mov_b32 v2, 0 :: v_dual_mov_b32 v1, v0
	v_dual_mov_b32 v6, 0 :: v_dual_mov_b32 v4, 0
	s_add_co_i32 s0, s35, 1
	s_mov_b64 s[24:25], 0xffffffffffffffe8
	s_and_b32 s0, s0, 30
	s_add_nc_u64 s[24:25], s[2:3], s[24:25]
.LBB56_725:                             ; =>This Inner Loop Header: Depth=1
	s_clause 0x1
	s_load_b128 s[48:51], s[24:25], 0x1c
	s_load_b64 s[56:57], s[24:25], 0x2c
	s_add_co_i32 s0, s0, -2
	s_delay_alu instid0(SALU_CYCLE_1) | instskip(SKIP_2) | instid1(VALU_DEP_1)
	s_cmp_eq_u32 s0, 0
	s_wait_kmcnt 0x0
	v_mul_hi_u32 v3, s49, v1
	v_add_nc_u32_e32 v3, v1, v3
	s_delay_alu instid0(VALU_DEP_1) | instskip(NEXT) | instid1(VALU_DEP_1)
	v_lshrrev_b32_e32 v3, s50, v3
	v_mul_hi_u32 v5, s56, v3
	v_mul_lo_u32 v7, v3, s48
	s_clause 0x1
	s_load_b128 s[52:55], s[24:25], 0xdc
	s_load_b64 s[48:49], s[24:25], 0xec
	s_wait_xcnt 0x0
	s_add_nc_u64 s[24:25], s[24:25], 24
	s_delay_alu instid0(VALU_DEP_1) | instskip(NEXT) | instid1(VALU_DEP_1)
	v_dual_add_nc_u32 v5, v3, v5 :: v_dual_sub_nc_u32 v7, v1, v7
	v_lshrrev_b32_e32 v1, s57, v5
	s_wait_kmcnt 0x0
	s_delay_alu instid0(VALU_DEP_2) | instskip(NEXT) | instid1(VALU_DEP_2)
	v_mad_u32 v2, v7, s52, v2
	v_mul_lo_u32 v5, v1, s51
	v_mad_u32 v4, v7, s54, v4
	v_mad_u32 v6, v7, s53, v6
	s_delay_alu instid0(VALU_DEP_3) | instskip(NEXT) | instid1(VALU_DEP_1)
	v_sub_nc_u32_e32 v3, v3, v5
	v_mad_u32 v2, v3, s55, v2
	s_delay_alu instid0(VALU_DEP_4) | instskip(NEXT) | instid1(VALU_DEP_4)
	v_mad_u32 v4, v3, s49, v4
	v_mad_u32 v6, v3, s48, v6
	s_cbranch_scc0 .LBB56_725
; %bb.726:
	s_bitcmp1_b32 s35, 0
	s_cselect_b32 s0, -1, 0
	s_delay_alu instid0(SALU_CYCLE_1)
	s_and_b32 vcc_lo, exec_lo, s0
	s_cbranch_vccnz .LBB56_730
; %bb.727:
	s_clause 0x1
	s_load_b96 s[48:50], s[24:25], 0x1c
	s_load_b96 s[52:54], s[24:25], 0xdc
	s_wait_kmcnt 0x0
	v_mul_hi_u32 v3, s49, v1
	s_delay_alu instid0(VALU_DEP_1) | instskip(NEXT) | instid1(VALU_DEP_1)
	v_add_nc_u32_e32 v3, v1, v3
	v_lshrrev_b32_e32 v3, s50, v3
	s_delay_alu instid0(VALU_DEP_1) | instskip(NEXT) | instid1(VALU_DEP_1)
	v_mul_lo_u32 v3, v3, s48
	v_sub_nc_u32_e32 v1, v1, v3
	s_delay_alu instid0(VALU_DEP_1)
	v_mad_u32 v2, v1, s52, v2
	v_mad_u32 v6, v1, s53, v6
	;; [unrolled: 1-line block ×3, first 2 shown]
	s_branch .LBB56_730
.LBB56_728:
	s_mov_b32 s0, -1
                                        ; implicit-def: $vgpr4
                                        ; implicit-def: $vgpr6
                                        ; implicit-def: $vgpr2
	s_branch .LBB56_731
.LBB56_729:
	s_wait_loadcnt 0x0
	v_dual_mov_b32 v4, 0 :: v_dual_mov_b32 v6, 0
	v_mov_b32_e32 v2, 0
.LBB56_730:
	s_mov_b32 s0, 0
.LBB56_731:
	s_delay_alu instid0(SALU_CYCLE_1)
	s_and_not1_b32 vcc_lo, exec_lo, s0
	s_cbranch_vccnz .LBB56_734
; %bb.732:
	s_wait_loadcnt 0x0
	v_mov_b32_e32 v1, 0
	s_and_not1_b32 vcc_lo, exec_lo, s34
	s_delay_alu instid0(VALU_DEP_1) | instskip(NEXT) | instid1(VALU_DEP_1)
	v_mul_u64_e32 v[2:3], s[18:19], v[0:1]
	v_add_nc_u32_e32 v2, v0, v3
	s_delay_alu instid0(VALU_DEP_1) | instskip(NEXT) | instid1(VALU_DEP_1)
	v_lshrrev_b32_e32 v8, s10, v2
	v_mul_lo_u32 v2, v8, s8
	s_delay_alu instid0(VALU_DEP_1) | instskip(NEXT) | instid1(VALU_DEP_1)
	v_sub_nc_u32_e32 v3, v0, v2
	v_mul_lo_u32 v2, v3, s12
	v_mul_lo_u32 v4, v3, s14
	;; [unrolled: 1-line block ×3, first 2 shown]
	s_cbranch_vccnz .LBB56_734
; %bb.733:
	v_mov_b32_e32 v9, v1
	s_delay_alu instid0(VALU_DEP_1) | instskip(NEXT) | instid1(VALU_DEP_1)
	v_mul_u64_e32 v[10:11], s[22:23], v[8:9]
	v_add_nc_u32_e32 v1, v8, v11
	s_delay_alu instid0(VALU_DEP_1) | instskip(NEXT) | instid1(VALU_DEP_1)
	v_lshrrev_b32_e32 v1, s1, v1
	v_mul_lo_u32 v1, v1, s11
	s_delay_alu instid0(VALU_DEP_1) | instskip(NEXT) | instid1(VALU_DEP_1)
	v_sub_nc_u32_e32 v1, v8, v1
	v_mad_u32 v2, v1, s15, v2
	v_mad_u32 v6, v1, s20, v6
	v_mad_u32 v4, v1, s21, v4
.LBB56_734:
	v_mov_b32_e32 v7, 0
	s_and_b32 s0, s33, 0xff
	s_delay_alu instid0(SALU_CYCLE_1) | instskip(SKIP_1) | instid1(VALU_DEP_1)
	s_cmp_lt_i32 s0, 11
	s_wait_loadcnt 0x0
	v_add_nc_u64_e32 v[6:7], s[6:7], v[6:7]
	s_cbranch_scc1 .LBB56_741
; %bb.735:
	s_and_b32 s25, 0xffff, s0
	s_delay_alu instid0(SALU_CYCLE_1)
	s_cmp_gt_i32 s25, 25
	s_cbranch_scc0 .LBB56_742
; %bb.736:
	s_cmp_gt_i32 s25, 28
	s_cbranch_scc0 .LBB56_744
; %bb.737:
	;; [unrolled: 3-line block ×4, first 2 shown]
	s_cmp_eq_u32 s25, 46
	s_mov_b32 s48, 0
	s_cbranch_scc0 .LBB56_821
; %bb.740:
	global_load_b32 v1, v[6:7], off
	s_mov_b32 s47, -1
	s_mov_b32 s24, 0
	s_wait_loadcnt 0x0
	v_lshlrev_b32_e32 v1, 16, v1
	s_delay_alu instid0(VALU_DEP_1)
	v_cvt_f16_f32_e32 v1, v1
	s_branch .LBB56_823
.LBB56_741:
	s_mov_b32 s25, -1
	s_mov_b32 s47, 0
	s_mov_b32 s24, s42
                                        ; implicit-def: $vgpr1
	s_branch .LBB56_890
.LBB56_742:
	s_mov_b32 s48, -1
	s_mov_b32 s47, 0
	s_mov_b32 s24, s42
                                        ; implicit-def: $vgpr1
	s_branch .LBB56_854
.LBB56_743:
	s_mov_b32 s46, -1
	s_mov_b32 s0, s38
	s_branch .LBB56_777
.LBB56_744:
	s_mov_b32 s48, -1
	s_mov_b32 s47, 0
	s_mov_b32 s24, s42
                                        ; implicit-def: $vgpr1
	s_branch .LBB56_835
.LBB56_745:
	s_mov_b32 s46, -1
	s_mov_b32 s0, s38
	s_branch .LBB56_760
.LBB56_746:
	s_mov_b32 s48, -1
	s_mov_b32 s47, 0
	s_mov_b32 s24, s42
                                        ; implicit-def: $vgpr1
	s_branch .LBB56_830
.LBB56_747:
	s_mov_b32 s46, -1
	s_mov_b32 s0, s38
	s_branch .LBB56_756
.LBB56_748:
	s_mov_b32 s48, -1
	s_mov_b32 s47, 0
	s_mov_b32 s24, s42
	s_branch .LBB56_822
.LBB56_749:
	s_mov_b32 s46, -1
	s_mov_b32 s0, s38
.LBB56_750:
	s_and_b32 vcc_lo, exec_lo, s46
	s_cbranch_vccz .LBB56_755
; %bb.751:
	s_cmp_eq_u32 s43, 44
	s_mov_b32 s0, -1
	s_cbranch_scc0 .LBB56_755
; %bb.752:
	s_wait_xcnt 0x0
	v_cvt_f32_f16_e32 v4, v1
	v_mov_b32_e32 v5, 0xff
	s_mov_b32 s44, exec_lo
	s_delay_alu instid0(VALU_DEP_2) | instskip(NEXT) | instid1(VALU_DEP_1)
	v_bfe_u32 v6, v4, 23, 8
	v_cmpx_ne_u32_e32 0xff, v6
	s_cbranch_execz .LBB56_754
; %bb.753:
	v_and_b32_e32 v5, 0x400000, v4
	v_and_or_b32 v6, 0x3fffff, v4, v6
	v_lshrrev_b32_e32 v4, 23, v4
	s_delay_alu instid0(VALU_DEP_3) | instskip(NEXT) | instid1(VALU_DEP_3)
	v_cmp_ne_u32_e32 vcc_lo, 0, v5
	v_cmp_ne_u32_e64 s0, 0, v6
	s_and_b32 s0, vcc_lo, s0
	s_delay_alu instid0(SALU_CYCLE_1) | instskip(NEXT) | instid1(VALU_DEP_1)
	v_cndmask_b32_e64 v5, 0, 1, s0
	v_add_nc_u32_e32 v5, v4, v5
.LBB56_754:
	s_or_b32 exec_lo, exec_lo, s44
	s_mov_b32 s44, -1
	s_mov_b32 s0, 0
	global_store_b8 v[2:3], v5, off
.LBB56_755:
	s_mov_b32 s46, 0
.LBB56_756:
	s_delay_alu instid0(SALU_CYCLE_1)
	s_and_b32 vcc_lo, exec_lo, s46
	s_cbranch_vccz .LBB56_759
; %bb.757:
	s_cmp_eq_u32 s43, 29
	s_mov_b32 s0, -1
	s_cbranch_scc0 .LBB56_759
; %bb.758:
	s_wait_xcnt 0x0
	v_cvt_f32_f16_e32 v4, v1
	v_mov_b32_e32 v5, 0
	s_mov_b32 s44, -1
	s_mov_b32 s0, 0
	s_mov_b32 s46, 0
	v_cvt_u32_f32_e32 v4, v4
	global_store_b64 v[2:3], v[4:5], off
	s_branch .LBB56_760
.LBB56_759:
	s_mov_b32 s46, 0
.LBB56_760:
	s_delay_alu instid0(SALU_CYCLE_1)
	s_and_b32 vcc_lo, exec_lo, s46
	s_cbranch_vccz .LBB56_776
; %bb.761:
	s_cmp_lt_i32 s43, 27
	s_mov_b32 s44, -1
	s_cbranch_scc1 .LBB56_767
; %bb.762:
	s_cmp_gt_i32 s43, 27
	s_cbranch_scc0 .LBB56_764
; %bb.763:
	s_wait_xcnt 0x0
	v_cvt_f32_f16_e32 v4, v1
	s_mov_b32 s44, 0
	s_delay_alu instid0(VALU_DEP_1)
	v_cvt_u32_f32_e32 v4, v4
	global_store_b32 v[2:3], v4, off
.LBB56_764:
	s_and_not1_b32 vcc_lo, exec_lo, s44
	s_cbranch_vccnz .LBB56_766
; %bb.765:
	s_wait_xcnt 0x0
	v_cvt_u16_f16_e32 v4, v1
	global_store_b16 v[2:3], v4, off
.LBB56_766:
	s_mov_b32 s44, 0
.LBB56_767:
	s_delay_alu instid0(SALU_CYCLE_1)
	s_and_not1_b32 vcc_lo, exec_lo, s44
	s_cbranch_vccnz .LBB56_775
; %bb.768:
	s_wait_xcnt 0x0
	v_cvt_f32_f16_e32 v4, v1
	v_mov_b32_e32 v6, 0x80
	s_mov_b32 s44, exec_lo
	s_delay_alu instid0(VALU_DEP_2) | instskip(NEXT) | instid1(VALU_DEP_1)
	v_and_b32_e32 v5, 0x7fffffff, v4
	v_cmpx_gt_u32_e32 0x43800000, v5
	s_cbranch_execz .LBB56_774
; %bb.769:
	v_cmp_lt_u32_e32 vcc_lo, 0x3bffffff, v5
	s_mov_b32 s46, 0
                                        ; implicit-def: $vgpr5
	s_and_saveexec_b32 s47, vcc_lo
	s_delay_alu instid0(SALU_CYCLE_1)
	s_xor_b32 s47, exec_lo, s47
	s_cbranch_execz .LBB56_826
; %bb.770:
	v_bfe_u32 v5, v4, 20, 1
	s_mov_b32 s46, exec_lo
	s_delay_alu instid0(VALU_DEP_1) | instskip(NEXT) | instid1(VALU_DEP_1)
	v_add3_u32 v5, v4, v5, 0x487ffff
	v_lshrrev_b32_e32 v5, 20, v5
	s_and_not1_saveexec_b32 s47, s47
	s_cbranch_execnz .LBB56_827
.LBB56_771:
	s_or_b32 exec_lo, exec_lo, s47
	v_mov_b32_e32 v6, 0
	s_and_saveexec_b32 s47, s46
.LBB56_772:
	v_lshrrev_b32_e32 v4, 24, v4
	s_delay_alu instid0(VALU_DEP_1)
	v_and_or_b32 v6, 0x80, v4, v5
.LBB56_773:
	s_or_b32 exec_lo, exec_lo, s47
.LBB56_774:
	s_delay_alu instid0(SALU_CYCLE_1)
	s_or_b32 exec_lo, exec_lo, s44
	global_store_b8 v[2:3], v6, off
.LBB56_775:
	s_mov_b32 s44, -1
.LBB56_776:
	s_mov_b32 s46, 0
.LBB56_777:
	s_delay_alu instid0(SALU_CYCLE_1)
	s_and_b32 vcc_lo, exec_lo, s46
	s_cbranch_vccz .LBB56_818
; %bb.778:
	s_cmp_gt_i32 s43, 22
	s_mov_b32 s46, -1
	s_cbranch_scc0 .LBB56_810
; %bb.779:
	s_cmp_lt_i32 s43, 24
	s_mov_b32 s44, -1
	s_cbranch_scc1 .LBB56_799
; %bb.780:
	s_cmp_gt_i32 s43, 24
	s_cbranch_scc0 .LBB56_788
; %bb.781:
	s_wait_xcnt 0x0
	v_cvt_f32_f16_e32 v4, v1
	v_mov_b32_e32 v6, 0x80
	s_mov_b32 s44, exec_lo
	s_delay_alu instid0(VALU_DEP_2) | instskip(NEXT) | instid1(VALU_DEP_1)
	v_and_b32_e32 v5, 0x7fffffff, v4
	v_cmpx_gt_u32_e32 0x47800000, v5
	s_cbranch_execz .LBB56_787
; %bb.782:
	v_cmp_lt_u32_e32 vcc_lo, 0x37ffffff, v5
	s_mov_b32 s46, 0
                                        ; implicit-def: $vgpr5
	s_and_saveexec_b32 s47, vcc_lo
	s_delay_alu instid0(SALU_CYCLE_1)
	s_xor_b32 s47, exec_lo, s47
	s_cbranch_execz .LBB56_953
; %bb.783:
	v_bfe_u32 v5, v4, 21, 1
	s_mov_b32 s46, exec_lo
	s_delay_alu instid0(VALU_DEP_1) | instskip(NEXT) | instid1(VALU_DEP_1)
	v_add3_u32 v5, v4, v5, 0x88fffff
	v_lshrrev_b32_e32 v5, 21, v5
	s_and_not1_saveexec_b32 s47, s47
	s_cbranch_execnz .LBB56_954
.LBB56_784:
	s_or_b32 exec_lo, exec_lo, s47
	v_mov_b32_e32 v6, 0
	s_and_saveexec_b32 s47, s46
.LBB56_785:
	v_lshrrev_b32_e32 v4, 24, v4
	s_delay_alu instid0(VALU_DEP_1)
	v_and_or_b32 v6, 0x80, v4, v5
.LBB56_786:
	s_or_b32 exec_lo, exec_lo, s47
.LBB56_787:
	s_delay_alu instid0(SALU_CYCLE_1)
	s_or_b32 exec_lo, exec_lo, s44
	s_mov_b32 s44, 0
	global_store_b8 v[2:3], v6, off
.LBB56_788:
	s_and_b32 vcc_lo, exec_lo, s44
	s_cbranch_vccz .LBB56_798
; %bb.789:
	s_wait_xcnt 0x0
	v_cvt_f32_f16_e32 v4, v1
	s_mov_b32 s44, exec_lo
                                        ; implicit-def: $vgpr5
	s_delay_alu instid0(VALU_DEP_1) | instskip(NEXT) | instid1(VALU_DEP_1)
	v_and_b32_e32 v6, 0x7fffffff, v4
	v_cmpx_gt_u32_e32 0x43f00000, v6
	s_xor_b32 s44, exec_lo, s44
	s_cbranch_execz .LBB56_795
; %bb.790:
	s_mov_b32 s46, exec_lo
                                        ; implicit-def: $vgpr5
	v_cmpx_lt_u32_e32 0x3c7fffff, v6
	s_xor_b32 s46, exec_lo, s46
; %bb.791:
	v_bfe_u32 v5, v4, 20, 1
	s_delay_alu instid0(VALU_DEP_1) | instskip(NEXT) | instid1(VALU_DEP_1)
	v_add3_u32 v5, v4, v5, 0x407ffff
	v_and_b32_e32 v6, 0xff00000, v5
	v_lshrrev_b32_e32 v5, 20, v5
	s_delay_alu instid0(VALU_DEP_2) | instskip(NEXT) | instid1(VALU_DEP_2)
	v_cmp_ne_u32_e32 vcc_lo, 0x7f00000, v6
	v_cndmask_b32_e32 v5, 0x7e, v5, vcc_lo
; %bb.792:
	s_and_not1_saveexec_b32 s46, s46
; %bb.793:
	v_add_f32_e64 v5, 0x46800000, |v4|
; %bb.794:
	s_or_b32 exec_lo, exec_lo, s46
                                        ; implicit-def: $vgpr6
.LBB56_795:
	s_and_not1_saveexec_b32 s44, s44
; %bb.796:
	v_mov_b32_e32 v5, 0x7f
	v_cmp_lt_u32_e32 vcc_lo, 0x7f800000, v6
	s_delay_alu instid0(VALU_DEP_2)
	v_cndmask_b32_e32 v5, 0x7e, v5, vcc_lo
; %bb.797:
	s_or_b32 exec_lo, exec_lo, s44
	v_lshrrev_b32_e32 v4, 24, v4
	s_delay_alu instid0(VALU_DEP_1)
	v_and_or_b32 v4, 0x80, v4, v5
	global_store_b8 v[2:3], v4, off
.LBB56_798:
	s_mov_b32 s44, 0
.LBB56_799:
	s_delay_alu instid0(SALU_CYCLE_1)
	s_and_not1_b32 vcc_lo, exec_lo, s44
	s_cbranch_vccnz .LBB56_809
; %bb.800:
	s_wait_xcnt 0x0
	v_cvt_f32_f16_e32 v4, v1
	s_mov_b32 s44, exec_lo
                                        ; implicit-def: $vgpr5
	s_delay_alu instid0(VALU_DEP_1) | instskip(NEXT) | instid1(VALU_DEP_1)
	v_and_b32_e32 v6, 0x7fffffff, v4
	v_cmpx_gt_u32_e32 0x47800000, v6
	s_xor_b32 s44, exec_lo, s44
	s_cbranch_execz .LBB56_806
; %bb.801:
	s_mov_b32 s46, exec_lo
                                        ; implicit-def: $vgpr5
	v_cmpx_lt_u32_e32 0x387fffff, v6
	s_xor_b32 s46, exec_lo, s46
; %bb.802:
	v_bfe_u32 v5, v4, 21, 1
	s_delay_alu instid0(VALU_DEP_1) | instskip(NEXT) | instid1(VALU_DEP_1)
	v_add3_u32 v5, v4, v5, 0x80fffff
	v_lshrrev_b32_e32 v5, 21, v5
; %bb.803:
	s_and_not1_saveexec_b32 s46, s46
; %bb.804:
	v_add_f32_e64 v5, 0x43000000, |v4|
; %bb.805:
	s_or_b32 exec_lo, exec_lo, s46
                                        ; implicit-def: $vgpr6
.LBB56_806:
	s_and_not1_saveexec_b32 s44, s44
; %bb.807:
	v_mov_b32_e32 v5, 0x7f
	v_cmp_lt_u32_e32 vcc_lo, 0x7f800000, v6
	s_delay_alu instid0(VALU_DEP_2)
	v_cndmask_b32_e32 v5, 0x7c, v5, vcc_lo
; %bb.808:
	s_or_b32 exec_lo, exec_lo, s44
	v_lshrrev_b32_e32 v4, 24, v4
	s_delay_alu instid0(VALU_DEP_1)
	v_and_or_b32 v4, 0x80, v4, v5
	global_store_b8 v[2:3], v4, off
.LBB56_809:
	s_mov_b32 s46, 0
	s_mov_b32 s44, -1
.LBB56_810:
	s_and_not1_b32 vcc_lo, exec_lo, s46
	s_cbranch_vccnz .LBB56_818
; %bb.811:
	s_cmp_gt_i32 s43, 14
	s_mov_b32 s46, -1
	s_cbranch_scc0 .LBB56_815
; %bb.812:
	s_cmp_eq_u32 s43, 15
	s_mov_b32 s0, -1
	s_cbranch_scc0 .LBB56_814
; %bb.813:
	s_wait_xcnt 0x0
	v_cvt_f32_f16_e32 v4, v1
	v_cmp_o_f16_e32 vcc_lo, v1, v1
	s_mov_b32 s44, -1
	s_mov_b32 s0, 0
	s_delay_alu instid0(VALU_DEP_2) | instskip(NEXT) | instid1(VALU_DEP_1)
	v_bfe_u32 v5, v4, 16, 1
	v_add3_u32 v4, v4, v5, 0x7fff
	s_delay_alu instid0(VALU_DEP_1) | instskip(NEXT) | instid1(VALU_DEP_1)
	v_lshrrev_b32_e32 v4, 16, v4
	v_cndmask_b32_e32 v4, 0x7fc0, v4, vcc_lo
	global_store_b16 v[2:3], v4, off
.LBB56_814:
	s_mov_b32 s46, 0
.LBB56_815:
	s_delay_alu instid0(SALU_CYCLE_1)
	s_and_b32 vcc_lo, exec_lo, s46
	s_cbranch_vccz .LBB56_818
; %bb.816:
	s_cmp_eq_u32 s43, 11
	s_mov_b32 s0, -1
	s_cbranch_scc0 .LBB56_818
; %bb.817:
	s_wait_xcnt 0x0
	v_and_b32_e32 v4, 0x7fff, v1
	s_mov_b32 s0, 0
	s_mov_b32 s44, -1
	s_delay_alu instid0(VALU_DEP_1)
	v_cmp_ne_u16_e32 vcc_lo, 0, v4
	v_cndmask_b32_e64 v4, 0, 1, vcc_lo
	global_store_b8 v[2:3], v4, off
.LBB56_818:
.LBB56_819:
	s_and_not1_b32 vcc_lo, exec_lo, s44
	s_cbranch_vccnz .LBB56_717
.LBB56_820:
	v_add_nc_u32_e32 v0, 0x80, v0
	s_mov_b32 s46, -1
	s_branch .LBB56_719
.LBB56_821:
	s_mov_b32 s24, -1
	s_mov_b32 s47, 0
.LBB56_822:
                                        ; implicit-def: $vgpr1
.LBB56_823:
	s_and_b32 vcc_lo, exec_lo, s48
	s_cbranch_vccz .LBB56_829
; %bb.824:
	s_cmp_eq_u32 s25, 44
	s_cbranch_scc0 .LBB56_828
; %bb.825:
	global_load_u8 v1, v[6:7], off
	s_mov_b32 s24, 0
	s_mov_b32 s47, -1
	s_wait_loadcnt 0x0
	v_lshlrev_b32_e32 v3, 23, v1
	v_cmp_ne_u32_e32 vcc_lo, 0xff, v1
	s_delay_alu instid0(VALU_DEP_2) | instskip(NEXT) | instid1(VALU_DEP_1)
	v_cvt_f16_f32_e32 v3, v3
	v_cndmask_b32_e32 v3, 0x7e00, v3, vcc_lo
	v_cmp_ne_u32_e32 vcc_lo, 0, v1
	s_delay_alu instid0(VALU_DEP_2)
	v_cndmask_b32_e32 v1, 0, v3, vcc_lo
	s_branch .LBB56_829
.LBB56_826:
	s_and_not1_saveexec_b32 s47, s47
	s_cbranch_execz .LBB56_771
.LBB56_827:
	v_add_f32_e64 v5, 0x46000000, |v4|
	s_and_not1_b32 s46, s46, exec_lo
	s_delay_alu instid0(VALU_DEP_1) | instskip(NEXT) | instid1(VALU_DEP_1)
	v_and_b32_e32 v5, 0xff, v5
	v_cmp_ne_u32_e32 vcc_lo, 0, v5
	s_and_b32 s48, vcc_lo, exec_lo
	s_delay_alu instid0(SALU_CYCLE_1)
	s_or_b32 s46, s46, s48
	s_or_b32 exec_lo, exec_lo, s47
	v_mov_b32_e32 v6, 0
	s_and_saveexec_b32 s47, s46
	s_cbranch_execnz .LBB56_772
	s_branch .LBB56_773
.LBB56_828:
	s_mov_b32 s24, -1
                                        ; implicit-def: $vgpr1
.LBB56_829:
	s_mov_b32 s48, 0
.LBB56_830:
	s_delay_alu instid0(SALU_CYCLE_1)
	s_and_b32 vcc_lo, exec_lo, s48
	s_cbranch_vccz .LBB56_834
; %bb.831:
	s_cmp_eq_u32 s25, 29
	s_cbranch_scc0 .LBB56_833
; %bb.832:
	global_load_b64 v[8:9], v[6:7], off
	s_mov_b32 s47, -1
	s_mov_b32 s24, 0
	s_mov_b32 s48, 0
	s_wait_loadcnt 0x0
	v_clz_i32_u32_e32 v1, v9
	s_delay_alu instid0(VALU_DEP_1) | instskip(NEXT) | instid1(VALU_DEP_1)
	v_min_u32_e32 v1, 32, v1
	v_lshlrev_b64_e32 v[8:9], v1, v[8:9]
	v_sub_nc_u32_e32 v1, 32, v1
	s_delay_alu instid0(VALU_DEP_2) | instskip(NEXT) | instid1(VALU_DEP_1)
	v_min_u32_e32 v3, 1, v8
	v_or_b32_e32 v3, v9, v3
	s_delay_alu instid0(VALU_DEP_1) | instskip(NEXT) | instid1(VALU_DEP_1)
	v_cvt_f32_u32_e32 v3, v3
	v_ldexp_f32 v1, v3, v1
	s_delay_alu instid0(VALU_DEP_1)
	v_cvt_f16_f32_e32 v1, v1
	s_branch .LBB56_835
.LBB56_833:
	s_mov_b32 s24, -1
                                        ; implicit-def: $vgpr1
.LBB56_834:
	s_mov_b32 s48, 0
.LBB56_835:
	s_delay_alu instid0(SALU_CYCLE_1)
	s_and_b32 vcc_lo, exec_lo, s48
	s_cbranch_vccz .LBB56_853
; %bb.836:
	s_cmp_lt_i32 s25, 27
	s_cbranch_scc1 .LBB56_839
; %bb.837:
	s_cmp_gt_i32 s25, 27
	s_cbranch_scc0 .LBB56_840
; %bb.838:
	global_load_b32 v1, v[6:7], off
	s_mov_b32 s47, 0
	s_wait_loadcnt 0x0
	v_cvt_f32_u32_e32 v1, v1
	s_delay_alu instid0(VALU_DEP_1)
	v_cvt_f16_f32_e32 v1, v1
	s_branch .LBB56_841
.LBB56_839:
	s_mov_b32 s47, -1
                                        ; implicit-def: $vgpr1
	s_branch .LBB56_844
.LBB56_840:
	s_mov_b32 s47, -1
                                        ; implicit-def: $vgpr1
.LBB56_841:
	s_delay_alu instid0(SALU_CYCLE_1)
	s_and_not1_b32 vcc_lo, exec_lo, s47
	s_cbranch_vccnz .LBB56_843
; %bb.842:
	global_load_u16 v1, v[6:7], off
	s_wait_loadcnt 0x0
	v_cvt_f16_u16_e32 v1, v1
.LBB56_843:
	s_mov_b32 s47, 0
.LBB56_844:
	s_delay_alu instid0(SALU_CYCLE_1)
	s_and_not1_b32 vcc_lo, exec_lo, s47
	s_cbranch_vccnz .LBB56_852
; %bb.845:
	global_load_u8 v3, v[6:7], off
	s_mov_b32 s47, 0
	s_mov_b32 s48, exec_lo
	s_wait_loadcnt 0x0
	v_cmpx_lt_i16_e32 0x7f, v3
	s_xor_b32 s48, exec_lo, s48
	s_cbranch_execz .LBB56_866
; %bb.846:
	s_mov_b32 s47, -1
	s_mov_b32 s49, exec_lo
	v_cmpx_eq_u16_e32 0x80, v3
; %bb.847:
	s_xor_b32 s47, exec_lo, -1
; %bb.848:
	s_or_b32 exec_lo, exec_lo, s49
	s_delay_alu instid0(SALU_CYCLE_1)
	s_and_b32 s47, s47, exec_lo
	s_or_saveexec_b32 s48, s48
	v_mov_b32_e32 v1, 0x7e00
	s_xor_b32 exec_lo, exec_lo, s48
	s_cbranch_execnz .LBB56_867
.LBB56_849:
	s_or_b32 exec_lo, exec_lo, s48
	s_and_saveexec_b32 s48, s47
	s_cbranch_execz .LBB56_851
.LBB56_850:
	v_and_b32_e32 v1, 0xffff, v3
	s_delay_alu instid0(VALU_DEP_1) | instskip(SKIP_1) | instid1(VALU_DEP_2)
	v_and_b32_e32 v5, 7, v1
	v_bfe_u32 v10, v1, 3, 4
	v_clz_i32_u32_e32 v8, v5
	s_delay_alu instid0(VALU_DEP_2) | instskip(NEXT) | instid1(VALU_DEP_2)
	v_cmp_eq_u32_e32 vcc_lo, 0, v10
	v_min_u32_e32 v8, 32, v8
	s_delay_alu instid0(VALU_DEP_1) | instskip(NEXT) | instid1(VALU_DEP_1)
	v_subrev_nc_u32_e32 v9, 28, v8
	v_dual_lshlrev_b32 v1, v9, v1 :: v_dual_sub_nc_u32 v8, 29, v8
	s_delay_alu instid0(VALU_DEP_1) | instskip(NEXT) | instid1(VALU_DEP_1)
	v_dual_lshlrev_b32 v3, 24, v3 :: v_dual_bitop2_b32 v1, 7, v1 bitop3:0x40
	v_dual_cndmask_b32 v8, v10, v8 :: v_dual_cndmask_b32 v1, v5, v1
	s_delay_alu instid0(VALU_DEP_2) | instskip(NEXT) | instid1(VALU_DEP_2)
	v_and_b32_e32 v3, 0x80000000, v3
	v_lshl_add_u32 v5, v8, 23, 0x3b800000
	s_delay_alu instid0(VALU_DEP_3) | instskip(NEXT) | instid1(VALU_DEP_1)
	v_lshlrev_b32_e32 v1, 20, v1
	v_or3_b32 v1, v3, v5, v1
	s_delay_alu instid0(VALU_DEP_1)
	v_cvt_f16_f32_e32 v1, v1
.LBB56_851:
	s_or_b32 exec_lo, exec_lo, s48
.LBB56_852:
	s_mov_b32 s47, -1
.LBB56_853:
	s_mov_b32 s48, 0
.LBB56_854:
	s_delay_alu instid0(SALU_CYCLE_1)
	s_and_b32 vcc_lo, exec_lo, s48
	s_cbranch_vccz .LBB56_889
; %bb.855:
	s_cmp_gt_i32 s25, 22
	s_cbranch_scc0 .LBB56_865
; %bb.856:
	s_cmp_lt_i32 s25, 24
	s_cbranch_scc1 .LBB56_868
; %bb.857:
	s_cmp_gt_i32 s25, 24
	s_cbranch_scc0 .LBB56_869
; %bb.858:
	global_load_u8 v3, v[6:7], off
	s_mov_b32 s47, 0
	s_mov_b32 s48, exec_lo
	s_wait_loadcnt 0x0
	v_cmpx_lt_i16_e32 0x7f, v3
	s_xor_b32 s48, exec_lo, s48
	s_cbranch_execz .LBB56_881
; %bb.859:
	s_mov_b32 s47, -1
	s_mov_b32 s49, exec_lo
	v_cmpx_eq_u16_e32 0x80, v3
; %bb.860:
	s_xor_b32 s47, exec_lo, -1
; %bb.861:
	s_or_b32 exec_lo, exec_lo, s49
	s_delay_alu instid0(SALU_CYCLE_1)
	s_and_b32 s47, s47, exec_lo
	s_or_saveexec_b32 s48, s48
	v_mov_b32_e32 v1, 0x7e00
	s_xor_b32 exec_lo, exec_lo, s48
	s_cbranch_execnz .LBB56_882
.LBB56_862:
	s_or_b32 exec_lo, exec_lo, s48
	s_and_saveexec_b32 s48, s47
	s_cbranch_execz .LBB56_864
.LBB56_863:
	v_and_b32_e32 v1, 0xffff, v3
	s_delay_alu instid0(VALU_DEP_1) | instskip(SKIP_1) | instid1(VALU_DEP_2)
	v_and_b32_e32 v5, 3, v1
	v_bfe_u32 v10, v1, 2, 5
	v_clz_i32_u32_e32 v8, v5
	s_delay_alu instid0(VALU_DEP_2) | instskip(NEXT) | instid1(VALU_DEP_2)
	v_cmp_eq_u32_e32 vcc_lo, 0, v10
	v_min_u32_e32 v8, 32, v8
	s_delay_alu instid0(VALU_DEP_1) | instskip(NEXT) | instid1(VALU_DEP_1)
	v_subrev_nc_u32_e32 v9, 29, v8
	v_dual_lshlrev_b32 v1, v9, v1 :: v_dual_sub_nc_u32 v8, 30, v8
	s_delay_alu instid0(VALU_DEP_1) | instskip(NEXT) | instid1(VALU_DEP_1)
	v_dual_lshlrev_b32 v3, 24, v3 :: v_dual_bitop2_b32 v1, 3, v1 bitop3:0x40
	v_dual_cndmask_b32 v8, v10, v8 :: v_dual_cndmask_b32 v1, v5, v1
	s_delay_alu instid0(VALU_DEP_2) | instskip(NEXT) | instid1(VALU_DEP_2)
	v_and_b32_e32 v3, 0x80000000, v3
	v_lshl_add_u32 v5, v8, 23, 0x37800000
	s_delay_alu instid0(VALU_DEP_3) | instskip(NEXT) | instid1(VALU_DEP_1)
	v_lshlrev_b32_e32 v1, 21, v1
	v_or3_b32 v1, v3, v5, v1
	s_delay_alu instid0(VALU_DEP_1)
	v_cvt_f16_f32_e32 v1, v1
.LBB56_864:
	s_or_b32 exec_lo, exec_lo, s48
	s_mov_b32 s47, 0
	s_branch .LBB56_870
.LBB56_865:
	s_mov_b32 s48, -1
                                        ; implicit-def: $vgpr1
	s_branch .LBB56_876
.LBB56_866:
	s_or_saveexec_b32 s48, s48
	v_mov_b32_e32 v1, 0x7e00
	s_xor_b32 exec_lo, exec_lo, s48
	s_cbranch_execz .LBB56_849
.LBB56_867:
	v_cmp_ne_u16_e32 vcc_lo, 0, v3
	v_mov_b32_e32 v1, v3
	s_and_not1_b32 s47, s47, exec_lo
	s_and_b32 s49, vcc_lo, exec_lo
	s_delay_alu instid0(SALU_CYCLE_1)
	s_or_b32 s47, s47, s49
	s_or_b32 exec_lo, exec_lo, s48
	s_and_saveexec_b32 s48, s47
	s_cbranch_execnz .LBB56_850
	s_branch .LBB56_851
.LBB56_868:
	s_mov_b32 s47, -1
                                        ; implicit-def: $vgpr1
	s_branch .LBB56_873
.LBB56_869:
	s_mov_b32 s47, -1
                                        ; implicit-def: $vgpr1
.LBB56_870:
	s_delay_alu instid0(SALU_CYCLE_1)
	s_and_b32 vcc_lo, exec_lo, s47
	s_cbranch_vccz .LBB56_872
; %bb.871:
	global_load_u8 v1, v[6:7], off
	s_wait_loadcnt 0x0
	v_lshlrev_b32_e32 v1, 24, v1
	s_delay_alu instid0(VALU_DEP_1) | instskip(NEXT) | instid1(VALU_DEP_1)
	v_and_b32_e32 v3, 0x7f000000, v1
	v_clz_i32_u32_e32 v5, v3
	v_add_nc_u32_e32 v9, 0x1000000, v3
	v_cmp_ne_u32_e32 vcc_lo, 0, v3
	s_delay_alu instid0(VALU_DEP_3) | instskip(NEXT) | instid1(VALU_DEP_1)
	v_min_u32_e32 v5, 32, v5
	v_sub_nc_u32_e64 v5, v5, 4 clamp
	s_delay_alu instid0(VALU_DEP_1) | instskip(NEXT) | instid1(VALU_DEP_1)
	v_dual_lshlrev_b32 v8, v5, v3 :: v_dual_lshlrev_b32 v5, 23, v5
	v_lshrrev_b32_e32 v8, 4, v8
	s_delay_alu instid0(VALU_DEP_1) | instskip(SKIP_1) | instid1(VALU_DEP_2)
	v_sub_nc_u32_e32 v5, v8, v5
	v_ashrrev_i32_e32 v8, 8, v9
	v_add_nc_u32_e32 v5, 0x3c000000, v5
	s_delay_alu instid0(VALU_DEP_1) | instskip(NEXT) | instid1(VALU_DEP_1)
	v_and_or_b32 v5, 0x7f800000, v8, v5
	v_cndmask_b32_e32 v3, 0, v5, vcc_lo
	s_delay_alu instid0(VALU_DEP_1) | instskip(NEXT) | instid1(VALU_DEP_1)
	v_and_or_b32 v1, 0x80000000, v1, v3
	v_cvt_f16_f32_e32 v1, v1
.LBB56_872:
	s_mov_b32 s47, 0
.LBB56_873:
	s_delay_alu instid0(SALU_CYCLE_1)
	s_and_not1_b32 vcc_lo, exec_lo, s47
	s_cbranch_vccnz .LBB56_875
; %bb.874:
	global_load_u8 v1, v[6:7], off
	s_wait_loadcnt 0x0
	v_lshlrev_b32_e32 v3, 25, v1
	v_lshlrev_b16 v1, 8, v1
	s_delay_alu instid0(VALU_DEP_1) | instskip(SKIP_1) | instid1(VALU_DEP_2)
	v_and_or_b32 v8, 0x7f00, v1, 0.5
	v_bfe_i32 v1, v1, 0, 16
	v_dual_add_f32 v8, -0.5, v8 :: v_dual_lshrrev_b32 v5, 4, v3
	v_cmp_gt_u32_e32 vcc_lo, 0x8000000, v3
	s_delay_alu instid0(VALU_DEP_2) | instskip(NEXT) | instid1(VALU_DEP_1)
	v_or_b32_e32 v5, 0x70000000, v5
	v_mul_f32_e32 v5, 0x7800000, v5
	s_delay_alu instid0(VALU_DEP_1) | instskip(NEXT) | instid1(VALU_DEP_1)
	v_cndmask_b32_e32 v3, v5, v8, vcc_lo
	v_and_or_b32 v1, 0x80000000, v1, v3
	s_delay_alu instid0(VALU_DEP_1)
	v_cvt_f16_f32_e32 v1, v1
.LBB56_875:
	s_mov_b32 s48, 0
	s_mov_b32 s47, -1
.LBB56_876:
	s_and_not1_b32 vcc_lo, exec_lo, s48
	s_cbranch_vccnz .LBB56_889
; %bb.877:
	s_cmp_gt_i32 s25, 14
	s_cbranch_scc0 .LBB56_880
; %bb.878:
	s_cmp_eq_u32 s25, 15
	s_cbranch_scc0 .LBB56_883
; %bb.879:
	global_load_u16 v1, v[6:7], off
	s_mov_b32 s47, -1
	s_mov_b32 s24, 0
	s_wait_loadcnt 0x0
	v_lshlrev_b32_e32 v1, 16, v1
	s_delay_alu instid0(VALU_DEP_1)
	v_cvt_f16_f32_e32 v1, v1
	s_branch .LBB56_884
.LBB56_880:
	s_mov_b32 s48, -1
                                        ; implicit-def: $vgpr1
	s_branch .LBB56_885
.LBB56_881:
	s_or_saveexec_b32 s48, s48
	v_mov_b32_e32 v1, 0x7e00
	s_xor_b32 exec_lo, exec_lo, s48
	s_cbranch_execz .LBB56_862
.LBB56_882:
	v_cmp_ne_u16_e32 vcc_lo, 0, v3
	v_mov_b32_e32 v1, v3
	s_and_not1_b32 s47, s47, exec_lo
	s_and_b32 s49, vcc_lo, exec_lo
	s_delay_alu instid0(SALU_CYCLE_1)
	s_or_b32 s47, s47, s49
	s_or_b32 exec_lo, exec_lo, s48
	s_and_saveexec_b32 s48, s47
	s_cbranch_execnz .LBB56_863
	s_branch .LBB56_864
.LBB56_883:
	s_mov_b32 s24, -1
                                        ; implicit-def: $vgpr1
.LBB56_884:
	s_mov_b32 s48, 0
.LBB56_885:
	s_delay_alu instid0(SALU_CYCLE_1)
	s_and_b32 vcc_lo, exec_lo, s48
	s_cbranch_vccz .LBB56_889
; %bb.886:
	s_cmp_eq_u32 s25, 11
	s_cbranch_scc0 .LBB56_888
; %bb.887:
	global_load_u8 v1, v[6:7], off
	s_mov_b32 s24, 0
	s_mov_b32 s47, -1
	s_wait_loadcnt 0x0
	v_cmp_ne_u16_e32 vcc_lo, 0, v1
	v_cndmask_b32_e64 v1, 0, 0x3c00, vcc_lo
	s_branch .LBB56_889
.LBB56_888:
	s_mov_b32 s24, -1
                                        ; implicit-def: $vgpr1
.LBB56_889:
	s_mov_b32 s25, 0
.LBB56_890:
	s_delay_alu instid0(SALU_CYCLE_1)
	s_and_b32 vcc_lo, exec_lo, s25
	s_cbranch_vccz .LBB56_939
; %bb.891:
	s_and_b32 s0, 0xffff, s0
	s_delay_alu instid0(SALU_CYCLE_1)
	s_cmp_lt_i32 s0, 5
	s_cbranch_scc1 .LBB56_896
; %bb.892:
	s_cmp_lt_i32 s0, 8
	s_cbranch_scc1 .LBB56_897
; %bb.893:
	;; [unrolled: 3-line block ×3, first 2 shown]
	s_cmp_gt_i32 s0, 9
	s_cbranch_scc0 .LBB56_899
; %bb.895:
	global_load_b64 v[8:9], v[6:7], off
	s_mov_b32 s25, 0
	s_wait_loadcnt 0x0
	v_and_or_b32 v1, 0x1ff, v9, v8
	v_lshrrev_b32_e32 v3, 8, v9
	v_bfe_u32 v5, v9, 20, 11
	s_delay_alu instid0(VALU_DEP_3) | instskip(NEXT) | instid1(VALU_DEP_2)
	v_cmp_ne_u32_e32 vcc_lo, 0, v1
	v_sub_nc_u32_e32 v8, 0x3f1, v5
	v_add_nc_u32_e32 v5, 0xfffffc10, v5
	v_cndmask_b32_e64 v1, 0, 1, vcc_lo
	s_delay_alu instid0(VALU_DEP_1) | instskip(NEXT) | instid1(VALU_DEP_4)
	v_and_or_b32 v1, 0xffe, v3, v1
	v_med3_i32 v3, v8, 0, 13
	s_delay_alu instid0(VALU_DEP_2) | instskip(NEXT) | instid1(VALU_DEP_1)
	v_or_b32_e32 v8, 0x1000, v1
	v_lshrrev_b32_e32 v10, v3, v8
	s_delay_alu instid0(VALU_DEP_1) | instskip(NEXT) | instid1(VALU_DEP_1)
	v_lshlrev_b32_e32 v3, v3, v10
	v_cmp_ne_u32_e32 vcc_lo, v3, v8
	v_lshl_or_b32 v8, v5, 12, v1
	v_cndmask_b32_e64 v3, 0, 1, vcc_lo
	v_cmp_gt_i32_e32 vcc_lo, 1, v5
	s_delay_alu instid0(VALU_DEP_2) | instskip(NEXT) | instid1(VALU_DEP_1)
	v_or_b32_e32 v3, v10, v3
	v_cndmask_b32_e32 v3, v8, v3, vcc_lo
	s_delay_alu instid0(VALU_DEP_1) | instskip(NEXT) | instid1(VALU_DEP_1)
	v_dual_lshrrev_b32 v3, 2, v3 :: v_dual_bitop2_b32 v8, 7, v3 bitop3:0x40
	v_cmp_lt_i32_e32 vcc_lo, 5, v8
	v_cndmask_b32_e64 v10, 0, 1, vcc_lo
	v_cmp_eq_u32_e32 vcc_lo, 3, v8
	v_cndmask_b32_e64 v8, 0, 1, vcc_lo
	v_cmp_ne_u32_e32 vcc_lo, 0, v1
	s_delay_alu instid0(VALU_DEP_2) | instskip(NEXT) | instid1(VALU_DEP_1)
	v_or_b32_e32 v8, v8, v10
	v_dual_mov_b32 v10, 0x7e00 :: v_dual_add_nc_u32 v3, v3, v8
	s_delay_alu instid0(VALU_DEP_1) | instskip(SKIP_1) | instid1(VALU_DEP_3)
	v_cndmask_b32_e32 v1, 0x7c00, v10, vcc_lo
	v_cmp_gt_i32_e32 vcc_lo, 31, v5
	v_cndmask_b32_e32 v3, 0x7c00, v3, vcc_lo
	v_cmp_eq_u32_e32 vcc_lo, 0x40f, v5
	s_delay_alu instid0(VALU_DEP_2) | instskip(SKIP_1) | instid1(VALU_DEP_1)
	v_cndmask_b32_e32 v1, v3, v1, vcc_lo
	v_lshrrev_b32_e32 v3, 16, v9
	v_and_or_b32 v1, 0x8000, v3, v1
	s_branch .LBB56_900
.LBB56_896:
	s_mov_b32 s25, -1
                                        ; implicit-def: $vgpr1
	s_branch .LBB56_918
.LBB56_897:
	s_mov_b32 s25, -1
                                        ; implicit-def: $vgpr1
	s_branch .LBB56_906
.LBB56_898:
	s_mov_b32 s25, -1
                                        ; implicit-def: $vgpr1
	s_branch .LBB56_903
.LBB56_899:
	s_mov_b32 s25, -1
                                        ; implicit-def: $vgpr1
.LBB56_900:
	s_delay_alu instid0(SALU_CYCLE_1)
	s_and_not1_b32 vcc_lo, exec_lo, s25
	s_cbranch_vccnz .LBB56_902
; %bb.901:
	global_load_b32 v1, v[6:7], off
	s_wait_loadcnt 0x0
	v_cvt_f16_f32_e32 v1, v1
.LBB56_902:
	s_mov_b32 s25, 0
.LBB56_903:
	s_delay_alu instid0(SALU_CYCLE_1)
	s_and_not1_b32 vcc_lo, exec_lo, s25
	s_cbranch_vccnz .LBB56_905
; %bb.904:
	global_load_b32 v1, v[6:7], off
.LBB56_905:
	s_mov_b32 s25, 0
.LBB56_906:
	s_delay_alu instid0(SALU_CYCLE_1)
	s_and_not1_b32 vcc_lo, exec_lo, s25
	s_cbranch_vccnz .LBB56_917
; %bb.907:
	s_cmp_lt_i32 s0, 6
	s_cbranch_scc1 .LBB56_910
; %bb.908:
	s_cmp_gt_i32 s0, 6
	s_cbranch_scc0 .LBB56_911
; %bb.909:
	global_load_b64 v[8:9], v[6:7], off
	s_mov_b32 s25, 0
	s_wait_loadcnt 0x0
	v_and_or_b32 v1, 0x1ff, v9, v8
	v_lshrrev_b32_e32 v3, 8, v9
	v_bfe_u32 v5, v9, 20, 11
	s_delay_alu instid0(VALU_DEP_3) | instskip(NEXT) | instid1(VALU_DEP_2)
	v_cmp_ne_u32_e32 vcc_lo, 0, v1
	v_sub_nc_u32_e32 v8, 0x3f1, v5
	v_add_nc_u32_e32 v5, 0xfffffc10, v5
	v_cndmask_b32_e64 v1, 0, 1, vcc_lo
	s_delay_alu instid0(VALU_DEP_1) | instskip(NEXT) | instid1(VALU_DEP_4)
	v_and_or_b32 v1, 0xffe, v3, v1
	v_med3_i32 v3, v8, 0, 13
	s_delay_alu instid0(VALU_DEP_2) | instskip(NEXT) | instid1(VALU_DEP_1)
	v_or_b32_e32 v8, 0x1000, v1
	v_lshrrev_b32_e32 v10, v3, v8
	s_delay_alu instid0(VALU_DEP_1) | instskip(NEXT) | instid1(VALU_DEP_1)
	v_lshlrev_b32_e32 v3, v3, v10
	v_cmp_ne_u32_e32 vcc_lo, v3, v8
	v_lshl_or_b32 v8, v5, 12, v1
	v_cndmask_b32_e64 v3, 0, 1, vcc_lo
	v_cmp_gt_i32_e32 vcc_lo, 1, v5
	s_delay_alu instid0(VALU_DEP_2) | instskip(NEXT) | instid1(VALU_DEP_1)
	v_or_b32_e32 v3, v10, v3
	v_cndmask_b32_e32 v3, v8, v3, vcc_lo
	s_delay_alu instid0(VALU_DEP_1) | instskip(NEXT) | instid1(VALU_DEP_1)
	v_dual_lshrrev_b32 v3, 2, v3 :: v_dual_bitop2_b32 v8, 7, v3 bitop3:0x40
	v_cmp_lt_i32_e32 vcc_lo, 5, v8
	v_cndmask_b32_e64 v10, 0, 1, vcc_lo
	v_cmp_eq_u32_e32 vcc_lo, 3, v8
	v_cndmask_b32_e64 v8, 0, 1, vcc_lo
	v_cmp_ne_u32_e32 vcc_lo, 0, v1
	s_delay_alu instid0(VALU_DEP_2) | instskip(NEXT) | instid1(VALU_DEP_1)
	v_or_b32_e32 v8, v8, v10
	v_dual_mov_b32 v10, 0x7e00 :: v_dual_add_nc_u32 v3, v3, v8
	s_delay_alu instid0(VALU_DEP_1) | instskip(SKIP_1) | instid1(VALU_DEP_3)
	v_cndmask_b32_e32 v1, 0x7c00, v10, vcc_lo
	v_cmp_gt_i32_e32 vcc_lo, 31, v5
	v_cndmask_b32_e32 v3, 0x7c00, v3, vcc_lo
	v_cmp_eq_u32_e32 vcc_lo, 0x40f, v5
	s_delay_alu instid0(VALU_DEP_2) | instskip(SKIP_1) | instid1(VALU_DEP_1)
	v_cndmask_b32_e32 v1, v3, v1, vcc_lo
	v_lshrrev_b32_e32 v3, 16, v9
	v_and_or_b32 v1, 0x8000, v3, v1
	s_branch .LBB56_912
.LBB56_910:
	s_mov_b32 s25, -1
                                        ; implicit-def: $vgpr1
	s_branch .LBB56_915
.LBB56_911:
	s_mov_b32 s25, -1
                                        ; implicit-def: $vgpr1
.LBB56_912:
	s_delay_alu instid0(SALU_CYCLE_1)
	s_and_not1_b32 vcc_lo, exec_lo, s25
	s_cbranch_vccnz .LBB56_914
; %bb.913:
	s_wait_loadcnt 0x0
	global_load_b32 v1, v[6:7], off
	s_wait_loadcnt 0x0
	v_cvt_f16_f32_e32 v1, v1
.LBB56_914:
	s_mov_b32 s25, 0
.LBB56_915:
	s_delay_alu instid0(SALU_CYCLE_1)
	s_and_not1_b32 vcc_lo, exec_lo, s25
	s_cbranch_vccnz .LBB56_917
; %bb.916:
	s_wait_loadcnt 0x0
	global_load_u16 v1, v[6:7], off
.LBB56_917:
	s_mov_b32 s25, 0
.LBB56_918:
	s_delay_alu instid0(SALU_CYCLE_1)
	s_and_not1_b32 vcc_lo, exec_lo, s25
	s_cbranch_vccnz .LBB56_938
; %bb.919:
	s_cmp_lt_i32 s0, 2
	s_cbranch_scc1 .LBB56_923
; %bb.920:
	s_cmp_lt_i32 s0, 3
	s_cbranch_scc1 .LBB56_924
; %bb.921:
	s_cmp_gt_i32 s0, 3
	s_cbranch_scc0 .LBB56_925
; %bb.922:
	global_load_b64 v[8:9], v[6:7], off
	s_mov_b32 s25, 0
	s_wait_loadcnt 0x0
	v_xor_b32_e32 v1, v8, v9
	v_cls_i32_e32 v3, v9
	s_delay_alu instid0(VALU_DEP_2) | instskip(NEXT) | instid1(VALU_DEP_1)
	v_ashrrev_i32_e32 v1, 31, v1
	v_add_nc_u32_e32 v1, 32, v1
	s_delay_alu instid0(VALU_DEP_1) | instskip(NEXT) | instid1(VALU_DEP_1)
	v_add_min_u32_e64 v1, v3, -1, v1
	v_lshlrev_b64_e32 v[8:9], v1, v[8:9]
	v_sub_nc_u32_e32 v1, 32, v1
	s_delay_alu instid0(VALU_DEP_2) | instskip(NEXT) | instid1(VALU_DEP_1)
	v_min_u32_e32 v3, 1, v8
	v_or_b32_e32 v3, v9, v3
	s_delay_alu instid0(VALU_DEP_1) | instskip(NEXT) | instid1(VALU_DEP_1)
	v_cvt_f32_i32_e32 v3, v3
	v_ldexp_f32 v1, v3, v1
	s_delay_alu instid0(VALU_DEP_1)
	v_cvt_f16_f32_e32 v1, v1
	s_branch .LBB56_926
.LBB56_923:
	s_mov_b32 s25, -1
                                        ; implicit-def: $vgpr1
	s_branch .LBB56_932
.LBB56_924:
	s_mov_b32 s25, -1
                                        ; implicit-def: $vgpr1
	s_branch .LBB56_929
.LBB56_925:
	s_mov_b32 s25, -1
                                        ; implicit-def: $vgpr1
.LBB56_926:
	s_delay_alu instid0(SALU_CYCLE_1)
	s_and_not1_b32 vcc_lo, exec_lo, s25
	s_cbranch_vccnz .LBB56_928
; %bb.927:
	s_wait_loadcnt 0x0
	global_load_b32 v1, v[6:7], off
	s_wait_loadcnt 0x0
	v_cvt_f32_i32_e32 v1, v1
	s_delay_alu instid0(VALU_DEP_1)
	v_cvt_f16_f32_e32 v1, v1
.LBB56_928:
	s_mov_b32 s25, 0
.LBB56_929:
	s_delay_alu instid0(SALU_CYCLE_1)
	s_and_not1_b32 vcc_lo, exec_lo, s25
	s_cbranch_vccnz .LBB56_931
; %bb.930:
	s_wait_loadcnt 0x0
	global_load_u16 v1, v[6:7], off
	s_wait_loadcnt 0x0
	v_cvt_f16_i16_e32 v1, v1
.LBB56_931:
	s_mov_b32 s25, 0
.LBB56_932:
	s_delay_alu instid0(SALU_CYCLE_1)
	s_and_not1_b32 vcc_lo, exec_lo, s25
	s_cbranch_vccnz .LBB56_938
; %bb.933:
	s_cmp_gt_i32 s0, 0
	s_mov_b32 s0, 0
	s_cbranch_scc0 .LBB56_935
; %bb.934:
	s_wait_loadcnt 0x0
	global_load_i8 v1, v[6:7], off
	s_wait_loadcnt 0x0
	v_cvt_f16_i16_e32 v1, v1
	s_branch .LBB56_936
.LBB56_935:
	s_mov_b32 s0, -1
                                        ; implicit-def: $vgpr1
.LBB56_936:
	s_delay_alu instid0(SALU_CYCLE_1)
	s_and_not1_b32 vcc_lo, exec_lo, s0
	s_cbranch_vccnz .LBB56_938
; %bb.937:
	s_wait_loadcnt 0x0
	global_load_u8 v1, v[6:7], off
	s_wait_loadcnt 0x0
	v_cvt_f16_u16_e32 v1, v1
.LBB56_938:
	s_mov_b32 s47, -1
.LBB56_939:
	s_delay_alu instid0(SALU_CYCLE_1)
	s_and_not1_b32 vcc_lo, exec_lo, s47
	s_cbranch_vccnz .LBB56_947
; %bb.940:
	v_mov_b32_e32 v5, 0
	s_and_b32 s0, s9, 0xff
	s_delay_alu instid0(SALU_CYCLE_1) | instskip(NEXT) | instid1(VALU_DEP_1)
	s_cmp_lt_i32 s0, 11
	v_add_nc_u64_e32 v[4:5], s[16:17], v[4:5]
	s_cbranch_scc1 .LBB56_948
; %bb.941:
	s_and_b32 s47, 0xffff, s0
	s_delay_alu instid0(SALU_CYCLE_1)
	s_cmp_gt_i32 s47, 25
	s_cbranch_scc0 .LBB56_949
; %bb.942:
	s_cmp_gt_i32 s47, 28
	s_cbranch_scc0 .LBB56_950
; %bb.943:
	;; [unrolled: 3-line block ×4, first 2 shown]
	s_cmp_eq_u32 s47, 46
	s_mov_b32 s49, 0
	s_cbranch_scc0 .LBB56_955
; %bb.946:
	global_load_b32 v3, v[4:5], off
	s_mov_b32 s48, -1
	s_mov_b32 s25, 0
	s_wait_loadcnt 0x0
	v_lshlrev_b32_e32 v3, 16, v3
	s_wait_xcnt 0x1
	s_delay_alu instid0(VALU_DEP_1)
	v_cvt_f16_f32_e32 v6, v3
	s_branch .LBB56_957
.LBB56_947:
	s_mov_b32 s50, 0
	s_mov_b32 s0, s43
	;; [unrolled: 1-line block ×3, first 2 shown]
	s_branch .LBB56_1120
.LBB56_948:
	s_mov_b32 s47, -1
	s_mov_b32 s48, 0
	s_mov_b32 s25, s44
                                        ; implicit-def: $vgpr6
	s_branch .LBB56_1022
.LBB56_949:
	s_mov_b32 s49, -1
	s_mov_b32 s48, 0
	s_mov_b32 s25, s44
                                        ; implicit-def: $vgpr6
	s_branch .LBB56_986
.LBB56_950:
	s_mov_b32 s49, -1
	s_mov_b32 s48, 0
	s_mov_b32 s25, s44
                                        ; implicit-def: $vgpr6
	s_branch .LBB56_967
.LBB56_951:
	s_mov_b32 s49, -1
	s_mov_b32 s48, 0
	s_mov_b32 s25, s44
                                        ; implicit-def: $vgpr6
	s_branch .LBB56_962
.LBB56_952:
	s_mov_b32 s49, -1
	s_mov_b32 s48, 0
	s_mov_b32 s25, s44
	s_branch .LBB56_956
.LBB56_953:
	s_and_not1_saveexec_b32 s47, s47
	s_cbranch_execz .LBB56_784
.LBB56_954:
	v_add_f32_e64 v5, 0x42800000, |v4|
	s_and_not1_b32 s46, s46, exec_lo
	s_delay_alu instid0(VALU_DEP_1) | instskip(NEXT) | instid1(VALU_DEP_1)
	v_and_b32_e32 v5, 0xff, v5
	v_cmp_ne_u32_e32 vcc_lo, 0, v5
	s_and_b32 s48, vcc_lo, exec_lo
	s_delay_alu instid0(SALU_CYCLE_1)
	s_or_b32 s46, s46, s48
	s_or_b32 exec_lo, exec_lo, s47
	v_mov_b32_e32 v6, 0
	s_and_saveexec_b32 s47, s46
	s_cbranch_execnz .LBB56_785
	s_branch .LBB56_786
.LBB56_955:
	s_mov_b32 s25, -1
	s_mov_b32 s48, 0
.LBB56_956:
                                        ; implicit-def: $vgpr6
.LBB56_957:
	s_and_b32 vcc_lo, exec_lo, s49
	s_cbranch_vccz .LBB56_961
; %bb.958:
	s_cmp_eq_u32 s47, 44
	s_cbranch_scc0 .LBB56_960
; %bb.959:
	global_load_u8 v3, v[4:5], off
	s_mov_b32 s25, 0
	s_mov_b32 s48, -1
	s_wait_loadcnt 0x0
	s_wait_xcnt 0x1
	v_lshlrev_b32_e32 v6, 23, v3
	v_cmp_ne_u32_e32 vcc_lo, 0xff, v3
	s_delay_alu instid0(VALU_DEP_2) | instskip(NEXT) | instid1(VALU_DEP_1)
	v_cvt_f16_f32_e32 v6, v6
	v_cndmask_b32_e32 v6, 0x7e00, v6, vcc_lo
	v_cmp_ne_u32_e32 vcc_lo, 0, v3
	s_delay_alu instid0(VALU_DEP_2)
	v_cndmask_b32_e32 v6, 0, v6, vcc_lo
	s_branch .LBB56_961
.LBB56_960:
	s_mov_b32 s25, -1
                                        ; implicit-def: $vgpr6
.LBB56_961:
	s_mov_b32 s49, 0
.LBB56_962:
	s_delay_alu instid0(SALU_CYCLE_1)
	s_and_b32 vcc_lo, exec_lo, s49
	s_cbranch_vccz .LBB56_966
; %bb.963:
	s_cmp_eq_u32 s47, 29
	s_cbranch_scc0 .LBB56_965
; %bb.964:
	global_load_b64 v[6:7], v[4:5], off
	s_mov_b32 s48, -1
	s_mov_b32 s25, 0
	s_mov_b32 s49, 0
	s_wait_loadcnt 0x0
	v_clz_i32_u32_e32 v3, v7
	s_delay_alu instid0(VALU_DEP_1) | instskip(NEXT) | instid1(VALU_DEP_1)
	v_min_u32_e32 v3, 32, v3
	v_lshlrev_b64_e32 v[6:7], v3, v[6:7]
	v_sub_nc_u32_e32 v3, 32, v3
	s_delay_alu instid0(VALU_DEP_2) | instskip(NEXT) | instid1(VALU_DEP_1)
	v_min_u32_e32 v6, 1, v6
	v_or_b32_e32 v6, v7, v6
	s_delay_alu instid0(VALU_DEP_1) | instskip(NEXT) | instid1(VALU_DEP_1)
	v_cvt_f32_u32_e32 v6, v6
	v_ldexp_f32 v3, v6, v3
	s_delay_alu instid0(VALU_DEP_1)
	v_cvt_f16_f32_e32 v6, v3
	s_branch .LBB56_967
.LBB56_965:
	s_mov_b32 s25, -1
                                        ; implicit-def: $vgpr6
.LBB56_966:
	s_mov_b32 s49, 0
.LBB56_967:
	s_delay_alu instid0(SALU_CYCLE_1)
	s_and_b32 vcc_lo, exec_lo, s49
	s_cbranch_vccz .LBB56_985
; %bb.968:
	s_cmp_lt_i32 s47, 27
	s_cbranch_scc1 .LBB56_971
; %bb.969:
	s_cmp_gt_i32 s47, 27
	s_cbranch_scc0 .LBB56_972
; %bb.970:
	global_load_b32 v3, v[4:5], off
	s_mov_b32 s48, 0
	s_wait_loadcnt 0x0
	v_cvt_f32_u32_e32 v3, v3
	s_wait_xcnt 0x1
	s_delay_alu instid0(VALU_DEP_1)
	v_cvt_f16_f32_e32 v6, v3
	s_branch .LBB56_973
.LBB56_971:
	s_mov_b32 s48, -1
                                        ; implicit-def: $vgpr6
	s_branch .LBB56_976
.LBB56_972:
	s_mov_b32 s48, -1
                                        ; implicit-def: $vgpr6
.LBB56_973:
	s_delay_alu instid0(SALU_CYCLE_1)
	s_and_not1_b32 vcc_lo, exec_lo, s48
	s_cbranch_vccnz .LBB56_975
; %bb.974:
	global_load_u16 v3, v[4:5], off
	s_wait_loadcnt 0x0
	s_wait_xcnt 0x1
	v_cvt_f16_u16_e32 v6, v3
.LBB56_975:
	s_mov_b32 s48, 0
.LBB56_976:
	s_delay_alu instid0(SALU_CYCLE_1)
	s_and_not1_b32 vcc_lo, exec_lo, s48
	s_cbranch_vccnz .LBB56_984
; %bb.977:
	global_load_u8 v3, v[4:5], off
	s_mov_b32 s48, 0
	s_mov_b32 s49, exec_lo
	s_wait_loadcnt 0x0
	v_cmpx_lt_i16_e32 0x7f, v3
	s_xor_b32 s49, exec_lo, s49
	s_cbranch_execz .LBB56_998
; %bb.978:
	s_mov_b32 s48, -1
	s_mov_b32 s50, exec_lo
	v_cmpx_eq_u16_e32 0x80, v3
; %bb.979:
	s_xor_b32 s48, exec_lo, -1
; %bb.980:
	s_or_b32 exec_lo, exec_lo, s50
	s_delay_alu instid0(SALU_CYCLE_1)
	s_and_b32 s48, s48, exec_lo
	s_or_saveexec_b32 s49, s49
	v_mov_b32_e32 v6, 0x7e00
	s_xor_b32 exec_lo, exec_lo, s49
	s_cbranch_execnz .LBB56_999
.LBB56_981:
	s_or_b32 exec_lo, exec_lo, s49
	s_and_saveexec_b32 s49, s48
	s_cbranch_execz .LBB56_983
.LBB56_982:
	v_and_b32_e32 v6, 0xffff, v3
	s_delay_alu instid0(VALU_DEP_1) | instskip(SKIP_1) | instid1(VALU_DEP_2)
	v_and_b32_e32 v7, 7, v6
	v_bfe_u32 v10, v6, 3, 4
	v_clz_i32_u32_e32 v8, v7
	s_delay_alu instid0(VALU_DEP_2) | instskip(NEXT) | instid1(VALU_DEP_2)
	v_cmp_eq_u32_e32 vcc_lo, 0, v10
	v_min_u32_e32 v8, 32, v8
	s_delay_alu instid0(VALU_DEP_1) | instskip(NEXT) | instid1(VALU_DEP_1)
	v_subrev_nc_u32_e32 v9, 28, v8
	v_dual_lshlrev_b32 v6, v9, v6 :: v_dual_sub_nc_u32 v8, 29, v8
	s_delay_alu instid0(VALU_DEP_1) | instskip(NEXT) | instid1(VALU_DEP_1)
	v_dual_lshlrev_b32 v3, 24, v3 :: v_dual_bitop2_b32 v6, 7, v6 bitop3:0x40
	v_dual_cndmask_b32 v8, v10, v8, vcc_lo :: v_dual_cndmask_b32 v6, v7, v6, vcc_lo
	s_delay_alu instid0(VALU_DEP_2) | instskip(NEXT) | instid1(VALU_DEP_2)
	v_and_b32_e32 v3, 0x80000000, v3
	v_lshl_add_u32 v7, v8, 23, 0x3b800000
	s_delay_alu instid0(VALU_DEP_3) | instskip(NEXT) | instid1(VALU_DEP_1)
	v_lshlrev_b32_e32 v6, 20, v6
	v_or3_b32 v3, v3, v7, v6
	s_delay_alu instid0(VALU_DEP_1)
	v_cvt_f16_f32_e32 v6, v3
.LBB56_983:
	s_or_b32 exec_lo, exec_lo, s49
.LBB56_984:
	s_mov_b32 s48, -1
.LBB56_985:
	s_mov_b32 s49, 0
.LBB56_986:
	s_delay_alu instid0(SALU_CYCLE_1)
	s_and_b32 vcc_lo, exec_lo, s49
	s_cbranch_vccz .LBB56_1021
; %bb.987:
	s_cmp_gt_i32 s47, 22
	s_cbranch_scc0 .LBB56_997
; %bb.988:
	s_cmp_lt_i32 s47, 24
	s_cbranch_scc1 .LBB56_1000
; %bb.989:
	s_cmp_gt_i32 s47, 24
	s_cbranch_scc0 .LBB56_1001
; %bb.990:
	global_load_u8 v3, v[4:5], off
	s_mov_b32 s48, 0
	s_mov_b32 s49, exec_lo
	s_wait_loadcnt 0x0
	v_cmpx_lt_i16_e32 0x7f, v3
	s_xor_b32 s49, exec_lo, s49
	s_cbranch_execz .LBB56_1013
; %bb.991:
	s_mov_b32 s48, -1
	s_mov_b32 s50, exec_lo
	v_cmpx_eq_u16_e32 0x80, v3
; %bb.992:
	s_xor_b32 s48, exec_lo, -1
; %bb.993:
	s_or_b32 exec_lo, exec_lo, s50
	s_delay_alu instid0(SALU_CYCLE_1)
	s_and_b32 s48, s48, exec_lo
	s_or_saveexec_b32 s49, s49
	v_mov_b32_e32 v6, 0x7e00
	s_xor_b32 exec_lo, exec_lo, s49
	s_cbranch_execnz .LBB56_1014
.LBB56_994:
	s_or_b32 exec_lo, exec_lo, s49
	s_and_saveexec_b32 s49, s48
	s_cbranch_execz .LBB56_996
.LBB56_995:
	v_and_b32_e32 v6, 0xffff, v3
	s_delay_alu instid0(VALU_DEP_1) | instskip(SKIP_1) | instid1(VALU_DEP_2)
	v_and_b32_e32 v7, 3, v6
	v_bfe_u32 v10, v6, 2, 5
	v_clz_i32_u32_e32 v8, v7
	s_delay_alu instid0(VALU_DEP_2) | instskip(NEXT) | instid1(VALU_DEP_2)
	v_cmp_eq_u32_e32 vcc_lo, 0, v10
	v_min_u32_e32 v8, 32, v8
	s_delay_alu instid0(VALU_DEP_1) | instskip(NEXT) | instid1(VALU_DEP_1)
	v_subrev_nc_u32_e32 v9, 29, v8
	v_dual_lshlrev_b32 v6, v9, v6 :: v_dual_sub_nc_u32 v8, 30, v8
	s_delay_alu instid0(VALU_DEP_1) | instskip(NEXT) | instid1(VALU_DEP_1)
	v_dual_lshlrev_b32 v3, 24, v3 :: v_dual_bitop2_b32 v6, 3, v6 bitop3:0x40
	v_dual_cndmask_b32 v8, v10, v8, vcc_lo :: v_dual_cndmask_b32 v6, v7, v6, vcc_lo
	s_delay_alu instid0(VALU_DEP_2) | instskip(NEXT) | instid1(VALU_DEP_2)
	v_and_b32_e32 v3, 0x80000000, v3
	v_lshl_add_u32 v7, v8, 23, 0x37800000
	s_delay_alu instid0(VALU_DEP_3) | instskip(NEXT) | instid1(VALU_DEP_1)
	v_lshlrev_b32_e32 v6, 21, v6
	v_or3_b32 v3, v3, v7, v6
	s_delay_alu instid0(VALU_DEP_1)
	v_cvt_f16_f32_e32 v6, v3
.LBB56_996:
	s_or_b32 exec_lo, exec_lo, s49
	s_mov_b32 s48, 0
	s_branch .LBB56_1002
.LBB56_997:
	s_mov_b32 s49, -1
                                        ; implicit-def: $vgpr6
	s_branch .LBB56_1008
.LBB56_998:
	s_or_saveexec_b32 s49, s49
	v_mov_b32_e32 v6, 0x7e00
	s_xor_b32 exec_lo, exec_lo, s49
	s_cbranch_execz .LBB56_981
.LBB56_999:
	v_cmp_ne_u16_e32 vcc_lo, 0, v3
	v_mov_b32_e32 v6, v3
	s_and_not1_b32 s48, s48, exec_lo
	s_and_b32 s50, vcc_lo, exec_lo
	s_delay_alu instid0(SALU_CYCLE_1)
	s_or_b32 s48, s48, s50
	s_or_b32 exec_lo, exec_lo, s49
	s_and_saveexec_b32 s49, s48
	s_cbranch_execnz .LBB56_982
	s_branch .LBB56_983
.LBB56_1000:
	s_mov_b32 s48, -1
                                        ; implicit-def: $vgpr6
	s_branch .LBB56_1005
.LBB56_1001:
	s_mov_b32 s48, -1
                                        ; implicit-def: $vgpr6
.LBB56_1002:
	s_delay_alu instid0(SALU_CYCLE_1)
	s_and_b32 vcc_lo, exec_lo, s48
	s_cbranch_vccz .LBB56_1004
; %bb.1003:
	global_load_u8 v3, v[4:5], off
	s_wait_loadcnt 0x0
	v_lshlrev_b32_e32 v3, 24, v3
	s_wait_xcnt 0x1
	s_delay_alu instid0(VALU_DEP_1) | instskip(NEXT) | instid1(VALU_DEP_1)
	v_and_b32_e32 v6, 0x7f000000, v3
	v_clz_i32_u32_e32 v7, v6
	v_cmp_ne_u32_e32 vcc_lo, 0, v6
	v_add_nc_u32_e32 v9, 0x1000000, v6
	s_delay_alu instid0(VALU_DEP_3) | instskip(NEXT) | instid1(VALU_DEP_1)
	v_min_u32_e32 v7, 32, v7
	v_sub_nc_u32_e64 v7, v7, 4 clamp
	s_delay_alu instid0(VALU_DEP_1) | instskip(NEXT) | instid1(VALU_DEP_1)
	v_dual_lshlrev_b32 v8, v7, v6 :: v_dual_lshlrev_b32 v7, 23, v7
	v_lshrrev_b32_e32 v8, 4, v8
	s_delay_alu instid0(VALU_DEP_1) | instskip(NEXT) | instid1(VALU_DEP_1)
	v_dual_sub_nc_u32 v7, v8, v7 :: v_dual_ashrrev_i32 v8, 8, v9
	v_add_nc_u32_e32 v7, 0x3c000000, v7
	s_delay_alu instid0(VALU_DEP_1) | instskip(NEXT) | instid1(VALU_DEP_1)
	v_and_or_b32 v7, 0x7f800000, v8, v7
	v_cndmask_b32_e32 v6, 0, v7, vcc_lo
	s_delay_alu instid0(VALU_DEP_1) | instskip(NEXT) | instid1(VALU_DEP_1)
	v_and_or_b32 v3, 0x80000000, v3, v6
	v_cvt_f16_f32_e32 v6, v3
.LBB56_1004:
	s_mov_b32 s48, 0
.LBB56_1005:
	s_delay_alu instid0(SALU_CYCLE_1)
	s_and_not1_b32 vcc_lo, exec_lo, s48
	s_cbranch_vccnz .LBB56_1007
; %bb.1006:
	global_load_u8 v3, v[4:5], off
	s_wait_loadcnt 0x0
	s_wait_xcnt 0x1
	v_lshlrev_b32_e32 v6, 25, v3
	v_lshlrev_b16 v3, 8, v3
	s_delay_alu instid0(VALU_DEP_1) | instskip(SKIP_1) | instid1(VALU_DEP_2)
	v_and_or_b32 v8, 0x7f00, v3, 0.5
	v_bfe_i32 v3, v3, 0, 16
	v_dual_add_f32 v8, -0.5, v8 :: v_dual_lshrrev_b32 v7, 4, v6
	v_cmp_gt_u32_e32 vcc_lo, 0x8000000, v6
	s_delay_alu instid0(VALU_DEP_2) | instskip(NEXT) | instid1(VALU_DEP_1)
	v_or_b32_e32 v7, 0x70000000, v7
	v_mul_f32_e32 v7, 0x7800000, v7
	s_delay_alu instid0(VALU_DEP_1) | instskip(NEXT) | instid1(VALU_DEP_1)
	v_cndmask_b32_e32 v6, v7, v8, vcc_lo
	v_and_or_b32 v3, 0x80000000, v3, v6
	s_delay_alu instid0(VALU_DEP_1)
	v_cvt_f16_f32_e32 v6, v3
.LBB56_1007:
	s_mov_b32 s49, 0
	s_mov_b32 s48, -1
.LBB56_1008:
	s_and_not1_b32 vcc_lo, exec_lo, s49
	s_cbranch_vccnz .LBB56_1021
; %bb.1009:
	s_cmp_gt_i32 s47, 14
	s_cbranch_scc0 .LBB56_1012
; %bb.1010:
	s_cmp_eq_u32 s47, 15
	s_cbranch_scc0 .LBB56_1015
; %bb.1011:
	global_load_u16 v3, v[4:5], off
	s_mov_b32 s48, -1
	s_mov_b32 s25, 0
	s_wait_loadcnt 0x0
	v_lshlrev_b32_e32 v3, 16, v3
	s_wait_xcnt 0x1
	s_delay_alu instid0(VALU_DEP_1)
	v_cvt_f16_f32_e32 v6, v3
	s_branch .LBB56_1016
.LBB56_1012:
	s_mov_b32 s49, -1
                                        ; implicit-def: $vgpr6
	s_branch .LBB56_1017
.LBB56_1013:
	s_or_saveexec_b32 s49, s49
	v_mov_b32_e32 v6, 0x7e00
	s_xor_b32 exec_lo, exec_lo, s49
	s_cbranch_execz .LBB56_994
.LBB56_1014:
	v_cmp_ne_u16_e32 vcc_lo, 0, v3
	v_mov_b32_e32 v6, v3
	s_and_not1_b32 s48, s48, exec_lo
	s_and_b32 s50, vcc_lo, exec_lo
	s_delay_alu instid0(SALU_CYCLE_1)
	s_or_b32 s48, s48, s50
	s_or_b32 exec_lo, exec_lo, s49
	s_and_saveexec_b32 s49, s48
	s_cbranch_execnz .LBB56_995
	s_branch .LBB56_996
.LBB56_1015:
	s_mov_b32 s25, -1
                                        ; implicit-def: $vgpr6
.LBB56_1016:
	s_mov_b32 s49, 0
.LBB56_1017:
	s_delay_alu instid0(SALU_CYCLE_1)
	s_and_b32 vcc_lo, exec_lo, s49
	s_cbranch_vccz .LBB56_1021
; %bb.1018:
	s_cmp_eq_u32 s47, 11
	s_cbranch_scc0 .LBB56_1020
; %bb.1019:
	global_load_u8 v3, v[4:5], off
	s_mov_b32 s25, 0
	s_mov_b32 s48, -1
	s_wait_loadcnt 0x0
	v_cmp_ne_u16_e32 vcc_lo, 0, v3
	s_wait_xcnt 0x1
	v_cndmask_b32_e64 v6, 0, 0x3c00, vcc_lo
	s_branch .LBB56_1021
.LBB56_1020:
	s_mov_b32 s25, -1
                                        ; implicit-def: $vgpr6
.LBB56_1021:
	s_mov_b32 s47, 0
.LBB56_1022:
	s_delay_alu instid0(SALU_CYCLE_1)
	s_and_b32 vcc_lo, exec_lo, s47
	s_cbranch_vccz .LBB56_1071
; %bb.1023:
	s_and_b32 s0, 0xffff, s0
	s_delay_alu instid0(SALU_CYCLE_1)
	s_cmp_lt_i32 s0, 5
	s_cbranch_scc1 .LBB56_1028
; %bb.1024:
	s_cmp_lt_i32 s0, 8
	s_cbranch_scc1 .LBB56_1029
; %bb.1025:
	;; [unrolled: 3-line block ×3, first 2 shown]
	s_cmp_gt_i32 s0, 9
	s_cbranch_scc0 .LBB56_1031
; %bb.1027:
	global_load_b64 v[6:7], v[4:5], off
	s_mov_b32 s47, 0
	s_wait_loadcnt 0x0
	v_and_or_b32 v3, 0x1ff, v7, v6
	v_lshrrev_b32_e32 v6, 8, v7
	v_bfe_u32 v8, v7, 20, 11
	s_delay_alu instid0(VALU_DEP_3) | instskip(NEXT) | instid1(VALU_DEP_2)
	v_cmp_ne_u32_e32 vcc_lo, 0, v3
	v_sub_nc_u32_e32 v9, 0x3f1, v8
	v_add_nc_u32_e32 v8, 0xfffffc10, v8
	v_cndmask_b32_e64 v3, 0, 1, vcc_lo
	s_delay_alu instid0(VALU_DEP_1) | instskip(NEXT) | instid1(VALU_DEP_4)
	v_and_or_b32 v3, 0xffe, v6, v3
	v_med3_i32 v6, v9, 0, 13
	s_delay_alu instid0(VALU_DEP_2) | instskip(NEXT) | instid1(VALU_DEP_1)
	v_or_b32_e32 v9, 0x1000, v3
	v_lshrrev_b32_e32 v10, v6, v9
	s_delay_alu instid0(VALU_DEP_1) | instskip(NEXT) | instid1(VALU_DEP_1)
	v_lshlrev_b32_e32 v6, v6, v10
	v_cmp_ne_u32_e32 vcc_lo, v6, v9
	v_lshl_or_b32 v9, v8, 12, v3
	v_cndmask_b32_e64 v6, 0, 1, vcc_lo
	v_cmp_gt_i32_e32 vcc_lo, 1, v8
	s_delay_alu instid0(VALU_DEP_2) | instskip(NEXT) | instid1(VALU_DEP_1)
	v_or_b32_e32 v6, v10, v6
	v_cndmask_b32_e32 v6, v9, v6, vcc_lo
	s_delay_alu instid0(VALU_DEP_1) | instskip(NEXT) | instid1(VALU_DEP_1)
	v_dual_lshrrev_b32 v6, 2, v6 :: v_dual_bitop2_b32 v9, 7, v6 bitop3:0x40
	v_cmp_lt_i32_e32 vcc_lo, 5, v9
	v_cndmask_b32_e64 v10, 0, 1, vcc_lo
	v_cmp_eq_u32_e32 vcc_lo, 3, v9
	v_cndmask_b32_e64 v9, 0, 1, vcc_lo
	v_cmp_ne_u32_e32 vcc_lo, 0, v3
	s_delay_alu instid0(VALU_DEP_2) | instskip(SKIP_1) | instid1(VALU_DEP_1)
	v_or_b32_e32 v9, v9, v10
	v_mov_b32_e32 v10, 0x7e00
	v_dual_cndmask_b32 v3, 0x7c00, v10 :: v_dual_add_nc_u32 v6, v6, v9
	v_cmp_gt_i32_e32 vcc_lo, 31, v8
	s_delay_alu instid0(VALU_DEP_2) | instskip(SKIP_1) | instid1(VALU_DEP_2)
	v_cndmask_b32_e32 v6, 0x7c00, v6, vcc_lo
	v_cmp_eq_u32_e32 vcc_lo, 0x40f, v8
	v_cndmask_b32_e32 v3, v6, v3, vcc_lo
	v_lshrrev_b32_e32 v6, 16, v7
	s_delay_alu instid0(VALU_DEP_1)
	v_and_or_b32 v6, 0x8000, v6, v3
	s_branch .LBB56_1032
.LBB56_1028:
	s_mov_b32 s47, -1
                                        ; implicit-def: $vgpr6
	s_branch .LBB56_1050
.LBB56_1029:
	s_mov_b32 s47, -1
                                        ; implicit-def: $vgpr6
	s_branch .LBB56_1038
.LBB56_1030:
	s_mov_b32 s47, -1
                                        ; implicit-def: $vgpr6
	s_branch .LBB56_1035
.LBB56_1031:
	s_mov_b32 s47, -1
                                        ; implicit-def: $vgpr6
.LBB56_1032:
	s_delay_alu instid0(SALU_CYCLE_1)
	s_and_not1_b32 vcc_lo, exec_lo, s47
	s_cbranch_vccnz .LBB56_1034
; %bb.1033:
	global_load_b32 v3, v[4:5], off
	s_wait_loadcnt 0x0
	s_wait_xcnt 0x1
	v_cvt_f16_f32_e32 v6, v3
.LBB56_1034:
	s_mov_b32 s47, 0
.LBB56_1035:
	s_delay_alu instid0(SALU_CYCLE_1)
	s_and_not1_b32 vcc_lo, exec_lo, s47
	s_cbranch_vccnz .LBB56_1037
; %bb.1036:
	global_load_b32 v6, v[4:5], off
.LBB56_1037:
	s_mov_b32 s47, 0
.LBB56_1038:
	s_delay_alu instid0(SALU_CYCLE_1)
	s_and_not1_b32 vcc_lo, exec_lo, s47
	s_cbranch_vccnz .LBB56_1049
; %bb.1039:
	s_cmp_lt_i32 s0, 6
	s_cbranch_scc1 .LBB56_1042
; %bb.1040:
	s_cmp_gt_i32 s0, 6
	s_cbranch_scc0 .LBB56_1043
; %bb.1041:
	s_wait_loadcnt 0x0
	global_load_b64 v[6:7], v[4:5], off
	s_mov_b32 s47, 0
	s_wait_loadcnt 0x0
	v_and_or_b32 v3, 0x1ff, v7, v6
	v_lshrrev_b32_e32 v6, 8, v7
	v_bfe_u32 v8, v7, 20, 11
	s_delay_alu instid0(VALU_DEP_3) | instskip(NEXT) | instid1(VALU_DEP_2)
	v_cmp_ne_u32_e32 vcc_lo, 0, v3
	v_sub_nc_u32_e32 v9, 0x3f1, v8
	v_add_nc_u32_e32 v8, 0xfffffc10, v8
	v_cndmask_b32_e64 v3, 0, 1, vcc_lo
	s_delay_alu instid0(VALU_DEP_1) | instskip(NEXT) | instid1(VALU_DEP_4)
	v_and_or_b32 v3, 0xffe, v6, v3
	v_med3_i32 v6, v9, 0, 13
	s_delay_alu instid0(VALU_DEP_2) | instskip(NEXT) | instid1(VALU_DEP_1)
	v_or_b32_e32 v9, 0x1000, v3
	v_lshrrev_b32_e32 v10, v6, v9
	s_delay_alu instid0(VALU_DEP_1) | instskip(NEXT) | instid1(VALU_DEP_1)
	v_lshlrev_b32_e32 v6, v6, v10
	v_cmp_ne_u32_e32 vcc_lo, v6, v9
	v_lshl_or_b32 v9, v8, 12, v3
	v_cndmask_b32_e64 v6, 0, 1, vcc_lo
	v_cmp_gt_i32_e32 vcc_lo, 1, v8
	s_delay_alu instid0(VALU_DEP_2) | instskip(NEXT) | instid1(VALU_DEP_1)
	v_or_b32_e32 v6, v10, v6
	v_cndmask_b32_e32 v6, v9, v6, vcc_lo
	s_delay_alu instid0(VALU_DEP_1) | instskip(NEXT) | instid1(VALU_DEP_1)
	v_dual_lshrrev_b32 v6, 2, v6 :: v_dual_bitop2_b32 v9, 7, v6 bitop3:0x40
	v_cmp_lt_i32_e32 vcc_lo, 5, v9
	v_cndmask_b32_e64 v10, 0, 1, vcc_lo
	v_cmp_eq_u32_e32 vcc_lo, 3, v9
	v_cndmask_b32_e64 v9, 0, 1, vcc_lo
	v_cmp_ne_u32_e32 vcc_lo, 0, v3
	s_delay_alu instid0(VALU_DEP_2) | instskip(SKIP_1) | instid1(VALU_DEP_1)
	v_or_b32_e32 v9, v9, v10
	v_mov_b32_e32 v10, 0x7e00
	v_dual_cndmask_b32 v3, 0x7c00, v10 :: v_dual_add_nc_u32 v6, v6, v9
	v_cmp_gt_i32_e32 vcc_lo, 31, v8
	s_delay_alu instid0(VALU_DEP_2) | instskip(SKIP_1) | instid1(VALU_DEP_2)
	v_cndmask_b32_e32 v6, 0x7c00, v6, vcc_lo
	v_cmp_eq_u32_e32 vcc_lo, 0x40f, v8
	v_cndmask_b32_e32 v3, v6, v3, vcc_lo
	v_lshrrev_b32_e32 v6, 16, v7
	s_delay_alu instid0(VALU_DEP_1)
	v_and_or_b32 v6, 0x8000, v6, v3
	s_branch .LBB56_1044
.LBB56_1042:
	s_mov_b32 s47, -1
                                        ; implicit-def: $vgpr6
	s_branch .LBB56_1047
.LBB56_1043:
	s_mov_b32 s47, -1
                                        ; implicit-def: $vgpr6
.LBB56_1044:
	s_delay_alu instid0(SALU_CYCLE_1)
	s_and_not1_b32 vcc_lo, exec_lo, s47
	s_cbranch_vccnz .LBB56_1046
; %bb.1045:
	global_load_b32 v3, v[4:5], off
	s_wait_loadcnt 0x0
	s_wait_xcnt 0x1
	v_cvt_f16_f32_e32 v6, v3
.LBB56_1046:
	s_mov_b32 s47, 0
.LBB56_1047:
	s_delay_alu instid0(SALU_CYCLE_1)
	s_and_not1_b32 vcc_lo, exec_lo, s47
	s_cbranch_vccnz .LBB56_1049
; %bb.1048:
	s_wait_loadcnt 0x0
	global_load_u16 v6, v[4:5], off
.LBB56_1049:
	s_mov_b32 s47, 0
.LBB56_1050:
	s_delay_alu instid0(SALU_CYCLE_1)
	s_and_not1_b32 vcc_lo, exec_lo, s47
	s_cbranch_vccnz .LBB56_1070
; %bb.1051:
	s_cmp_lt_i32 s0, 2
	s_cbranch_scc1 .LBB56_1055
; %bb.1052:
	s_cmp_lt_i32 s0, 3
	s_cbranch_scc1 .LBB56_1056
; %bb.1053:
	s_cmp_gt_i32 s0, 3
	s_cbranch_scc0 .LBB56_1057
; %bb.1054:
	s_wait_loadcnt 0x0
	global_load_b64 v[6:7], v[4:5], off
	s_mov_b32 s47, 0
	s_wait_loadcnt 0x0
	v_xor_b32_e32 v3, v6, v7
	v_cls_i32_e32 v8, v7
	s_delay_alu instid0(VALU_DEP_2) | instskip(NEXT) | instid1(VALU_DEP_1)
	v_ashrrev_i32_e32 v3, 31, v3
	v_add_nc_u32_e32 v3, 32, v3
	s_delay_alu instid0(VALU_DEP_1) | instskip(NEXT) | instid1(VALU_DEP_1)
	v_add_min_u32_e64 v3, v8, -1, v3
	v_lshlrev_b64_e32 v[6:7], v3, v[6:7]
	v_sub_nc_u32_e32 v3, 32, v3
	s_delay_alu instid0(VALU_DEP_2) | instskip(NEXT) | instid1(VALU_DEP_1)
	v_min_u32_e32 v6, 1, v6
	v_or_b32_e32 v6, v7, v6
	s_delay_alu instid0(VALU_DEP_1) | instskip(NEXT) | instid1(VALU_DEP_1)
	v_cvt_f32_i32_e32 v6, v6
	v_ldexp_f32 v3, v6, v3
	s_delay_alu instid0(VALU_DEP_1)
	v_cvt_f16_f32_e32 v6, v3
	s_branch .LBB56_1058
.LBB56_1055:
	s_mov_b32 s47, -1
                                        ; implicit-def: $vgpr6
	s_branch .LBB56_1064
.LBB56_1056:
	s_mov_b32 s47, -1
                                        ; implicit-def: $vgpr6
	s_branch .LBB56_1061
.LBB56_1057:
	s_mov_b32 s47, -1
                                        ; implicit-def: $vgpr6
.LBB56_1058:
	s_delay_alu instid0(SALU_CYCLE_1)
	s_and_not1_b32 vcc_lo, exec_lo, s47
	s_cbranch_vccnz .LBB56_1060
; %bb.1059:
	global_load_b32 v3, v[4:5], off
	s_wait_loadcnt 0x0
	v_cvt_f32_i32_e32 v3, v3
	s_wait_xcnt 0x1
	s_delay_alu instid0(VALU_DEP_1)
	v_cvt_f16_f32_e32 v6, v3
.LBB56_1060:
	s_mov_b32 s47, 0
.LBB56_1061:
	s_delay_alu instid0(SALU_CYCLE_1)
	s_and_not1_b32 vcc_lo, exec_lo, s47
	s_cbranch_vccnz .LBB56_1063
; %bb.1062:
	global_load_u16 v3, v[4:5], off
	s_wait_loadcnt 0x0
	s_wait_xcnt 0x1
	v_cvt_f16_i16_e32 v6, v3
.LBB56_1063:
	s_mov_b32 s47, 0
.LBB56_1064:
	s_delay_alu instid0(SALU_CYCLE_1)
	s_and_not1_b32 vcc_lo, exec_lo, s47
	s_cbranch_vccnz .LBB56_1070
; %bb.1065:
	s_cmp_gt_i32 s0, 0
	s_mov_b32 s0, 0
	s_cbranch_scc0 .LBB56_1067
; %bb.1066:
	global_load_i8 v3, v[4:5], off
	s_wait_loadcnt 0x0
	s_wait_xcnt 0x1
	v_cvt_f16_i16_e32 v6, v3
	s_branch .LBB56_1068
.LBB56_1067:
	s_mov_b32 s0, -1
                                        ; implicit-def: $vgpr6
.LBB56_1068:
	s_delay_alu instid0(SALU_CYCLE_1)
	s_and_not1_b32 vcc_lo, exec_lo, s0
	s_cbranch_vccnz .LBB56_1070
; %bb.1069:
	global_load_u8 v3, v[4:5], off
	s_wait_loadcnt 0x0
	s_wait_xcnt 0x1
	v_cvt_f16_u16_e32 v6, v3
.LBB56_1070:
	s_mov_b32 s48, -1
.LBB56_1071:
	s_delay_alu instid0(SALU_CYCLE_1)
	s_and_not1_b32 vcc_lo, exec_lo, s48
	s_cbranch_vccnz .LBB56_1079
; %bb.1072:
	s_wait_loadcnt 0x0
	v_mul_f16_e32 v4, v1, v6
	v_cmp_lt_f16_e32 vcc_lo, 0, v1
	v_mov_b32_e32 v3, 0
	s_and_b32 s47, s31, 0xff
	s_mov_b32 s49, 0
	s_mov_b32 s48, -1
	v_cndmask_b32_e32 v1, v4, v1, vcc_lo
	v_add_nc_u64_e32 v[2:3], s[4:5], v[2:3]
	s_cmp_lt_i32 s47, 11
	s_mov_b32 s0, s43
	s_cbranch_scc1 .LBB56_1080
; %bb.1073:
	s_and_b32 s48, 0xffff, s47
	s_delay_alu instid0(SALU_CYCLE_1)
	s_cmp_gt_i32 s48, 25
	s_cbranch_scc0 .LBB56_1145
; %bb.1074:
	s_cmp_gt_i32 s48, 28
	s_cbranch_scc0 .LBB56_1147
; %bb.1075:
	;; [unrolled: 3-line block ×4, first 2 shown]
	s_mov_b32 s50, 0
	s_mov_b32 s0, -1
	s_cmp_eq_u32 s48, 46
	s_cbranch_scc0 .LBB56_1152
; %bb.1078:
	v_cvt_f32_f16_e32 v4, v1
	v_cmp_o_f16_e32 vcc_lo, v1, v1
	s_mov_b32 s49, -1
	s_mov_b32 s0, 0
	s_delay_alu instid0(VALU_DEP_2) | instskip(NEXT) | instid1(VALU_DEP_1)
	v_bfe_u32 v5, v4, 16, 1
	v_add3_u32 v4, v4, v5, 0x7fff
	s_delay_alu instid0(VALU_DEP_1) | instskip(NEXT) | instid1(VALU_DEP_1)
	v_lshrrev_b32_e32 v4, 16, v4
	v_cndmask_b32_e32 v4, 0x7fc0, v4, vcc_lo
	global_store_b32 v[2:3], v4, off
	s_branch .LBB56_1152
.LBB56_1079:
	s_mov_b32 s50, 0
	s_mov_b32 s0, s43
	s_branch .LBB56_1120
.LBB56_1080:
	s_and_b32 vcc_lo, exec_lo, s48
	s_cbranch_vccz .LBB56_1221
; %bb.1081:
	s_and_b32 s47, 0xffff, s47
	s_mov_b32 s48, -1
	s_cmp_lt_i32 s47, 5
	s_cbranch_scc1 .LBB56_1102
; %bb.1082:
	s_cmp_lt_i32 s47, 8
	s_cbranch_scc1 .LBB56_1092
; %bb.1083:
	;; [unrolled: 3-line block ×3, first 2 shown]
	s_cmp_gt_i32 s47, 9
	s_cbranch_scc0 .LBB56_1086
; %bb.1085:
	s_wait_xcnt 0x0
	v_cvt_f32_f16_e32 v4, v1
	v_mov_b32_e32 v6, 0
	s_mov_b32 s48, 0
	s_delay_alu instid0(VALU_DEP_2) | instskip(NEXT) | instid1(VALU_DEP_2)
	v_cvt_f64_f32_e32 v[4:5], v4
	v_mov_b32_e32 v7, v6
	global_store_b128 v[2:3], v[4:7], off
.LBB56_1086:
	s_and_not1_b32 vcc_lo, exec_lo, s48
	s_cbranch_vccnz .LBB56_1088
; %bb.1087:
	s_wait_xcnt 0x0
	v_cvt_f32_f16_e32 v4, v1
	v_mov_b32_e32 v5, 0
	global_store_b64 v[2:3], v[4:5], off
.LBB56_1088:
	s_mov_b32 s48, 0
.LBB56_1089:
	s_delay_alu instid0(SALU_CYCLE_1)
	s_and_not1_b32 vcc_lo, exec_lo, s48
	s_cbranch_vccnz .LBB56_1091
; %bb.1090:
	s_wait_xcnt 0x0
	v_and_b32_e32 v4, 0xffff, v1
	global_store_b32 v[2:3], v4, off
.LBB56_1091:
	s_mov_b32 s48, 0
.LBB56_1092:
	s_delay_alu instid0(SALU_CYCLE_1)
	s_and_not1_b32 vcc_lo, exec_lo, s48
	s_cbranch_vccnz .LBB56_1101
; %bb.1093:
	s_cmp_lt_i32 s47, 6
	s_mov_b32 s48, -1
	s_cbranch_scc1 .LBB56_1099
; %bb.1094:
	s_cmp_gt_i32 s47, 6
	s_cbranch_scc0 .LBB56_1096
; %bb.1095:
	s_wait_xcnt 0x0
	v_cvt_f32_f16_e32 v4, v1
	s_mov_b32 s48, 0
	s_delay_alu instid0(VALU_DEP_1)
	v_cvt_f64_f32_e32 v[4:5], v4
	global_store_b64 v[2:3], v[4:5], off
.LBB56_1096:
	s_and_not1_b32 vcc_lo, exec_lo, s48
	s_cbranch_vccnz .LBB56_1098
; %bb.1097:
	s_wait_xcnt 0x0
	v_cvt_f32_f16_e32 v4, v1
	global_store_b32 v[2:3], v4, off
.LBB56_1098:
	s_mov_b32 s48, 0
.LBB56_1099:
	s_delay_alu instid0(SALU_CYCLE_1)
	s_and_not1_b32 vcc_lo, exec_lo, s48
	s_cbranch_vccnz .LBB56_1101
; %bb.1100:
	global_store_b16 v[2:3], v1, off
.LBB56_1101:
	s_mov_b32 s48, 0
.LBB56_1102:
	s_delay_alu instid0(SALU_CYCLE_1)
	s_and_not1_b32 vcc_lo, exec_lo, s48
	s_cbranch_vccnz .LBB56_1118
; %bb.1103:
	s_cmp_lt_i32 s47, 2
	s_mov_b32 s48, -1
	s_cbranch_scc1 .LBB56_1113
; %bb.1104:
	s_cmp_lt_i32 s47, 3
	s_cbranch_scc1 .LBB56_1110
; %bb.1105:
	s_cmp_gt_i32 s47, 3
	s_cbranch_scc0 .LBB56_1107
; %bb.1106:
	s_wait_xcnt 0x0
	v_cvt_f32_f16_e32 v4, v1
	s_mov_b32 s48, 0
	s_delay_alu instid0(VALU_DEP_1) | instskip(NEXT) | instid1(VALU_DEP_1)
	v_cvt_i32_f32_e32 v4, v4
	v_ashrrev_i32_e32 v5, 31, v4
	global_store_b64 v[2:3], v[4:5], off
.LBB56_1107:
	s_and_not1_b32 vcc_lo, exec_lo, s48
	s_cbranch_vccnz .LBB56_1109
; %bb.1108:
	s_wait_xcnt 0x0
	v_cvt_f32_f16_e32 v4, v1
	s_delay_alu instid0(VALU_DEP_1)
	v_cvt_i32_f32_e32 v4, v4
	global_store_b32 v[2:3], v4, off
.LBB56_1109:
	s_mov_b32 s48, 0
.LBB56_1110:
	s_delay_alu instid0(SALU_CYCLE_1)
	s_and_not1_b32 vcc_lo, exec_lo, s48
	s_cbranch_vccnz .LBB56_1112
; %bb.1111:
	s_wait_xcnt 0x0
	v_cvt_i16_f16_e32 v4, v1
	global_store_b16 v[2:3], v4, off
.LBB56_1112:
	s_mov_b32 s48, 0
.LBB56_1113:
	s_delay_alu instid0(SALU_CYCLE_1)
	s_and_not1_b32 vcc_lo, exec_lo, s48
	s_cbranch_vccnz .LBB56_1118
; %bb.1114:
	s_cmp_gt_i32 s47, 0
	s_mov_b32 s47, -1
	s_cbranch_scc0 .LBB56_1116
; %bb.1115:
	s_wait_xcnt 0x0
	v_cvt_i16_f16_e32 v4, v1
	s_mov_b32 s47, 0
	global_store_b8 v[2:3], v4, off
.LBB56_1116:
	s_and_not1_b32 vcc_lo, exec_lo, s47
	s_cbranch_vccnz .LBB56_1118
; %bb.1117:
	s_wait_xcnt 0x0
	v_cvt_f32_f16_e32 v1, v1
	s_delay_alu instid0(VALU_DEP_1)
	v_cvt_i32_f32_e32 v1, v1
	global_store_b8 v[2:3], v1, off
.LBB56_1118:
	s_branch .LBB56_1222
.LBB56_1119:
	s_mov_b32 s50, 0
.LBB56_1120:
                                        ; implicit-def: $vgpr0
.LBB56_1121:
	s_and_not1_b32 s47, s43, exec_lo
	s_and_b32 s0, s0, exec_lo
	s_and_b32 s25, s25, exec_lo
	s_or_b32 s48, s47, s0
	s_and_not1_b32 s0, s44, exec_lo
	s_and_not1_b32 s47, s42, exec_lo
	s_and_b32 s24, s24, exec_lo
	s_or_b32 s49, s0, s25
	s_or_b32 s47, s47, s24
	s_or_not1_b32 s51, s50, exec_lo
.LBB56_1122:
	s_wait_xcnt 0x0
	s_or_b32 exec_lo, exec_lo, s46
	s_mov_b32 s25, 0
	s_mov_b32 s50, 0
	;; [unrolled: 1-line block ×3, first 2 shown]
                                        ; implicit-def: $sgpr0
                                        ; implicit-def: $vgpr6_vgpr7
                                        ; implicit-def: $vgpr4
                                        ; implicit-def: $vgpr2
                                        ; implicit-def: $vgpr8
	s_and_saveexec_b32 s46, s51
	s_cbranch_execz .LBB56_1292
; %bb.1123:
	v_cmp_gt_i32_e32 vcc_lo, s36, v0
	s_mov_b32 s51, s47
                                        ; implicit-def: $sgpr0
                                        ; implicit-def: $vgpr6_vgpr7
                                        ; implicit-def: $vgpr4
                                        ; implicit-def: $vgpr2
                                        ; implicit-def: $vgpr8
	s_and_saveexec_b32 s36, vcc_lo
	s_cbranch_execz .LBB56_1291
; %bb.1124:
	s_and_not1_b32 vcc_lo, exec_lo, s29
	s_cbranch_vccnz .LBB56_1130
; %bb.1125:
	s_and_not1_b32 vcc_lo, exec_lo, s37
	s_cbranch_vccnz .LBB56_1131
; %bb.1126:
	s_wait_loadcnt 0x0
	v_dual_mov_b32 v2, 0 :: v_dual_mov_b32 v1, v0
	v_dual_mov_b32 v6, 0 :: v_dual_mov_b32 v4, 0
	s_add_co_i32 s0, s35, 1
	s_mov_b64 s[24:25], 0xffffffffffffffe8
	s_and_b32 s0, s0, 30
	s_add_nc_u64 s[24:25], s[2:3], s[24:25]
.LBB56_1127:                            ; =>This Inner Loop Header: Depth=1
	s_clause 0x1
	s_load_b128 s[52:55], s[24:25], 0x1c
	s_load_b64 s[50:51], s[24:25], 0x2c
	s_add_co_i32 s0, s0, -2
	s_delay_alu instid0(SALU_CYCLE_1) | instskip(SKIP_2) | instid1(VALU_DEP_1)
	s_cmp_eq_u32 s0, 0
	s_wait_kmcnt 0x0
	v_mul_hi_u32 v3, s53, v1
	v_add_nc_u32_e32 v3, v1, v3
	s_delay_alu instid0(VALU_DEP_1) | instskip(NEXT) | instid1(VALU_DEP_1)
	v_lshrrev_b32_e32 v3, s54, v3
	v_mul_hi_u32 v5, s50, v3
	v_mul_lo_u32 v7, v3, s52
	s_clause 0x1
	s_load_b128 s[56:59], s[24:25], 0xdc
	s_load_b64 s[52:53], s[24:25], 0xec
	s_wait_xcnt 0x0
	s_add_nc_u64 s[24:25], s[24:25], 24
	s_delay_alu instid0(VALU_DEP_1) | instskip(NEXT) | instid1(VALU_DEP_1)
	v_dual_add_nc_u32 v5, v3, v5 :: v_dual_sub_nc_u32 v7, v1, v7
	v_lshrrev_b32_e32 v1, s51, v5
	s_wait_kmcnt 0x0
	s_delay_alu instid0(VALU_DEP_2) | instskip(NEXT) | instid1(VALU_DEP_2)
	v_mad_u32 v2, v7, s56, v2
	v_mul_lo_u32 v5, v1, s55
	v_mad_u32 v4, v7, s58, v4
	v_mad_u32 v6, v7, s57, v6
	s_delay_alu instid0(VALU_DEP_3) | instskip(NEXT) | instid1(VALU_DEP_1)
	v_sub_nc_u32_e32 v3, v3, v5
	v_mad_u32 v2, v3, s59, v2
	s_delay_alu instid0(VALU_DEP_4) | instskip(NEXT) | instid1(VALU_DEP_4)
	v_mad_u32 v4, v3, s53, v4
	v_mad_u32 v6, v3, s52, v6
	s_cbranch_scc0 .LBB56_1127
; %bb.1128:
	s_bitcmp1_b32 s35, 0
	s_cselect_b32 s0, -1, 0
	s_delay_alu instid0(SALU_CYCLE_1)
	s_and_b32 vcc_lo, exec_lo, s0
	s_cbranch_vccnz .LBB56_1132
; %bb.1129:
	s_clause 0x1
	s_load_b96 s[52:54], s[24:25], 0x1c
	s_load_b96 s[56:58], s[24:25], 0xdc
	s_wait_kmcnt 0x0
	v_mul_hi_u32 v3, s53, v1
	s_delay_alu instid0(VALU_DEP_1) | instskip(NEXT) | instid1(VALU_DEP_1)
	v_add_nc_u32_e32 v3, v1, v3
	v_lshrrev_b32_e32 v3, s54, v3
	s_delay_alu instid0(VALU_DEP_1) | instskip(NEXT) | instid1(VALU_DEP_1)
	v_mul_lo_u32 v3, v3, s52
	v_sub_nc_u32_e32 v1, v1, v3
	s_delay_alu instid0(VALU_DEP_1)
	v_mad_u32 v2, v1, s56, v2
	v_mad_u32 v6, v1, s57, v6
	v_mad_u32 v4, v1, s58, v4
	s_branch .LBB56_1132
.LBB56_1130:
	s_mov_b32 s0, -1
                                        ; implicit-def: $vgpr4
                                        ; implicit-def: $vgpr6
                                        ; implicit-def: $vgpr2
	s_branch .LBB56_1133
.LBB56_1131:
	s_wait_loadcnt 0x0
	v_dual_mov_b32 v4, 0 :: v_dual_mov_b32 v6, 0
	v_mov_b32_e32 v2, 0
.LBB56_1132:
	s_mov_b32 s0, 0
.LBB56_1133:
	s_delay_alu instid0(SALU_CYCLE_1)
	s_and_not1_b32 vcc_lo, exec_lo, s0
	s_cbranch_vccnz .LBB56_1136
; %bb.1134:
	s_wait_loadcnt 0x0
	v_mov_b32_e32 v1, 0
	s_and_not1_b32 vcc_lo, exec_lo, s34
	s_delay_alu instid0(VALU_DEP_1) | instskip(NEXT) | instid1(VALU_DEP_1)
	v_mul_u64_e32 v[2:3], s[18:19], v[0:1]
	v_add_nc_u32_e32 v2, v0, v3
	s_delay_alu instid0(VALU_DEP_1) | instskip(NEXT) | instid1(VALU_DEP_1)
	v_lshrrev_b32_e32 v8, s10, v2
	v_mul_lo_u32 v2, v8, s8
	s_delay_alu instid0(VALU_DEP_1) | instskip(NEXT) | instid1(VALU_DEP_1)
	v_sub_nc_u32_e32 v0, v0, v2
	v_mul_lo_u32 v2, v0, s12
	v_mul_lo_u32 v4, v0, s14
	;; [unrolled: 1-line block ×3, first 2 shown]
	s_cbranch_vccnz .LBB56_1136
; %bb.1135:
	v_mov_b32_e32 v9, v1
	s_delay_alu instid0(VALU_DEP_1) | instskip(NEXT) | instid1(VALU_DEP_1)
	v_mul_u64_e32 v[0:1], s[22:23], v[8:9]
	v_add_nc_u32_e32 v0, v8, v1
	s_delay_alu instid0(VALU_DEP_1) | instskip(NEXT) | instid1(VALU_DEP_1)
	v_lshrrev_b32_e32 v0, s1, v0
	v_mul_lo_u32 v0, v0, s11
	s_delay_alu instid0(VALU_DEP_1) | instskip(NEXT) | instid1(VALU_DEP_1)
	v_sub_nc_u32_e32 v0, v8, v0
	v_mad_u32 v2, v0, s15, v2
	v_mad_u32 v6, v0, s20, v6
	;; [unrolled: 1-line block ×3, first 2 shown]
.LBB56_1136:
	v_mov_b32_e32 v7, 0
	s_and_b32 s0, s33, 0xff
	s_delay_alu instid0(SALU_CYCLE_1) | instskip(SKIP_1) | instid1(VALU_DEP_1)
	s_cmp_lt_i32 s0, 11
	s_wait_loadcnt 0x0
	v_add_nc_u64_e32 v[6:7], s[6:7], v[6:7]
	s_cbranch_scc1 .LBB56_1143
; %bb.1137:
	s_and_b32 s1, 0xffff, s0
	s_mov_b32 s7, 0
	s_cmp_gt_i32 s1, 25
	s_cbranch_scc0 .LBB56_1144
; %bb.1138:
	s_cmp_gt_i32 s1, 28
	s_cbranch_scc0 .LBB56_1146
; %bb.1139:
	;; [unrolled: 3-line block ×4, first 2 shown]
	s_cmp_eq_u32 s1, 46
	s_mov_b32 s10, 0
	s_cbranch_scc0 .LBB56_1223
; %bb.1142:
	global_load_b32 v0, v[6:7], off
	s_mov_b32 s6, 0
	s_mov_b32 s8, -1
	s_wait_loadcnt 0x0
	v_lshlrev_b32_e32 v0, 16, v0
	s_delay_alu instid0(VALU_DEP_1)
	v_cvt_f16_f32_e32 v8, v0
	s_branch .LBB56_1225
.LBB56_1143:
	s_mov_b32 s1, -1
	s_mov_b32 s8, 0
	s_mov_b32 s7, 0
	;; [unrolled: 1-line block ×3, first 2 shown]
                                        ; implicit-def: $vgpr8
	s_branch .LBB56_1290
.LBB56_1144:
	s_mov_b32 s10, -1
	s_mov_b32 s8, 0
	s_mov_b32 s6, s47
                                        ; implicit-def: $vgpr8
	s_branch .LBB56_1256
.LBB56_1145:
	s_mov_b32 s50, -1
	s_mov_b32 s0, s43
	s_branch .LBB56_1179
.LBB56_1146:
	s_mov_b32 s10, -1
	s_mov_b32 s8, 0
	s_mov_b32 s6, s47
                                        ; implicit-def: $vgpr8
	s_branch .LBB56_1237
.LBB56_1147:
	s_mov_b32 s50, -1
	s_mov_b32 s0, s43
	s_branch .LBB56_1162
.LBB56_1148:
	s_mov_b32 s10, -1
	s_mov_b32 s8, 0
	s_mov_b32 s6, s47
                                        ; implicit-def: $vgpr8
	s_branch .LBB56_1232
.LBB56_1149:
	s_mov_b32 s50, -1
	s_mov_b32 s0, s43
	s_branch .LBB56_1158
.LBB56_1150:
	s_mov_b32 s10, -1
	s_mov_b32 s8, 0
	s_mov_b32 s6, s47
	s_branch .LBB56_1224
.LBB56_1151:
	s_mov_b32 s50, -1
	s_mov_b32 s0, s43
.LBB56_1152:
	s_and_b32 vcc_lo, exec_lo, s50
	s_cbranch_vccz .LBB56_1157
; %bb.1153:
	s_cmp_eq_u32 s48, 44
	s_mov_b32 s0, -1
	s_cbranch_scc0 .LBB56_1157
; %bb.1154:
	s_wait_xcnt 0x0
	v_cvt_f32_f16_e32 v4, v1
	v_mov_b32_e32 v5, 0xff
	s_mov_b32 s49, exec_lo
	s_delay_alu instid0(VALU_DEP_2) | instskip(NEXT) | instid1(VALU_DEP_1)
	v_bfe_u32 v6, v4, 23, 8
	v_cmpx_ne_u32_e32 0xff, v6
	s_cbranch_execz .LBB56_1156
; %bb.1155:
	v_and_b32_e32 v5, 0x400000, v4
	v_and_or_b32 v6, 0x3fffff, v4, v6
	v_lshrrev_b32_e32 v4, 23, v4
	s_delay_alu instid0(VALU_DEP_3) | instskip(NEXT) | instid1(VALU_DEP_3)
	v_cmp_ne_u32_e32 vcc_lo, 0, v5
	v_cmp_ne_u32_e64 s0, 0, v6
	s_and_b32 s0, vcc_lo, s0
	s_delay_alu instid0(SALU_CYCLE_1) | instskip(NEXT) | instid1(VALU_DEP_1)
	v_cndmask_b32_e64 v5, 0, 1, s0
	v_add_nc_u32_e32 v5, v4, v5
.LBB56_1156:
	s_or_b32 exec_lo, exec_lo, s49
	s_mov_b32 s49, -1
	s_mov_b32 s0, 0
	global_store_b8 v[2:3], v5, off
.LBB56_1157:
	s_mov_b32 s50, 0
.LBB56_1158:
	s_delay_alu instid0(SALU_CYCLE_1)
	s_and_b32 vcc_lo, exec_lo, s50
	s_cbranch_vccz .LBB56_1161
; %bb.1159:
	s_cmp_eq_u32 s48, 29
	s_mov_b32 s0, -1
	s_cbranch_scc0 .LBB56_1161
; %bb.1160:
	s_wait_xcnt 0x0
	v_cvt_f32_f16_e32 v4, v1
	v_mov_b32_e32 v5, 0
	s_mov_b32 s49, -1
	s_mov_b32 s0, 0
	s_mov_b32 s50, 0
	v_cvt_u32_f32_e32 v4, v4
	global_store_b64 v[2:3], v[4:5], off
	s_branch .LBB56_1162
.LBB56_1161:
	s_mov_b32 s50, 0
.LBB56_1162:
	s_delay_alu instid0(SALU_CYCLE_1)
	s_and_b32 vcc_lo, exec_lo, s50
	s_cbranch_vccz .LBB56_1178
; %bb.1163:
	s_cmp_lt_i32 s48, 27
	s_mov_b32 s49, -1
	s_cbranch_scc1 .LBB56_1169
; %bb.1164:
	s_cmp_gt_i32 s48, 27
	s_cbranch_scc0 .LBB56_1166
; %bb.1165:
	s_wait_xcnt 0x0
	v_cvt_f32_f16_e32 v4, v1
	s_mov_b32 s49, 0
	s_delay_alu instid0(VALU_DEP_1)
	v_cvt_u32_f32_e32 v4, v4
	global_store_b32 v[2:3], v4, off
.LBB56_1166:
	s_and_not1_b32 vcc_lo, exec_lo, s49
	s_cbranch_vccnz .LBB56_1168
; %bb.1167:
	s_wait_xcnt 0x0
	v_cvt_u16_f16_e32 v4, v1
	global_store_b16 v[2:3], v4, off
.LBB56_1168:
	s_mov_b32 s49, 0
.LBB56_1169:
	s_delay_alu instid0(SALU_CYCLE_1)
	s_and_not1_b32 vcc_lo, exec_lo, s49
	s_cbranch_vccnz .LBB56_1177
; %bb.1170:
	s_wait_xcnt 0x0
	v_cvt_f32_f16_e32 v4, v1
	v_mov_b32_e32 v6, 0x80
	s_mov_b32 s49, exec_lo
	s_delay_alu instid0(VALU_DEP_2) | instskip(NEXT) | instid1(VALU_DEP_1)
	v_and_b32_e32 v5, 0x7fffffff, v4
	v_cmpx_gt_u32_e32 0x43800000, v5
	s_cbranch_execz .LBB56_1176
; %bb.1171:
	v_cmp_lt_u32_e32 vcc_lo, 0x3bffffff, v5
	s_mov_b32 s50, 0
                                        ; implicit-def: $vgpr5
	s_and_saveexec_b32 s51, vcc_lo
	s_delay_alu instid0(SALU_CYCLE_1)
	s_xor_b32 s51, exec_lo, s51
	s_cbranch_execz .LBB56_1228
; %bb.1172:
	v_bfe_u32 v5, v4, 20, 1
	s_mov_b32 s50, exec_lo
	s_delay_alu instid0(VALU_DEP_1) | instskip(NEXT) | instid1(VALU_DEP_1)
	v_add3_u32 v5, v4, v5, 0x487ffff
	v_lshrrev_b32_e32 v5, 20, v5
	s_and_not1_saveexec_b32 s51, s51
	s_cbranch_execnz .LBB56_1229
.LBB56_1173:
	s_or_b32 exec_lo, exec_lo, s51
	v_mov_b32_e32 v6, 0
	s_and_saveexec_b32 s51, s50
.LBB56_1174:
	v_lshrrev_b32_e32 v4, 24, v4
	s_delay_alu instid0(VALU_DEP_1)
	v_and_or_b32 v6, 0x80, v4, v5
.LBB56_1175:
	s_or_b32 exec_lo, exec_lo, s51
.LBB56_1176:
	s_delay_alu instid0(SALU_CYCLE_1)
	s_or_b32 exec_lo, exec_lo, s49
	global_store_b8 v[2:3], v6, off
.LBB56_1177:
	s_mov_b32 s49, -1
.LBB56_1178:
	s_mov_b32 s50, 0
.LBB56_1179:
	s_delay_alu instid0(SALU_CYCLE_1)
	s_and_b32 vcc_lo, exec_lo, s50
	s_cbranch_vccz .LBB56_1220
; %bb.1180:
	s_cmp_gt_i32 s48, 22
	s_mov_b32 s50, -1
	s_cbranch_scc0 .LBB56_1212
; %bb.1181:
	s_cmp_lt_i32 s48, 24
	s_mov_b32 s49, -1
	s_cbranch_scc1 .LBB56_1201
; %bb.1182:
	s_cmp_gt_i32 s48, 24
	s_cbranch_scc0 .LBB56_1190
; %bb.1183:
	s_wait_xcnt 0x0
	v_cvt_f32_f16_e32 v4, v1
	v_mov_b32_e32 v6, 0x80
	s_mov_b32 s49, exec_lo
	s_delay_alu instid0(VALU_DEP_2) | instskip(NEXT) | instid1(VALU_DEP_1)
	v_and_b32_e32 v5, 0x7fffffff, v4
	v_cmpx_gt_u32_e32 0x47800000, v5
	s_cbranch_execz .LBB56_1189
; %bb.1184:
	v_cmp_lt_u32_e32 vcc_lo, 0x37ffffff, v5
	s_mov_b32 s50, 0
                                        ; implicit-def: $vgpr5
	s_and_saveexec_b32 s51, vcc_lo
	s_delay_alu instid0(SALU_CYCLE_1)
	s_xor_b32 s51, exec_lo, s51
	s_cbranch_execz .LBB56_2294
; %bb.1185:
	v_bfe_u32 v5, v4, 21, 1
	s_mov_b32 s50, exec_lo
	s_delay_alu instid0(VALU_DEP_1) | instskip(NEXT) | instid1(VALU_DEP_1)
	v_add3_u32 v5, v4, v5, 0x88fffff
	v_lshrrev_b32_e32 v5, 21, v5
	s_and_not1_saveexec_b32 s51, s51
	s_cbranch_execnz .LBB56_2295
.LBB56_1186:
	s_or_b32 exec_lo, exec_lo, s51
	v_mov_b32_e32 v6, 0
	s_and_saveexec_b32 s51, s50
.LBB56_1187:
	v_lshrrev_b32_e32 v4, 24, v4
	s_delay_alu instid0(VALU_DEP_1)
	v_and_or_b32 v6, 0x80, v4, v5
.LBB56_1188:
	s_or_b32 exec_lo, exec_lo, s51
.LBB56_1189:
	s_delay_alu instid0(SALU_CYCLE_1)
	s_or_b32 exec_lo, exec_lo, s49
	s_mov_b32 s49, 0
	global_store_b8 v[2:3], v6, off
.LBB56_1190:
	s_and_b32 vcc_lo, exec_lo, s49
	s_cbranch_vccz .LBB56_1200
; %bb.1191:
	s_wait_xcnt 0x0
	v_cvt_f32_f16_e32 v4, v1
	s_mov_b32 s49, exec_lo
                                        ; implicit-def: $vgpr5
	s_delay_alu instid0(VALU_DEP_1) | instskip(NEXT) | instid1(VALU_DEP_1)
	v_and_b32_e32 v6, 0x7fffffff, v4
	v_cmpx_gt_u32_e32 0x43f00000, v6
	s_xor_b32 s49, exec_lo, s49
	s_cbranch_execz .LBB56_1197
; %bb.1192:
	s_mov_b32 s50, exec_lo
                                        ; implicit-def: $vgpr5
	v_cmpx_lt_u32_e32 0x3c7fffff, v6
	s_xor_b32 s50, exec_lo, s50
; %bb.1193:
	v_bfe_u32 v5, v4, 20, 1
	s_delay_alu instid0(VALU_DEP_1) | instskip(NEXT) | instid1(VALU_DEP_1)
	v_add3_u32 v5, v4, v5, 0x407ffff
	v_and_b32_e32 v6, 0xff00000, v5
	v_lshrrev_b32_e32 v5, 20, v5
	s_delay_alu instid0(VALU_DEP_2) | instskip(NEXT) | instid1(VALU_DEP_2)
	v_cmp_ne_u32_e32 vcc_lo, 0x7f00000, v6
	v_cndmask_b32_e32 v5, 0x7e, v5, vcc_lo
; %bb.1194:
	s_and_not1_saveexec_b32 s50, s50
; %bb.1195:
	v_add_f32_e64 v5, 0x46800000, |v4|
; %bb.1196:
	s_or_b32 exec_lo, exec_lo, s50
                                        ; implicit-def: $vgpr6
.LBB56_1197:
	s_and_not1_saveexec_b32 s49, s49
; %bb.1198:
	v_mov_b32_e32 v5, 0x7f
	v_cmp_lt_u32_e32 vcc_lo, 0x7f800000, v6
	s_delay_alu instid0(VALU_DEP_2)
	v_cndmask_b32_e32 v5, 0x7e, v5, vcc_lo
; %bb.1199:
	s_or_b32 exec_lo, exec_lo, s49
	v_lshrrev_b32_e32 v4, 24, v4
	s_delay_alu instid0(VALU_DEP_1)
	v_and_or_b32 v4, 0x80, v4, v5
	global_store_b8 v[2:3], v4, off
.LBB56_1200:
	s_mov_b32 s49, 0
.LBB56_1201:
	s_delay_alu instid0(SALU_CYCLE_1)
	s_and_not1_b32 vcc_lo, exec_lo, s49
	s_cbranch_vccnz .LBB56_1211
; %bb.1202:
	s_wait_xcnt 0x0
	v_cvt_f32_f16_e32 v4, v1
	s_mov_b32 s49, exec_lo
                                        ; implicit-def: $vgpr5
	s_delay_alu instid0(VALU_DEP_1) | instskip(NEXT) | instid1(VALU_DEP_1)
	v_and_b32_e32 v6, 0x7fffffff, v4
	v_cmpx_gt_u32_e32 0x47800000, v6
	s_xor_b32 s49, exec_lo, s49
	s_cbranch_execz .LBB56_1208
; %bb.1203:
	s_mov_b32 s50, exec_lo
                                        ; implicit-def: $vgpr5
	v_cmpx_lt_u32_e32 0x387fffff, v6
	s_xor_b32 s50, exec_lo, s50
; %bb.1204:
	v_bfe_u32 v5, v4, 21, 1
	s_delay_alu instid0(VALU_DEP_1) | instskip(NEXT) | instid1(VALU_DEP_1)
	v_add3_u32 v5, v4, v5, 0x80fffff
	v_lshrrev_b32_e32 v5, 21, v5
; %bb.1205:
	s_and_not1_saveexec_b32 s50, s50
; %bb.1206:
	v_add_f32_e64 v5, 0x43000000, |v4|
; %bb.1207:
	s_or_b32 exec_lo, exec_lo, s50
                                        ; implicit-def: $vgpr6
.LBB56_1208:
	s_and_not1_saveexec_b32 s49, s49
; %bb.1209:
	v_mov_b32_e32 v5, 0x7f
	v_cmp_lt_u32_e32 vcc_lo, 0x7f800000, v6
	s_delay_alu instid0(VALU_DEP_2)
	v_cndmask_b32_e32 v5, 0x7c, v5, vcc_lo
; %bb.1210:
	s_or_b32 exec_lo, exec_lo, s49
	v_lshrrev_b32_e32 v4, 24, v4
	s_delay_alu instid0(VALU_DEP_1)
	v_and_or_b32 v4, 0x80, v4, v5
	global_store_b8 v[2:3], v4, off
.LBB56_1211:
	s_mov_b32 s50, 0
	s_mov_b32 s49, -1
.LBB56_1212:
	s_and_not1_b32 vcc_lo, exec_lo, s50
	s_cbranch_vccnz .LBB56_1220
; %bb.1213:
	s_cmp_gt_i32 s48, 14
	s_mov_b32 s50, -1
	s_cbranch_scc0 .LBB56_1217
; %bb.1214:
	s_cmp_eq_u32 s48, 15
	s_mov_b32 s0, -1
	s_cbranch_scc0 .LBB56_1216
; %bb.1215:
	s_wait_xcnt 0x0
	v_cvt_f32_f16_e32 v4, v1
	v_cmp_o_f16_e32 vcc_lo, v1, v1
	s_mov_b32 s49, -1
	s_mov_b32 s0, 0
	s_delay_alu instid0(VALU_DEP_2) | instskip(NEXT) | instid1(VALU_DEP_1)
	v_bfe_u32 v5, v4, 16, 1
	v_add3_u32 v4, v4, v5, 0x7fff
	s_delay_alu instid0(VALU_DEP_1) | instskip(NEXT) | instid1(VALU_DEP_1)
	v_lshrrev_b32_e32 v4, 16, v4
	v_cndmask_b32_e32 v4, 0x7fc0, v4, vcc_lo
	global_store_b16 v[2:3], v4, off
.LBB56_1216:
	s_mov_b32 s50, 0
.LBB56_1217:
	s_delay_alu instid0(SALU_CYCLE_1)
	s_and_b32 vcc_lo, exec_lo, s50
	s_cbranch_vccz .LBB56_1220
; %bb.1218:
	s_cmp_eq_u32 s48, 11
	s_mov_b32 s0, -1
	s_cbranch_scc0 .LBB56_1220
; %bb.1219:
	s_wait_xcnt 0x0
	v_and_b32_e32 v4, 0x7fff, v1
	s_mov_b32 s0, 0
	s_mov_b32 s49, -1
	s_delay_alu instid0(VALU_DEP_1)
	v_cmp_ne_u16_e32 vcc_lo, 0, v4
	v_cndmask_b32_e64 v4, 0, 1, vcc_lo
	global_store_b8 v[2:3], v4, off
.LBB56_1220:
.LBB56_1221:
	s_and_not1_b32 vcc_lo, exec_lo, s49
	s_cbranch_vccnz .LBB56_1119
.LBB56_1222:
	v_add_nc_u32_e32 v0, 0x80, v0
	s_mov_b32 s50, -1
	s_branch .LBB56_1121
.LBB56_1223:
	s_mov_b32 s6, -1
	s_mov_b32 s8, 0
.LBB56_1224:
                                        ; implicit-def: $vgpr8
.LBB56_1225:
	s_and_b32 vcc_lo, exec_lo, s10
	s_cbranch_vccz .LBB56_1231
; %bb.1226:
	s_cmp_eq_u32 s1, 44
	s_cbranch_scc0 .LBB56_1230
; %bb.1227:
	global_load_u8 v0, v[6:7], off
	s_mov_b32 s6, 0
	s_mov_b32 s8, -1
	s_wait_loadcnt 0x0
	v_lshlrev_b32_e32 v1, 23, v0
	v_cmp_ne_u32_e32 vcc_lo, 0xff, v0
	s_delay_alu instid0(VALU_DEP_2) | instskip(NEXT) | instid1(VALU_DEP_1)
	v_cvt_f16_f32_e32 v1, v1
	v_cndmask_b32_e32 v1, 0x7e00, v1, vcc_lo
	v_cmp_ne_u32_e32 vcc_lo, 0, v0
	s_delay_alu instid0(VALU_DEP_2)
	v_cndmask_b32_e32 v8, 0, v1, vcc_lo
	s_branch .LBB56_1231
.LBB56_1228:
	s_and_not1_saveexec_b32 s51, s51
	s_cbranch_execz .LBB56_1173
.LBB56_1229:
	v_add_f32_e64 v5, 0x46000000, |v4|
	s_and_not1_b32 s50, s50, exec_lo
	s_delay_alu instid0(VALU_DEP_1) | instskip(NEXT) | instid1(VALU_DEP_1)
	v_and_b32_e32 v5, 0xff, v5
	v_cmp_ne_u32_e32 vcc_lo, 0, v5
	s_and_b32 s52, vcc_lo, exec_lo
	s_delay_alu instid0(SALU_CYCLE_1)
	s_or_b32 s50, s50, s52
	s_or_b32 exec_lo, exec_lo, s51
	v_mov_b32_e32 v6, 0
	s_and_saveexec_b32 s51, s50
	s_cbranch_execnz .LBB56_1174
	s_branch .LBB56_1175
.LBB56_1230:
	s_mov_b32 s6, -1
                                        ; implicit-def: $vgpr8
.LBB56_1231:
	s_mov_b32 s10, 0
.LBB56_1232:
	s_delay_alu instid0(SALU_CYCLE_1)
	s_and_b32 vcc_lo, exec_lo, s10
	s_cbranch_vccz .LBB56_1236
; %bb.1233:
	s_cmp_eq_u32 s1, 29
	s_cbranch_scc0 .LBB56_1235
; %bb.1234:
	global_load_b64 v[0:1], v[6:7], off
	s_mov_b32 s6, 0
	s_mov_b32 s8, -1
	s_mov_b32 s10, 0
	s_wait_loadcnt 0x0
	v_clz_i32_u32_e32 v3, v1
	s_delay_alu instid0(VALU_DEP_1) | instskip(NEXT) | instid1(VALU_DEP_1)
	v_min_u32_e32 v3, 32, v3
	v_lshlrev_b64_e32 v[0:1], v3, v[0:1]
	s_delay_alu instid0(VALU_DEP_1) | instskip(NEXT) | instid1(VALU_DEP_1)
	v_min_u32_e32 v0, 1, v0
	v_dual_sub_nc_u32 v1, 32, v3 :: v_dual_bitop2_b32 v0, v1, v0 bitop3:0x54
	s_delay_alu instid0(VALU_DEP_1) | instskip(NEXT) | instid1(VALU_DEP_1)
	v_cvt_f32_u32_e32 v0, v0
	v_ldexp_f32 v0, v0, v1
	s_delay_alu instid0(VALU_DEP_1)
	v_cvt_f16_f32_e32 v8, v0
	s_branch .LBB56_1237
.LBB56_1235:
	s_mov_b32 s6, -1
                                        ; implicit-def: $vgpr8
.LBB56_1236:
	s_mov_b32 s10, 0
.LBB56_1237:
	s_delay_alu instid0(SALU_CYCLE_1)
	s_and_b32 vcc_lo, exec_lo, s10
	s_cbranch_vccz .LBB56_1255
; %bb.1238:
	s_cmp_lt_i32 s1, 27
	s_cbranch_scc1 .LBB56_1241
; %bb.1239:
	s_cmp_gt_i32 s1, 27
	s_cbranch_scc0 .LBB56_1242
; %bb.1240:
	global_load_b32 v0, v[6:7], off
	s_mov_b32 s8, 0
	s_wait_loadcnt 0x0
	v_cvt_f32_u32_e32 v0, v0
	s_delay_alu instid0(VALU_DEP_1)
	v_cvt_f16_f32_e32 v8, v0
	s_branch .LBB56_1243
.LBB56_1241:
	s_mov_b32 s8, -1
                                        ; implicit-def: $vgpr8
	s_branch .LBB56_1246
.LBB56_1242:
	s_mov_b32 s8, -1
                                        ; implicit-def: $vgpr8
.LBB56_1243:
	s_delay_alu instid0(SALU_CYCLE_1)
	s_and_not1_b32 vcc_lo, exec_lo, s8
	s_cbranch_vccnz .LBB56_1245
; %bb.1244:
	global_load_u16 v0, v[6:7], off
	s_wait_loadcnt 0x0
	v_cvt_f16_u16_e32 v8, v0
.LBB56_1245:
	s_mov_b32 s8, 0
.LBB56_1246:
	s_delay_alu instid0(SALU_CYCLE_1)
	s_and_not1_b32 vcc_lo, exec_lo, s8
	s_cbranch_vccnz .LBB56_1254
; %bb.1247:
	global_load_u8 v0, v[6:7], off
	s_mov_b32 s8, 0
	s_mov_b32 s10, exec_lo
	s_wait_loadcnt 0x0
	v_cmpx_lt_i16_e32 0x7f, v0
	s_xor_b32 s10, exec_lo, s10
	s_cbranch_execz .LBB56_1268
; %bb.1248:
	s_mov_b32 s8, -1
	s_mov_b32 s11, exec_lo
	v_cmpx_eq_u16_e32 0x80, v0
; %bb.1249:
	s_xor_b32 s8, exec_lo, -1
; %bb.1250:
	s_or_b32 exec_lo, exec_lo, s11
	s_delay_alu instid0(SALU_CYCLE_1)
	s_and_b32 s8, s8, exec_lo
	s_or_saveexec_b32 s10, s10
	v_mov_b32_e32 v8, 0x7e00
	s_xor_b32 exec_lo, exec_lo, s10
	s_cbranch_execnz .LBB56_1269
.LBB56_1251:
	s_or_b32 exec_lo, exec_lo, s10
	s_and_saveexec_b32 s10, s8
	s_cbranch_execz .LBB56_1253
.LBB56_1252:
	v_and_b32_e32 v1, 0xffff, v0
	s_delay_alu instid0(VALU_DEP_1) | instskip(SKIP_1) | instid1(VALU_DEP_2)
	v_dual_lshlrev_b32 v0, 24, v0 :: v_dual_bitop2_b32 v3, 7, v1 bitop3:0x40
	v_bfe_u32 v9, v1, 3, 4
	v_and_b32_e32 v0, 0x80000000, v0
	s_delay_alu instid0(VALU_DEP_3) | instskip(NEXT) | instid1(VALU_DEP_3)
	v_clz_i32_u32_e32 v5, v3
	v_cmp_eq_u32_e32 vcc_lo, 0, v9
	s_delay_alu instid0(VALU_DEP_2) | instskip(NEXT) | instid1(VALU_DEP_1)
	v_min_u32_e32 v5, 32, v5
	v_subrev_nc_u32_e32 v8, 28, v5
	v_sub_nc_u32_e32 v5, 29, v5
	s_delay_alu instid0(VALU_DEP_2) | instskip(NEXT) | instid1(VALU_DEP_2)
	v_lshlrev_b32_e32 v1, v8, v1
	v_cndmask_b32_e32 v5, v9, v5, vcc_lo
	s_delay_alu instid0(VALU_DEP_2) | instskip(NEXT) | instid1(VALU_DEP_1)
	v_and_b32_e32 v1, 7, v1
	v_cndmask_b32_e32 v1, v3, v1, vcc_lo
	s_delay_alu instid0(VALU_DEP_3) | instskip(NEXT) | instid1(VALU_DEP_2)
	v_lshl_add_u32 v3, v5, 23, 0x3b800000
	v_lshlrev_b32_e32 v1, 20, v1
	s_delay_alu instid0(VALU_DEP_1) | instskip(NEXT) | instid1(VALU_DEP_1)
	v_or3_b32 v0, v0, v3, v1
	v_cvt_f16_f32_e32 v8, v0
.LBB56_1253:
	s_or_b32 exec_lo, exec_lo, s10
.LBB56_1254:
	s_mov_b32 s8, -1
.LBB56_1255:
	s_mov_b32 s10, 0
.LBB56_1256:
	s_delay_alu instid0(SALU_CYCLE_1)
	s_and_b32 vcc_lo, exec_lo, s10
	s_cbranch_vccz .LBB56_1289
; %bb.1257:
	s_cmp_gt_i32 s1, 22
	s_cbranch_scc0 .LBB56_1267
; %bb.1258:
	s_cmp_lt_i32 s1, 24
	s_cbranch_scc1 .LBB56_1270
; %bb.1259:
	s_cmp_gt_i32 s1, 24
	s_cbranch_scc0 .LBB56_1271
; %bb.1260:
	global_load_u8 v0, v[6:7], off
	s_mov_b32 s8, exec_lo
	s_wait_loadcnt 0x0
	v_cmpx_lt_i16_e32 0x7f, v0
	s_xor_b32 s8, exec_lo, s8
	s_cbranch_execz .LBB56_1283
; %bb.1261:
	s_mov_b32 s7, -1
	s_mov_b32 s10, exec_lo
	v_cmpx_eq_u16_e32 0x80, v0
; %bb.1262:
	s_xor_b32 s7, exec_lo, -1
; %bb.1263:
	s_or_b32 exec_lo, exec_lo, s10
	s_delay_alu instid0(SALU_CYCLE_1)
	s_and_b32 s7, s7, exec_lo
	s_or_saveexec_b32 s8, s8
	v_mov_b32_e32 v8, 0x7e00
	s_xor_b32 exec_lo, exec_lo, s8
	s_cbranch_execnz .LBB56_1284
.LBB56_1264:
	s_or_b32 exec_lo, exec_lo, s8
	s_and_saveexec_b32 s8, s7
	s_cbranch_execz .LBB56_1266
.LBB56_1265:
	v_and_b32_e32 v1, 0xffff, v0
	s_delay_alu instid0(VALU_DEP_1) | instskip(SKIP_1) | instid1(VALU_DEP_2)
	v_dual_lshlrev_b32 v0, 24, v0 :: v_dual_bitop2_b32 v3, 3, v1 bitop3:0x40
	v_bfe_u32 v9, v1, 2, 5
	v_and_b32_e32 v0, 0x80000000, v0
	s_delay_alu instid0(VALU_DEP_3) | instskip(NEXT) | instid1(VALU_DEP_3)
	v_clz_i32_u32_e32 v5, v3
	v_cmp_eq_u32_e32 vcc_lo, 0, v9
	s_delay_alu instid0(VALU_DEP_2) | instskip(NEXT) | instid1(VALU_DEP_1)
	v_min_u32_e32 v5, 32, v5
	v_subrev_nc_u32_e32 v8, 29, v5
	v_sub_nc_u32_e32 v5, 30, v5
	s_delay_alu instid0(VALU_DEP_2) | instskip(NEXT) | instid1(VALU_DEP_2)
	v_lshlrev_b32_e32 v1, v8, v1
	v_cndmask_b32_e32 v5, v9, v5, vcc_lo
	s_delay_alu instid0(VALU_DEP_2) | instskip(NEXT) | instid1(VALU_DEP_1)
	v_and_b32_e32 v1, 3, v1
	v_cndmask_b32_e32 v1, v3, v1, vcc_lo
	s_delay_alu instid0(VALU_DEP_3) | instskip(NEXT) | instid1(VALU_DEP_2)
	v_lshl_add_u32 v3, v5, 23, 0x37800000
	v_lshlrev_b32_e32 v1, 21, v1
	s_delay_alu instid0(VALU_DEP_1) | instskip(NEXT) | instid1(VALU_DEP_1)
	v_or3_b32 v0, v0, v3, v1
	v_cvt_f16_f32_e32 v8, v0
.LBB56_1266:
	s_or_b32 exec_lo, exec_lo, s8
	s_mov_b32 s7, 0
	s_branch .LBB56_1272
.LBB56_1267:
	s_mov_b32 s7, -1
                                        ; implicit-def: $vgpr8
	s_branch .LBB56_1278
.LBB56_1268:
	s_or_saveexec_b32 s10, s10
	v_mov_b32_e32 v8, 0x7e00
	s_xor_b32 exec_lo, exec_lo, s10
	s_cbranch_execz .LBB56_1251
.LBB56_1269:
	v_cmp_ne_u16_e32 vcc_lo, 0, v0
	v_mov_b32_e32 v8, v0
	s_and_not1_b32 s8, s8, exec_lo
	s_and_b32 s11, vcc_lo, exec_lo
	s_delay_alu instid0(SALU_CYCLE_1)
	s_or_b32 s8, s8, s11
	s_or_b32 exec_lo, exec_lo, s10
	s_and_saveexec_b32 s10, s8
	s_cbranch_execnz .LBB56_1252
	s_branch .LBB56_1253
.LBB56_1270:
	s_mov_b32 s7, -1
                                        ; implicit-def: $vgpr8
	s_branch .LBB56_1275
.LBB56_1271:
	s_mov_b32 s7, -1
                                        ; implicit-def: $vgpr8
.LBB56_1272:
	s_delay_alu instid0(SALU_CYCLE_1)
	s_and_b32 vcc_lo, exec_lo, s7
	s_cbranch_vccz .LBB56_1274
; %bb.1273:
	global_load_u8 v0, v[6:7], off
	s_wait_loadcnt 0x0
	v_lshlrev_b32_e32 v0, 24, v0
	s_delay_alu instid0(VALU_DEP_1) | instskip(NEXT) | instid1(VALU_DEP_1)
	v_and_b32_e32 v1, 0x7f000000, v0
	v_clz_i32_u32_e32 v3, v1
	v_cmp_ne_u32_e32 vcc_lo, 0, v1
	v_add_nc_u32_e32 v8, 0x1000000, v1
	s_delay_alu instid0(VALU_DEP_3) | instskip(NEXT) | instid1(VALU_DEP_1)
	v_min_u32_e32 v3, 32, v3
	v_sub_nc_u32_e64 v3, v3, 4 clamp
	s_delay_alu instid0(VALU_DEP_1) | instskip(NEXT) | instid1(VALU_DEP_1)
	v_dual_lshlrev_b32 v5, v3, v1 :: v_dual_lshlrev_b32 v3, 23, v3
	v_lshrrev_b32_e32 v5, 4, v5
	s_delay_alu instid0(VALU_DEP_1) | instskip(NEXT) | instid1(VALU_DEP_1)
	v_dual_sub_nc_u32 v3, v5, v3 :: v_dual_ashrrev_i32 v5, 8, v8
	v_add_nc_u32_e32 v3, 0x3c000000, v3
	s_delay_alu instid0(VALU_DEP_1) | instskip(NEXT) | instid1(VALU_DEP_1)
	v_and_or_b32 v3, 0x7f800000, v5, v3
	v_cndmask_b32_e32 v1, 0, v3, vcc_lo
	s_delay_alu instid0(VALU_DEP_1) | instskip(NEXT) | instid1(VALU_DEP_1)
	v_and_or_b32 v0, 0x80000000, v0, v1
	v_cvt_f16_f32_e32 v8, v0
.LBB56_1274:
	s_mov_b32 s7, 0
.LBB56_1275:
	s_delay_alu instid0(SALU_CYCLE_1)
	s_and_not1_b32 vcc_lo, exec_lo, s7
	s_cbranch_vccnz .LBB56_1277
; %bb.1276:
	global_load_u8 v0, v[6:7], off
	s_wait_loadcnt 0x0
	v_lshlrev_b32_e32 v1, 25, v0
	v_lshlrev_b16 v0, 8, v0
	s_delay_alu instid0(VALU_DEP_1) | instskip(SKIP_1) | instid1(VALU_DEP_2)
	v_and_or_b32 v5, 0x7f00, v0, 0.5
	v_bfe_i32 v0, v0, 0, 16
	v_add_f32_e32 v5, -0.5, v5
	v_lshrrev_b32_e32 v3, 4, v1
	v_cmp_gt_u32_e32 vcc_lo, 0x8000000, v1
	s_delay_alu instid0(VALU_DEP_2) | instskip(NEXT) | instid1(VALU_DEP_1)
	v_or_b32_e32 v3, 0x70000000, v3
	v_mul_f32_e32 v3, 0x7800000, v3
	s_delay_alu instid0(VALU_DEP_1) | instskip(NEXT) | instid1(VALU_DEP_1)
	v_cndmask_b32_e32 v1, v3, v5, vcc_lo
	v_and_or_b32 v0, 0x80000000, v0, v1
	s_delay_alu instid0(VALU_DEP_1)
	v_cvt_f16_f32_e32 v8, v0
.LBB56_1277:
	s_mov_b32 s7, 0
	s_mov_b32 s8, -1
.LBB56_1278:
	s_and_not1_b32 vcc_lo, exec_lo, s7
	s_mov_b32 s7, 0
	s_cbranch_vccnz .LBB56_1289
; %bb.1279:
	s_cmp_gt_i32 s1, 14
	s_cbranch_scc0 .LBB56_1282
; %bb.1280:
	s_cmp_eq_u32 s1, 15
	s_cbranch_scc0 .LBB56_1285
; %bb.1281:
	global_load_u16 v0, v[6:7], off
	s_mov_b32 s6, 0
	s_mov_b32 s8, -1
	s_wait_loadcnt 0x0
	v_lshlrev_b32_e32 v0, 16, v0
	s_delay_alu instid0(VALU_DEP_1)
	v_cvt_f16_f32_e32 v8, v0
	s_branch .LBB56_1287
.LBB56_1282:
	s_mov_b32 s7, -1
	s_branch .LBB56_1286
.LBB56_1283:
	s_or_saveexec_b32 s8, s8
	v_mov_b32_e32 v8, 0x7e00
	s_xor_b32 exec_lo, exec_lo, s8
	s_cbranch_execz .LBB56_1264
.LBB56_1284:
	v_cmp_ne_u16_e32 vcc_lo, 0, v0
	v_mov_b32_e32 v8, v0
	s_and_not1_b32 s7, s7, exec_lo
	s_and_b32 s10, vcc_lo, exec_lo
	s_delay_alu instid0(SALU_CYCLE_1)
	s_or_b32 s7, s7, s10
	s_or_b32 exec_lo, exec_lo, s8
	s_and_saveexec_b32 s8, s7
	s_cbranch_execnz .LBB56_1265
	s_branch .LBB56_1266
.LBB56_1285:
	s_mov_b32 s6, -1
.LBB56_1286:
                                        ; implicit-def: $vgpr8
.LBB56_1287:
	s_and_b32 vcc_lo, exec_lo, s7
	s_mov_b32 s7, 0
	s_cbranch_vccz .LBB56_1289
; %bb.1288:
	s_cmp_lg_u32 s1, 11
	s_mov_b32 s7, -1
	s_cselect_b32 s1, -1, 0
	s_and_not1_b32 s6, s6, exec_lo
	s_and_b32 s1, s1, exec_lo
	s_delay_alu instid0(SALU_CYCLE_1)
	s_or_b32 s6, s6, s1
.LBB56_1289:
	s_mov_b32 s1, 0
.LBB56_1290:
	s_delay_alu instid0(SALU_CYCLE_1)
	s_and_b32 s50, s1, exec_lo
	s_and_not1_b32 s1, s47, exec_lo
	s_and_b32 s6, s6, exec_lo
	s_and_b32 s24, s8, exec_lo
	;; [unrolled: 1-line block ×3, first 2 shown]
	s_or_b32 s51, s1, s6
.LBB56_1291:
	s_wait_xcnt 0x0
	s_or_b32 exec_lo, exec_lo, s36
	s_delay_alu instid0(SALU_CYCLE_1)
	s_and_not1_b32 s1, s47, exec_lo
	s_and_b32 s6, s51, exec_lo
	s_and_b32 s24, s24, exec_lo
	;; [unrolled: 1-line block ×4, first 2 shown]
	s_or_b32 s47, s1, s6
.LBB56_1292:
	s_or_b32 exec_lo, exec_lo, s46
	s_delay_alu instid0(SALU_CYCLE_1)
	s_and_not1_b32 s1, s43, exec_lo
	s_and_b32 s6, s48, exec_lo
	s_and_not1_b32 s7, s44, exec_lo
	s_and_b32 s8, s49, exec_lo
	s_or_b32 s43, s1, s6
	s_and_not1_b32 s1, s42, exec_lo
	s_and_b32 s6, s47, exec_lo
	s_or_b32 s44, s7, s8
	s_and_b32 s24, s24, exec_lo
	s_and_b32 s46, s50, exec_lo
	;; [unrolled: 1-line block ×3, first 2 shown]
	s_or_b32 s42, s1, s6
.LBB56_1293:
	s_or_b32 exec_lo, exec_lo, s45
	s_delay_alu instid0(SALU_CYCLE_1)
	s_and_not1_b32 s1, s38, exec_lo
	s_and_b32 s6, s43, exec_lo
	s_and_not1_b32 s7, s39, exec_lo
	s_and_b32 s8, s44, exec_lo
	s_or_b32 s38, s1, s6
	s_and_not1_b32 s1, s40, exec_lo
	s_and_b32 s6, s42, exec_lo
	s_or_b32 s39, s7, s8
	s_and_b32 s24, s24, exec_lo
	s_and_b32 s43, s46, exec_lo
	;; [unrolled: 1-line block ×3, first 2 shown]
	s_or_b32 s40, s1, s6
	s_or_b32 exec_lo, exec_lo, s41
	s_mov_b32 s1, 0
	s_and_saveexec_b32 s6, s40
	s_cbranch_execz .LBB56_401
.LBB56_1294:
	s_mov_b32 s1, exec_lo
	s_and_not1_b32 s19, s19, exec_lo
	s_trap 2
	s_or_b32 exec_lo, exec_lo, s6
	s_and_saveexec_b32 s6, s19
	s_delay_alu instid0(SALU_CYCLE_1)
	s_xor_b32 s6, exec_lo, s6
	s_cbranch_execnz .LBB56_402
.LBB56_1295:
	s_or_b32 exec_lo, exec_lo, s6
	s_and_saveexec_b32 s6, s43
	s_cbranch_execz .LBB56_1341
.LBB56_1296:
	s_sext_i32_i16 s7, s0
	s_delay_alu instid0(SALU_CYCLE_1)
	s_cmp_lt_i32 s7, 5
	s_cbranch_scc1 .LBB56_1301
; %bb.1297:
	s_cmp_lt_i32 s7, 8
	s_cbranch_scc1 .LBB56_1302
; %bb.1298:
	;; [unrolled: 3-line block ×3, first 2 shown]
	s_cmp_gt_i32 s7, 9
	s_cbranch_scc0 .LBB56_1304
; %bb.1300:
	s_wait_loadcnt 0x0
	global_load_b64 v[0:1], v[6:7], off
	s_mov_b32 s7, 0
	s_wait_loadcnt 0x0
	v_and_or_b32 v0, 0x1ff, v1, v0
	v_lshrrev_b32_e32 v3, 8, v1
	v_bfe_u32 v5, v1, 20, 11
	v_lshrrev_b32_e32 v1, 16, v1
	s_delay_alu instid0(VALU_DEP_4) | instskip(NEXT) | instid1(VALU_DEP_3)
	v_cmp_ne_u32_e32 vcc_lo, 0, v0
	v_sub_nc_u32_e32 v8, 0x3f1, v5
	v_add_nc_u32_e32 v5, 0xfffffc10, v5
	v_cndmask_b32_e64 v0, 0, 1, vcc_lo
	s_delay_alu instid0(VALU_DEP_1) | instskip(NEXT) | instid1(VALU_DEP_4)
	v_and_or_b32 v0, 0xffe, v3, v0
	v_med3_i32 v3, v8, 0, 13
	s_delay_alu instid0(VALU_DEP_2) | instskip(NEXT) | instid1(VALU_DEP_1)
	v_or_b32_e32 v8, 0x1000, v0
	v_lshrrev_b32_e32 v9, v3, v8
	s_delay_alu instid0(VALU_DEP_1) | instskip(NEXT) | instid1(VALU_DEP_1)
	v_lshlrev_b32_e32 v3, v3, v9
	v_cmp_ne_u32_e32 vcc_lo, v3, v8
	v_lshl_or_b32 v8, v5, 12, v0
	v_cndmask_b32_e64 v3, 0, 1, vcc_lo
	v_cmp_gt_i32_e32 vcc_lo, 1, v5
	s_delay_alu instid0(VALU_DEP_2) | instskip(NEXT) | instid1(VALU_DEP_1)
	v_or_b32_e32 v3, v9, v3
	v_cndmask_b32_e32 v3, v8, v3, vcc_lo
	s_delay_alu instid0(VALU_DEP_1) | instskip(NEXT) | instid1(VALU_DEP_1)
	v_dual_lshrrev_b32 v3, 2, v3 :: v_dual_bitop2_b32 v8, 7, v3 bitop3:0x40
	v_cmp_lt_i32_e32 vcc_lo, 5, v8
	v_cndmask_b32_e64 v9, 0, 1, vcc_lo
	v_cmp_eq_u32_e32 vcc_lo, 3, v8
	v_cndmask_b32_e64 v8, 0, 1, vcc_lo
	v_cmp_ne_u32_e32 vcc_lo, 0, v0
	s_delay_alu instid0(VALU_DEP_2) | instskip(SKIP_1) | instid1(VALU_DEP_1)
	v_or_b32_e32 v8, v8, v9
	v_mov_b32_e32 v9, 0x7e00
	v_dual_cndmask_b32 v0, 0x7c00, v9 :: v_dual_add_nc_u32 v3, v3, v8
	v_cmp_gt_i32_e32 vcc_lo, 31, v5
	s_delay_alu instid0(VALU_DEP_2) | instskip(SKIP_1) | instid1(VALU_DEP_2)
	v_cndmask_b32_e32 v3, 0x7c00, v3, vcc_lo
	v_cmp_eq_u32_e32 vcc_lo, 0x40f, v5
	v_cndmask_b32_e32 v0, v3, v0, vcc_lo
	s_delay_alu instid0(VALU_DEP_1)
	v_and_or_b32 v8, 0x8000, v1, v0
	s_branch .LBB56_1305
.LBB56_1301:
                                        ; implicit-def: $vgpr8
	s_branch .LBB56_1322
.LBB56_1302:
                                        ; implicit-def: $vgpr8
	s_branch .LBB56_1311
.LBB56_1303:
	s_mov_b32 s7, -1
                                        ; implicit-def: $vgpr8
	s_branch .LBB56_1308
.LBB56_1304:
	s_mov_b32 s7, -1
                                        ; implicit-def: $vgpr8
.LBB56_1305:
	s_delay_alu instid0(SALU_CYCLE_1)
	s_and_not1_b32 vcc_lo, exec_lo, s7
	s_cbranch_vccnz .LBB56_1307
; %bb.1306:
	s_wait_loadcnt 0x0
	global_load_b32 v0, v[6:7], off
	s_wait_loadcnt 0x0
	v_cvt_f16_f32_e32 v8, v0
.LBB56_1307:
	s_mov_b32 s7, 0
.LBB56_1308:
	s_delay_alu instid0(SALU_CYCLE_1)
	s_and_not1_b32 vcc_lo, exec_lo, s7
	s_cbranch_vccnz .LBB56_1310
; %bb.1309:
	s_wait_loadcnt 0x0
	global_load_b32 v8, v[6:7], off
.LBB56_1310:
	s_cbranch_execnz .LBB56_1321
.LBB56_1311:
	s_sext_i32_i16 s7, s0
	s_delay_alu instid0(SALU_CYCLE_1)
	s_cmp_lt_i32 s7, 6
	s_cbranch_scc1 .LBB56_1314
; %bb.1312:
	s_cmp_gt_i32 s7, 6
	s_cbranch_scc0 .LBB56_1315
; %bb.1313:
	s_wait_loadcnt 0x0
	global_load_b64 v[0:1], v[6:7], off
	s_mov_b32 s7, 0
	s_wait_loadcnt 0x0
	v_and_or_b32 v0, 0x1ff, v1, v0
	v_lshrrev_b32_e32 v3, 8, v1
	v_bfe_u32 v5, v1, 20, 11
	v_lshrrev_b32_e32 v1, 16, v1
	s_delay_alu instid0(VALU_DEP_4) | instskip(NEXT) | instid1(VALU_DEP_3)
	v_cmp_ne_u32_e32 vcc_lo, 0, v0
	v_sub_nc_u32_e32 v8, 0x3f1, v5
	v_add_nc_u32_e32 v5, 0xfffffc10, v5
	v_cndmask_b32_e64 v0, 0, 1, vcc_lo
	s_delay_alu instid0(VALU_DEP_1) | instskip(NEXT) | instid1(VALU_DEP_4)
	v_and_or_b32 v0, 0xffe, v3, v0
	v_med3_i32 v3, v8, 0, 13
	s_delay_alu instid0(VALU_DEP_2) | instskip(NEXT) | instid1(VALU_DEP_1)
	v_or_b32_e32 v8, 0x1000, v0
	v_lshrrev_b32_e32 v9, v3, v8
	s_delay_alu instid0(VALU_DEP_1) | instskip(NEXT) | instid1(VALU_DEP_1)
	v_lshlrev_b32_e32 v3, v3, v9
	v_cmp_ne_u32_e32 vcc_lo, v3, v8
	v_lshl_or_b32 v8, v5, 12, v0
	v_cndmask_b32_e64 v3, 0, 1, vcc_lo
	v_cmp_gt_i32_e32 vcc_lo, 1, v5
	s_delay_alu instid0(VALU_DEP_2) | instskip(NEXT) | instid1(VALU_DEP_1)
	v_or_b32_e32 v3, v9, v3
	v_cndmask_b32_e32 v3, v8, v3, vcc_lo
	s_delay_alu instid0(VALU_DEP_1) | instskip(NEXT) | instid1(VALU_DEP_1)
	v_dual_lshrrev_b32 v3, 2, v3 :: v_dual_bitop2_b32 v8, 7, v3 bitop3:0x40
	v_cmp_lt_i32_e32 vcc_lo, 5, v8
	v_cndmask_b32_e64 v9, 0, 1, vcc_lo
	v_cmp_eq_u32_e32 vcc_lo, 3, v8
	v_cndmask_b32_e64 v8, 0, 1, vcc_lo
	v_cmp_ne_u32_e32 vcc_lo, 0, v0
	s_delay_alu instid0(VALU_DEP_2) | instskip(SKIP_1) | instid1(VALU_DEP_1)
	v_or_b32_e32 v8, v8, v9
	v_mov_b32_e32 v9, 0x7e00
	v_dual_cndmask_b32 v0, 0x7c00, v9 :: v_dual_add_nc_u32 v3, v3, v8
	v_cmp_gt_i32_e32 vcc_lo, 31, v5
	s_delay_alu instid0(VALU_DEP_2) | instskip(SKIP_1) | instid1(VALU_DEP_2)
	v_cndmask_b32_e32 v3, 0x7c00, v3, vcc_lo
	v_cmp_eq_u32_e32 vcc_lo, 0x40f, v5
	v_cndmask_b32_e32 v0, v3, v0, vcc_lo
	s_delay_alu instid0(VALU_DEP_1)
	v_and_or_b32 v8, 0x8000, v1, v0
	s_branch .LBB56_1316
.LBB56_1314:
	s_mov_b32 s7, -1
                                        ; implicit-def: $vgpr8
	s_branch .LBB56_1319
.LBB56_1315:
	s_mov_b32 s7, -1
                                        ; implicit-def: $vgpr8
.LBB56_1316:
	s_delay_alu instid0(SALU_CYCLE_1)
	s_and_not1_b32 vcc_lo, exec_lo, s7
	s_cbranch_vccnz .LBB56_1318
; %bb.1317:
	s_wait_loadcnt 0x0
	global_load_b32 v0, v[6:7], off
	s_wait_loadcnt 0x0
	v_cvt_f16_f32_e32 v8, v0
.LBB56_1318:
	s_mov_b32 s7, 0
.LBB56_1319:
	s_delay_alu instid0(SALU_CYCLE_1)
	s_and_not1_b32 vcc_lo, exec_lo, s7
	s_cbranch_vccnz .LBB56_1321
; %bb.1320:
	s_wait_loadcnt 0x0
	global_load_u16 v8, v[6:7], off
.LBB56_1321:
	s_cbranch_execnz .LBB56_1340
.LBB56_1322:
	s_sext_i32_i16 s7, s0
	s_delay_alu instid0(SALU_CYCLE_1)
	s_cmp_lt_i32 s7, 2
	s_cbranch_scc1 .LBB56_1326
; %bb.1323:
	s_cmp_lt_i32 s7, 3
	s_cbranch_scc1 .LBB56_1327
; %bb.1324:
	s_cmp_gt_i32 s7, 3
	s_cbranch_scc0 .LBB56_1328
; %bb.1325:
	s_wait_loadcnt 0x0
	global_load_b64 v[0:1], v[6:7], off
	s_mov_b32 s7, 0
	s_wait_loadcnt 0x0
	v_xor_b32_e32 v3, v0, v1
	v_cls_i32_e32 v5, v1
	s_delay_alu instid0(VALU_DEP_2) | instskip(NEXT) | instid1(VALU_DEP_1)
	v_ashrrev_i32_e32 v3, 31, v3
	v_add_nc_u32_e32 v3, 32, v3
	s_delay_alu instid0(VALU_DEP_1) | instskip(NEXT) | instid1(VALU_DEP_1)
	v_add_min_u32_e64 v3, v5, -1, v3
	v_lshlrev_b64_e32 v[0:1], v3, v[0:1]
	s_delay_alu instid0(VALU_DEP_1) | instskip(NEXT) | instid1(VALU_DEP_1)
	v_min_u32_e32 v0, 1, v0
	v_dual_sub_nc_u32 v1, 32, v3 :: v_dual_bitop2_b32 v0, v1, v0 bitop3:0x54
	s_delay_alu instid0(VALU_DEP_1) | instskip(NEXT) | instid1(VALU_DEP_1)
	v_cvt_f32_i32_e32 v0, v0
	v_ldexp_f32 v0, v0, v1
	s_delay_alu instid0(VALU_DEP_1)
	v_cvt_f16_f32_e32 v8, v0
	s_branch .LBB56_1329
.LBB56_1326:
                                        ; implicit-def: $vgpr8
	s_branch .LBB56_1335
.LBB56_1327:
	s_mov_b32 s7, -1
                                        ; implicit-def: $vgpr8
	s_branch .LBB56_1332
.LBB56_1328:
	s_mov_b32 s7, -1
                                        ; implicit-def: $vgpr8
.LBB56_1329:
	s_delay_alu instid0(SALU_CYCLE_1)
	s_and_not1_b32 vcc_lo, exec_lo, s7
	s_cbranch_vccnz .LBB56_1331
; %bb.1330:
	s_wait_loadcnt 0x0
	global_load_b32 v0, v[6:7], off
	s_wait_loadcnt 0x0
	v_cvt_f32_i32_e32 v0, v0
	s_delay_alu instid0(VALU_DEP_1)
	v_cvt_f16_f32_e32 v8, v0
.LBB56_1331:
	s_mov_b32 s7, 0
.LBB56_1332:
	s_delay_alu instid0(SALU_CYCLE_1)
	s_and_not1_b32 vcc_lo, exec_lo, s7
	s_cbranch_vccnz .LBB56_1334
; %bb.1333:
	s_wait_loadcnt 0x0
	global_load_u16 v0, v[6:7], off
	s_wait_loadcnt 0x0
	v_cvt_f16_i16_e32 v8, v0
.LBB56_1334:
	s_cbranch_execnz .LBB56_1340
.LBB56_1335:
	s_sext_i32_i16 s0, s0
	s_delay_alu instid0(SALU_CYCLE_1)
	s_cmp_gt_i32 s0, 0
	s_mov_b32 s0, 0
	s_cbranch_scc0 .LBB56_1337
; %bb.1336:
	s_wait_loadcnt 0x0
	global_load_i8 v0, v[6:7], off
	s_wait_loadcnt 0x0
	v_cvt_f16_i16_e32 v8, v0
	s_branch .LBB56_1338
.LBB56_1337:
	s_mov_b32 s0, -1
                                        ; implicit-def: $vgpr8
.LBB56_1338:
	s_delay_alu instid0(SALU_CYCLE_1)
	s_and_not1_b32 vcc_lo, exec_lo, s0
	s_cbranch_vccnz .LBB56_1340
; %bb.1339:
	s_wait_loadcnt 0x0
	global_load_u8 v0, v[6:7], off
	s_wait_loadcnt 0x0
	v_cvt_f16_u16_e32 v8, v0
.LBB56_1340:
	s_or_b32 s24, s24, exec_lo
.LBB56_1341:
	s_wait_xcnt 0x0
	s_or_b32 exec_lo, exec_lo, s6
	s_mov_b32 s8, 0
	s_mov_b32 s7, 0
	;; [unrolled: 1-line block ×3, first 2 shown]
                                        ; implicit-def: $sgpr0
                                        ; implicit-def: $vgpr0_vgpr1
                                        ; implicit-def: $vgpr5
	s_and_saveexec_b32 s6, s24
	s_cbranch_execz .LBB56_1349
; %bb.1342:
	v_mov_b32_e32 v5, 0
	s_and_b32 s0, s9, 0xff
	s_delay_alu instid0(SALU_CYCLE_1) | instskip(SKIP_1) | instid1(VALU_DEP_1)
	s_cmp_lt_i32 s0, 11
	s_wait_loadcnt 0x0
	v_add_nc_u64_e32 v[0:1], s[16:17], v[4:5]
	s_cbranch_scc1 .LBB56_1352
; %bb.1343:
	s_and_b32 s7, 0xffff, s0
	s_mov_b32 s9, 0
	s_cmp_gt_i32 s7, 25
	s_cbranch_scc0 .LBB56_1353
; %bb.1344:
	s_cmp_gt_i32 s7, 28
	s_cbranch_scc0 .LBB56_1354
; %bb.1345:
	;; [unrolled: 3-line block ×4, first 2 shown]
	s_cmp_eq_u32 s7, 46
	s_mov_b32 s11, 0
	s_cbranch_scc0 .LBB56_1357
; %bb.1348:
	global_load_b32 v3, v[0:1], off
	s_mov_b32 s10, -1
	s_wait_loadcnt 0x0
	v_lshlrev_b32_e32 v3, 16, v3
	s_delay_alu instid0(VALU_DEP_1)
	v_cvt_f16_f32_e32 v5, v3
	s_branch .LBB56_1359
.LBB56_1349:
	s_or_b32 exec_lo, exec_lo, s6
	s_and_saveexec_b32 s6, s39
	s_cbranch_execnz .LBB56_1422
.LBB56_1350:
	s_or_b32 exec_lo, exec_lo, s6
	s_and_saveexec_b32 s6, s8
	s_delay_alu instid0(SALU_CYCLE_1)
	s_xor_b32 s6, exec_lo, s6
	s_cbranch_execz .LBB56_1423
.LBB56_1351:
	s_wait_loadcnt 0x0
	global_load_u8 v3, v[0:1], off
	s_or_b32 s10, s10, exec_lo
	s_wait_loadcnt 0x0
	v_cmp_ne_u16_e32 vcc_lo, 0, v3
	v_cndmask_b32_e64 v5, 0, 0x3c00, vcc_lo
	s_wait_xcnt 0x0
	s_or_b32 exec_lo, exec_lo, s6
	s_and_saveexec_b32 s6, s7
	s_cbranch_execz .LBB56_1469
	s_branch .LBB56_1424
.LBB56_1352:
	s_mov_b32 s7, -1
	s_mov_b32 s9, 0
	s_mov_b32 s8, s39
                                        ; implicit-def: $vgpr5
	s_branch .LBB56_1421
.LBB56_1353:
	s_mov_b32 s8, s39
                                        ; implicit-def: $vgpr5
	s_cbranch_execnz .LBB56_1388
	s_branch .LBB56_1420
.LBB56_1354:
	s_mov_b32 s11, -1
	s_mov_b32 s8, s39
                                        ; implicit-def: $vgpr5
	s_branch .LBB56_1369
.LBB56_1355:
	s_mov_b32 s11, -1
	s_mov_b32 s8, s39
                                        ; implicit-def: $vgpr5
	s_branch .LBB56_1364
.LBB56_1356:
	s_mov_b32 s11, -1
	s_mov_b32 s8, s39
	s_branch .LBB56_1358
.LBB56_1357:
	s_mov_b32 s8, -1
.LBB56_1358:
                                        ; implicit-def: $vgpr5
.LBB56_1359:
	s_and_b32 vcc_lo, exec_lo, s11
	s_cbranch_vccz .LBB56_1363
; %bb.1360:
	s_cmp_eq_u32 s7, 44
	s_cbranch_scc0 .LBB56_1362
; %bb.1361:
	global_load_u8 v3, v[0:1], off
	s_mov_b32 s8, 0
	s_mov_b32 s10, -1
	s_wait_loadcnt 0x0
	v_lshlrev_b32_e32 v4, 23, v3
	v_cmp_ne_u32_e32 vcc_lo, 0xff, v3
	s_delay_alu instid0(VALU_DEP_2) | instskip(NEXT) | instid1(VALU_DEP_1)
	v_cvt_f16_f32_e32 v4, v4
	v_cndmask_b32_e32 v4, 0x7e00, v4, vcc_lo
	v_cmp_ne_u32_e32 vcc_lo, 0, v3
	s_delay_alu instid0(VALU_DEP_2)
	v_cndmask_b32_e32 v5, 0, v4, vcc_lo
	s_branch .LBB56_1363
.LBB56_1362:
	s_mov_b32 s8, -1
                                        ; implicit-def: $vgpr5
.LBB56_1363:
	s_mov_b32 s11, 0
.LBB56_1364:
	s_delay_alu instid0(SALU_CYCLE_1)
	s_and_b32 vcc_lo, exec_lo, s11
	s_cbranch_vccz .LBB56_1368
; %bb.1365:
	s_cmp_eq_u32 s7, 29
	s_cbranch_scc0 .LBB56_1367
; %bb.1366:
	global_load_b64 v[4:5], v[0:1], off
	s_mov_b32 s8, 0
	s_mov_b32 s10, -1
	s_mov_b32 s11, 0
	s_wait_loadcnt 0x0
	v_clz_i32_u32_e32 v3, v5
	s_delay_alu instid0(VALU_DEP_1) | instskip(NEXT) | instid1(VALU_DEP_1)
	v_min_u32_e32 v3, 32, v3
	v_lshlrev_b64_e32 v[4:5], v3, v[4:5]
	v_sub_nc_u32_e32 v3, 32, v3
	s_delay_alu instid0(VALU_DEP_2) | instskip(NEXT) | instid1(VALU_DEP_1)
	v_min_u32_e32 v4, 1, v4
	v_or_b32_e32 v4, v5, v4
	s_delay_alu instid0(VALU_DEP_1) | instskip(NEXT) | instid1(VALU_DEP_1)
	v_cvt_f32_u32_e32 v4, v4
	v_ldexp_f32 v3, v4, v3
	s_delay_alu instid0(VALU_DEP_1)
	v_cvt_f16_f32_e32 v5, v3
	s_branch .LBB56_1369
.LBB56_1367:
	s_mov_b32 s8, -1
                                        ; implicit-def: $vgpr5
.LBB56_1368:
	s_mov_b32 s11, 0
.LBB56_1369:
	s_delay_alu instid0(SALU_CYCLE_1)
	s_and_b32 vcc_lo, exec_lo, s11
	s_cbranch_vccz .LBB56_1387
; %bb.1370:
	s_cmp_lt_i32 s7, 27
	s_cbranch_scc1 .LBB56_1373
; %bb.1371:
	s_cmp_gt_i32 s7, 27
	s_cbranch_scc0 .LBB56_1374
; %bb.1372:
	global_load_b32 v3, v[0:1], off
	s_mov_b32 s10, 0
	s_wait_loadcnt 0x0
	v_cvt_f32_u32_e32 v3, v3
	s_delay_alu instid0(VALU_DEP_1)
	v_cvt_f16_f32_e32 v5, v3
	s_branch .LBB56_1375
.LBB56_1373:
	s_mov_b32 s10, -1
                                        ; implicit-def: $vgpr5
	s_branch .LBB56_1378
.LBB56_1374:
	s_mov_b32 s10, -1
                                        ; implicit-def: $vgpr5
.LBB56_1375:
	s_delay_alu instid0(SALU_CYCLE_1)
	s_and_not1_b32 vcc_lo, exec_lo, s10
	s_cbranch_vccnz .LBB56_1377
; %bb.1376:
	global_load_u16 v3, v[0:1], off
	s_wait_loadcnt 0x0
	v_cvt_f16_u16_e32 v5, v3
.LBB56_1377:
	s_mov_b32 s10, 0
.LBB56_1378:
	s_delay_alu instid0(SALU_CYCLE_1)
	s_and_not1_b32 vcc_lo, exec_lo, s10
	s_cbranch_vccnz .LBB56_1386
; %bb.1379:
	global_load_u8 v3, v[0:1], off
	s_mov_b32 s10, 0
	s_mov_b32 s11, exec_lo
	s_wait_loadcnt 0x0
	v_cmpx_lt_i16_e32 0x7f, v3
	s_xor_b32 s11, exec_lo, s11
	s_cbranch_execz .LBB56_1399
; %bb.1380:
	s_mov_b32 s10, -1
	s_mov_b32 s12, exec_lo
	v_cmpx_eq_u16_e32 0x80, v3
; %bb.1381:
	s_xor_b32 s10, exec_lo, -1
; %bb.1382:
	s_or_b32 exec_lo, exec_lo, s12
	s_delay_alu instid0(SALU_CYCLE_1)
	s_and_b32 s10, s10, exec_lo
	s_or_saveexec_b32 s11, s11
	v_mov_b32_e32 v5, 0x7e00
	s_xor_b32 exec_lo, exec_lo, s11
	s_cbranch_execnz .LBB56_1400
.LBB56_1383:
	s_or_b32 exec_lo, exec_lo, s11
	s_and_saveexec_b32 s11, s10
	s_cbranch_execz .LBB56_1385
.LBB56_1384:
	v_and_b32_e32 v4, 0xffff, v3
	s_delay_alu instid0(VALU_DEP_1) | instskip(SKIP_1) | instid1(VALU_DEP_2)
	v_and_b32_e32 v5, 7, v4
	v_bfe_u32 v9, v4, 3, 4
	v_clz_i32_u32_e32 v6, v5
	s_delay_alu instid0(VALU_DEP_2) | instskip(NEXT) | instid1(VALU_DEP_2)
	v_cmp_eq_u32_e32 vcc_lo, 0, v9
	v_min_u32_e32 v6, 32, v6
	s_delay_alu instid0(VALU_DEP_1) | instskip(NEXT) | instid1(VALU_DEP_1)
	v_subrev_nc_u32_e32 v7, 28, v6
	v_dual_lshlrev_b32 v4, v7, v4 :: v_dual_sub_nc_u32 v6, 29, v6
	s_delay_alu instid0(VALU_DEP_1) | instskip(NEXT) | instid1(VALU_DEP_2)
	v_dual_lshlrev_b32 v3, 24, v3 :: v_dual_bitop2_b32 v4, 7, v4 bitop3:0x40
	v_cndmask_b32_e32 v6, v9, v6, vcc_lo
	s_delay_alu instid0(VALU_DEP_2) | instskip(NEXT) | instid1(VALU_DEP_3)
	v_cndmask_b32_e32 v4, v5, v4, vcc_lo
	v_and_b32_e32 v3, 0x80000000, v3
	s_delay_alu instid0(VALU_DEP_3) | instskip(NEXT) | instid1(VALU_DEP_3)
	v_lshl_add_u32 v5, v6, 23, 0x3b800000
	v_lshlrev_b32_e32 v4, 20, v4
	s_delay_alu instid0(VALU_DEP_1) | instskip(NEXT) | instid1(VALU_DEP_1)
	v_or3_b32 v3, v3, v5, v4
	v_cvt_f16_f32_e32 v5, v3
.LBB56_1385:
	s_or_b32 exec_lo, exec_lo, s11
.LBB56_1386:
	s_mov_b32 s10, -1
.LBB56_1387:
	s_branch .LBB56_1420
.LBB56_1388:
	s_cmp_gt_i32 s7, 22
	s_cbranch_scc0 .LBB56_1398
; %bb.1389:
	s_cmp_lt_i32 s7, 24
	s_cbranch_scc1 .LBB56_1401
; %bb.1390:
	s_cmp_gt_i32 s7, 24
	s_cbranch_scc0 .LBB56_1402
; %bb.1391:
	global_load_u8 v3, v[0:1], off
	s_mov_b32 s10, exec_lo
	s_wait_loadcnt 0x0
	v_cmpx_lt_i16_e32 0x7f, v3
	s_xor_b32 s10, exec_lo, s10
	s_cbranch_execz .LBB56_1414
; %bb.1392:
	s_mov_b32 s9, -1
	s_mov_b32 s11, exec_lo
	v_cmpx_eq_u16_e32 0x80, v3
; %bb.1393:
	s_xor_b32 s9, exec_lo, -1
; %bb.1394:
	s_or_b32 exec_lo, exec_lo, s11
	s_delay_alu instid0(SALU_CYCLE_1)
	s_and_b32 s9, s9, exec_lo
	s_or_saveexec_b32 s10, s10
	v_mov_b32_e32 v5, 0x7e00
	s_xor_b32 exec_lo, exec_lo, s10
	s_cbranch_execnz .LBB56_1415
.LBB56_1395:
	s_or_b32 exec_lo, exec_lo, s10
	s_and_saveexec_b32 s10, s9
	s_cbranch_execz .LBB56_1397
.LBB56_1396:
	v_and_b32_e32 v4, 0xffff, v3
	s_delay_alu instid0(VALU_DEP_1) | instskip(SKIP_1) | instid1(VALU_DEP_2)
	v_and_b32_e32 v5, 3, v4
	v_bfe_u32 v9, v4, 2, 5
	v_clz_i32_u32_e32 v6, v5
	s_delay_alu instid0(VALU_DEP_2) | instskip(NEXT) | instid1(VALU_DEP_2)
	v_cmp_eq_u32_e32 vcc_lo, 0, v9
	v_min_u32_e32 v6, 32, v6
	s_delay_alu instid0(VALU_DEP_1) | instskip(NEXT) | instid1(VALU_DEP_1)
	v_subrev_nc_u32_e32 v7, 29, v6
	v_dual_lshlrev_b32 v4, v7, v4 :: v_dual_sub_nc_u32 v6, 30, v6
	s_delay_alu instid0(VALU_DEP_1) | instskip(NEXT) | instid1(VALU_DEP_2)
	v_dual_lshlrev_b32 v3, 24, v3 :: v_dual_bitop2_b32 v4, 3, v4 bitop3:0x40
	v_cndmask_b32_e32 v6, v9, v6, vcc_lo
	s_delay_alu instid0(VALU_DEP_2) | instskip(NEXT) | instid1(VALU_DEP_3)
	v_cndmask_b32_e32 v4, v5, v4, vcc_lo
	v_and_b32_e32 v3, 0x80000000, v3
	s_delay_alu instid0(VALU_DEP_3) | instskip(NEXT) | instid1(VALU_DEP_3)
	v_lshl_add_u32 v5, v6, 23, 0x37800000
	v_lshlrev_b32_e32 v4, 21, v4
	s_delay_alu instid0(VALU_DEP_1) | instskip(NEXT) | instid1(VALU_DEP_1)
	v_or3_b32 v3, v3, v5, v4
	v_cvt_f16_f32_e32 v5, v3
.LBB56_1397:
	s_or_b32 exec_lo, exec_lo, s10
	s_mov_b32 s9, 0
	s_branch .LBB56_1403
.LBB56_1398:
	s_mov_b32 s9, -1
                                        ; implicit-def: $vgpr5
	s_branch .LBB56_1409
.LBB56_1399:
	s_or_saveexec_b32 s11, s11
	v_mov_b32_e32 v5, 0x7e00
	s_xor_b32 exec_lo, exec_lo, s11
	s_cbranch_execz .LBB56_1383
.LBB56_1400:
	v_cmp_ne_u16_e32 vcc_lo, 0, v3
	v_mov_b32_e32 v5, v3
	s_and_not1_b32 s10, s10, exec_lo
	s_and_b32 s12, vcc_lo, exec_lo
	s_delay_alu instid0(SALU_CYCLE_1)
	s_or_b32 s10, s10, s12
	s_or_b32 exec_lo, exec_lo, s11
	s_and_saveexec_b32 s11, s10
	s_cbranch_execnz .LBB56_1384
	s_branch .LBB56_1385
.LBB56_1401:
	s_mov_b32 s9, -1
                                        ; implicit-def: $vgpr5
	s_branch .LBB56_1406
.LBB56_1402:
	s_mov_b32 s9, -1
                                        ; implicit-def: $vgpr5
.LBB56_1403:
	s_delay_alu instid0(SALU_CYCLE_1)
	s_and_b32 vcc_lo, exec_lo, s9
	s_cbranch_vccz .LBB56_1405
; %bb.1404:
	global_load_u8 v3, v[0:1], off
	s_wait_loadcnt 0x0
	v_lshlrev_b32_e32 v3, 24, v3
	s_delay_alu instid0(VALU_DEP_1) | instskip(NEXT) | instid1(VALU_DEP_1)
	v_and_b32_e32 v4, 0x7f000000, v3
	v_clz_i32_u32_e32 v5, v4
	v_cmp_ne_u32_e32 vcc_lo, 0, v4
	v_add_nc_u32_e32 v7, 0x1000000, v4
	s_delay_alu instid0(VALU_DEP_3) | instskip(NEXT) | instid1(VALU_DEP_1)
	v_min_u32_e32 v5, 32, v5
	v_sub_nc_u32_e64 v5, v5, 4 clamp
	s_delay_alu instid0(VALU_DEP_1) | instskip(NEXT) | instid1(VALU_DEP_1)
	v_dual_lshlrev_b32 v6, v5, v4 :: v_dual_lshlrev_b32 v5, 23, v5
	v_lshrrev_b32_e32 v6, 4, v6
	s_delay_alu instid0(VALU_DEP_1) | instskip(NEXT) | instid1(VALU_DEP_1)
	v_dual_sub_nc_u32 v5, v6, v5 :: v_dual_ashrrev_i32 v6, 8, v7
	v_add_nc_u32_e32 v5, 0x3c000000, v5
	s_delay_alu instid0(VALU_DEP_1) | instskip(NEXT) | instid1(VALU_DEP_1)
	v_and_or_b32 v5, 0x7f800000, v6, v5
	v_cndmask_b32_e32 v4, 0, v5, vcc_lo
	s_delay_alu instid0(VALU_DEP_1) | instskip(NEXT) | instid1(VALU_DEP_1)
	v_and_or_b32 v3, 0x80000000, v3, v4
	v_cvt_f16_f32_e32 v5, v3
.LBB56_1405:
	s_mov_b32 s9, 0
.LBB56_1406:
	s_delay_alu instid0(SALU_CYCLE_1)
	s_and_not1_b32 vcc_lo, exec_lo, s9
	s_cbranch_vccnz .LBB56_1408
; %bb.1407:
	global_load_u8 v3, v[0:1], off
	s_wait_loadcnt 0x0
	v_lshlrev_b32_e32 v4, 25, v3
	v_lshlrev_b16 v3, 8, v3
	s_delay_alu instid0(VALU_DEP_1) | instskip(SKIP_1) | instid1(VALU_DEP_2)
	v_and_or_b32 v6, 0x7f00, v3, 0.5
	v_bfe_i32 v3, v3, 0, 16
	v_dual_add_f32 v6, -0.5, v6 :: v_dual_lshrrev_b32 v5, 4, v4
	v_cmp_gt_u32_e32 vcc_lo, 0x8000000, v4
	s_delay_alu instid0(VALU_DEP_2) | instskip(NEXT) | instid1(VALU_DEP_1)
	v_or_b32_e32 v5, 0x70000000, v5
	v_mul_f32_e32 v5, 0x7800000, v5
	s_delay_alu instid0(VALU_DEP_1) | instskip(NEXT) | instid1(VALU_DEP_1)
	v_cndmask_b32_e32 v4, v5, v6, vcc_lo
	v_and_or_b32 v3, 0x80000000, v3, v4
	s_delay_alu instid0(VALU_DEP_1)
	v_cvt_f16_f32_e32 v5, v3
.LBB56_1408:
	s_mov_b32 s9, 0
	s_mov_b32 s10, -1
.LBB56_1409:
	s_and_not1_b32 vcc_lo, exec_lo, s9
	s_mov_b32 s9, 0
	s_cbranch_vccnz .LBB56_1420
; %bb.1410:
	s_cmp_gt_i32 s7, 14
	s_cbranch_scc0 .LBB56_1413
; %bb.1411:
	s_cmp_eq_u32 s7, 15
	s_cbranch_scc0 .LBB56_1416
; %bb.1412:
	global_load_u16 v3, v[0:1], off
	s_mov_b32 s8, 0
	s_mov_b32 s10, -1
	s_wait_loadcnt 0x0
	v_lshlrev_b32_e32 v3, 16, v3
	s_delay_alu instid0(VALU_DEP_1)
	v_cvt_f16_f32_e32 v5, v3
	s_branch .LBB56_1418
.LBB56_1413:
	s_mov_b32 s9, -1
	s_branch .LBB56_1417
.LBB56_1414:
	s_or_saveexec_b32 s10, s10
	v_mov_b32_e32 v5, 0x7e00
	s_xor_b32 exec_lo, exec_lo, s10
	s_cbranch_execz .LBB56_1395
.LBB56_1415:
	v_cmp_ne_u16_e32 vcc_lo, 0, v3
	v_mov_b32_e32 v5, v3
	s_and_not1_b32 s9, s9, exec_lo
	s_and_b32 s11, vcc_lo, exec_lo
	s_delay_alu instid0(SALU_CYCLE_1)
	s_or_b32 s9, s9, s11
	s_or_b32 exec_lo, exec_lo, s10
	s_and_saveexec_b32 s10, s9
	s_cbranch_execnz .LBB56_1396
	s_branch .LBB56_1397
.LBB56_1416:
	s_mov_b32 s8, -1
.LBB56_1417:
                                        ; implicit-def: $vgpr5
.LBB56_1418:
	s_and_b32 vcc_lo, exec_lo, s9
	s_mov_b32 s9, 0
	s_cbranch_vccz .LBB56_1420
; %bb.1419:
	s_cmp_lg_u32 s7, 11
	s_mov_b32 s9, -1
	s_cselect_b32 s7, -1, 0
	s_and_not1_b32 s8, s8, exec_lo
	s_and_b32 s7, s7, exec_lo
	s_delay_alu instid0(SALU_CYCLE_1)
	s_or_b32 s8, s8, s7
.LBB56_1420:
	s_mov_b32 s7, 0
.LBB56_1421:
	s_and_not1_b32 s11, s39, exec_lo
	s_and_b32 s12, s8, exec_lo
	s_and_b32 s10, s10, exec_lo
	;; [unrolled: 1-line block ×4, first 2 shown]
	s_or_b32 s39, s11, s12
	s_wait_xcnt 0x0
	s_or_b32 exec_lo, exec_lo, s6
	s_and_saveexec_b32 s6, s39
	s_cbranch_execz .LBB56_1350
.LBB56_1422:
	s_or_b32 s1, s1, exec_lo
	s_and_not1_b32 s8, s8, exec_lo
	s_trap 2
	s_or_b32 exec_lo, exec_lo, s6
	s_and_saveexec_b32 s6, s8
	s_delay_alu instid0(SALU_CYCLE_1)
	s_xor_b32 s6, exec_lo, s6
	s_cbranch_execnz .LBB56_1351
.LBB56_1423:
	s_or_b32 exec_lo, exec_lo, s6
	s_and_saveexec_b32 s6, s7
	s_cbranch_execz .LBB56_1469
.LBB56_1424:
	s_sext_i32_i16 s7, s0
	s_delay_alu instid0(SALU_CYCLE_1)
	s_cmp_lt_i32 s7, 5
	s_cbranch_scc1 .LBB56_1429
; %bb.1425:
	s_cmp_lt_i32 s7, 8
	s_cbranch_scc1 .LBB56_1430
; %bb.1426:
	;; [unrolled: 3-line block ×3, first 2 shown]
	s_cmp_gt_i32 s7, 9
	s_cbranch_scc0 .LBB56_1432
; %bb.1428:
	s_wait_loadcnt 0x0
	global_load_b64 v[4:5], v[0:1], off
	s_mov_b32 s7, 0
	s_wait_loadcnt 0x0
	v_and_or_b32 v3, 0x1ff, v5, v4
	v_lshrrev_b32_e32 v4, 8, v5
	v_bfe_u32 v6, v5, 20, 11
	s_delay_alu instid0(VALU_DEP_3) | instskip(NEXT) | instid1(VALU_DEP_2)
	v_cmp_ne_u32_e32 vcc_lo, 0, v3
	v_sub_nc_u32_e32 v7, 0x3f1, v6
	v_add_nc_u32_e32 v6, 0xfffffc10, v6
	v_cndmask_b32_e64 v3, 0, 1, vcc_lo
	s_delay_alu instid0(VALU_DEP_1) | instskip(NEXT) | instid1(VALU_DEP_4)
	v_and_or_b32 v3, 0xffe, v4, v3
	v_med3_i32 v4, v7, 0, 13
	s_delay_alu instid0(VALU_DEP_2) | instskip(NEXT) | instid1(VALU_DEP_1)
	v_or_b32_e32 v7, 0x1000, v3
	v_lshrrev_b32_e32 v9, v4, v7
	s_delay_alu instid0(VALU_DEP_1) | instskip(NEXT) | instid1(VALU_DEP_1)
	v_lshlrev_b32_e32 v4, v4, v9
	v_cmp_ne_u32_e32 vcc_lo, v4, v7
	v_lshl_or_b32 v7, v6, 12, v3
	v_cndmask_b32_e64 v4, 0, 1, vcc_lo
	v_cmp_gt_i32_e32 vcc_lo, 1, v6
	s_delay_alu instid0(VALU_DEP_2) | instskip(NEXT) | instid1(VALU_DEP_1)
	v_or_b32_e32 v4, v9, v4
	v_cndmask_b32_e32 v4, v7, v4, vcc_lo
	s_delay_alu instid0(VALU_DEP_1) | instskip(NEXT) | instid1(VALU_DEP_1)
	v_dual_lshrrev_b32 v4, 2, v4 :: v_dual_bitop2_b32 v7, 7, v4 bitop3:0x40
	v_cmp_lt_i32_e32 vcc_lo, 5, v7
	v_cndmask_b32_e64 v9, 0, 1, vcc_lo
	v_cmp_eq_u32_e32 vcc_lo, 3, v7
	v_cndmask_b32_e64 v7, 0, 1, vcc_lo
	v_cmp_ne_u32_e32 vcc_lo, 0, v3
	s_delay_alu instid0(VALU_DEP_2) | instskip(NEXT) | instid1(VALU_DEP_1)
	v_or_b32_e32 v7, v7, v9
	v_dual_mov_b32 v9, 0x7e00 :: v_dual_add_nc_u32 v4, v4, v7
	s_delay_alu instid0(VALU_DEP_1) | instskip(SKIP_1) | instid1(VALU_DEP_3)
	v_cndmask_b32_e32 v3, 0x7c00, v9, vcc_lo
	v_cmp_gt_i32_e32 vcc_lo, 31, v6
	v_cndmask_b32_e32 v4, 0x7c00, v4, vcc_lo
	v_cmp_eq_u32_e32 vcc_lo, 0x40f, v6
	s_delay_alu instid0(VALU_DEP_2) | instskip(NEXT) | instid1(VALU_DEP_1)
	v_dual_cndmask_b32 v3, v4, v3 :: v_dual_lshrrev_b32 v4, 16, v5
	v_and_or_b32 v5, 0x8000, v4, v3
	s_branch .LBB56_1433
.LBB56_1429:
                                        ; implicit-def: $vgpr5
	s_branch .LBB56_1450
.LBB56_1430:
                                        ; implicit-def: $vgpr5
	s_branch .LBB56_1439
.LBB56_1431:
	s_mov_b32 s7, -1
                                        ; implicit-def: $vgpr5
	s_branch .LBB56_1436
.LBB56_1432:
	s_mov_b32 s7, -1
                                        ; implicit-def: $vgpr5
.LBB56_1433:
	s_delay_alu instid0(SALU_CYCLE_1)
	s_and_not1_b32 vcc_lo, exec_lo, s7
	s_cbranch_vccnz .LBB56_1435
; %bb.1434:
	s_wait_loadcnt 0x0
	global_load_b32 v3, v[0:1], off
	s_wait_loadcnt 0x0
	v_cvt_f16_f32_e32 v5, v3
.LBB56_1435:
	s_mov_b32 s7, 0
.LBB56_1436:
	s_delay_alu instid0(SALU_CYCLE_1)
	s_and_not1_b32 vcc_lo, exec_lo, s7
	s_cbranch_vccnz .LBB56_1438
; %bb.1437:
	s_wait_loadcnt 0x0
	global_load_b32 v5, v[0:1], off
.LBB56_1438:
	s_cbranch_execnz .LBB56_1449
.LBB56_1439:
	s_sext_i32_i16 s7, s0
	s_delay_alu instid0(SALU_CYCLE_1)
	s_cmp_lt_i32 s7, 6
	s_cbranch_scc1 .LBB56_1442
; %bb.1440:
	s_cmp_gt_i32 s7, 6
	s_cbranch_scc0 .LBB56_1443
; %bb.1441:
	s_wait_loadcnt 0x0
	global_load_b64 v[4:5], v[0:1], off
	s_mov_b32 s7, 0
	s_wait_loadcnt 0x0
	v_and_or_b32 v3, 0x1ff, v5, v4
	v_lshrrev_b32_e32 v4, 8, v5
	v_bfe_u32 v6, v5, 20, 11
	s_delay_alu instid0(VALU_DEP_3) | instskip(NEXT) | instid1(VALU_DEP_2)
	v_cmp_ne_u32_e32 vcc_lo, 0, v3
	v_sub_nc_u32_e32 v7, 0x3f1, v6
	v_add_nc_u32_e32 v6, 0xfffffc10, v6
	v_cndmask_b32_e64 v3, 0, 1, vcc_lo
	s_delay_alu instid0(VALU_DEP_1) | instskip(NEXT) | instid1(VALU_DEP_4)
	v_and_or_b32 v3, 0xffe, v4, v3
	v_med3_i32 v4, v7, 0, 13
	s_delay_alu instid0(VALU_DEP_2) | instskip(NEXT) | instid1(VALU_DEP_1)
	v_or_b32_e32 v7, 0x1000, v3
	v_lshrrev_b32_e32 v9, v4, v7
	s_delay_alu instid0(VALU_DEP_1) | instskip(NEXT) | instid1(VALU_DEP_1)
	v_lshlrev_b32_e32 v4, v4, v9
	v_cmp_ne_u32_e32 vcc_lo, v4, v7
	v_lshl_or_b32 v7, v6, 12, v3
	v_cndmask_b32_e64 v4, 0, 1, vcc_lo
	v_cmp_gt_i32_e32 vcc_lo, 1, v6
	s_delay_alu instid0(VALU_DEP_2) | instskip(NEXT) | instid1(VALU_DEP_1)
	v_or_b32_e32 v4, v9, v4
	v_cndmask_b32_e32 v4, v7, v4, vcc_lo
	s_delay_alu instid0(VALU_DEP_1) | instskip(NEXT) | instid1(VALU_DEP_1)
	v_dual_lshrrev_b32 v4, 2, v4 :: v_dual_bitop2_b32 v7, 7, v4 bitop3:0x40
	v_cmp_lt_i32_e32 vcc_lo, 5, v7
	v_cndmask_b32_e64 v9, 0, 1, vcc_lo
	v_cmp_eq_u32_e32 vcc_lo, 3, v7
	v_cndmask_b32_e64 v7, 0, 1, vcc_lo
	v_cmp_ne_u32_e32 vcc_lo, 0, v3
	s_delay_alu instid0(VALU_DEP_2) | instskip(NEXT) | instid1(VALU_DEP_1)
	v_or_b32_e32 v7, v7, v9
	v_dual_mov_b32 v9, 0x7e00 :: v_dual_add_nc_u32 v4, v4, v7
	s_delay_alu instid0(VALU_DEP_1) | instskip(SKIP_1) | instid1(VALU_DEP_3)
	v_cndmask_b32_e32 v3, 0x7c00, v9, vcc_lo
	v_cmp_gt_i32_e32 vcc_lo, 31, v6
	v_cndmask_b32_e32 v4, 0x7c00, v4, vcc_lo
	v_cmp_eq_u32_e32 vcc_lo, 0x40f, v6
	s_delay_alu instid0(VALU_DEP_2) | instskip(NEXT) | instid1(VALU_DEP_1)
	v_dual_cndmask_b32 v3, v4, v3 :: v_dual_lshrrev_b32 v4, 16, v5
	v_and_or_b32 v5, 0x8000, v4, v3
	s_branch .LBB56_1444
.LBB56_1442:
	s_mov_b32 s7, -1
                                        ; implicit-def: $vgpr5
	s_branch .LBB56_1447
.LBB56_1443:
	s_mov_b32 s7, -1
                                        ; implicit-def: $vgpr5
.LBB56_1444:
	s_delay_alu instid0(SALU_CYCLE_1)
	s_and_not1_b32 vcc_lo, exec_lo, s7
	s_cbranch_vccnz .LBB56_1446
; %bb.1445:
	s_wait_loadcnt 0x0
	global_load_b32 v3, v[0:1], off
	s_wait_loadcnt 0x0
	v_cvt_f16_f32_e32 v5, v3
.LBB56_1446:
	s_mov_b32 s7, 0
.LBB56_1447:
	s_delay_alu instid0(SALU_CYCLE_1)
	s_and_not1_b32 vcc_lo, exec_lo, s7
	s_cbranch_vccnz .LBB56_1449
; %bb.1448:
	s_wait_loadcnt 0x0
	global_load_u16 v5, v[0:1], off
.LBB56_1449:
	s_cbranch_execnz .LBB56_1468
.LBB56_1450:
	s_sext_i32_i16 s7, s0
	s_delay_alu instid0(SALU_CYCLE_1)
	s_cmp_lt_i32 s7, 2
	s_cbranch_scc1 .LBB56_1454
; %bb.1451:
	s_cmp_lt_i32 s7, 3
	s_cbranch_scc1 .LBB56_1455
; %bb.1452:
	s_cmp_gt_i32 s7, 3
	s_cbranch_scc0 .LBB56_1456
; %bb.1453:
	s_wait_loadcnt 0x0
	global_load_b64 v[4:5], v[0:1], off
	s_mov_b32 s7, 0
	s_wait_loadcnt 0x0
	v_xor_b32_e32 v3, v4, v5
	v_cls_i32_e32 v6, v5
	s_delay_alu instid0(VALU_DEP_2) | instskip(NEXT) | instid1(VALU_DEP_1)
	v_ashrrev_i32_e32 v3, 31, v3
	v_add_nc_u32_e32 v3, 32, v3
	s_delay_alu instid0(VALU_DEP_1) | instskip(NEXT) | instid1(VALU_DEP_1)
	v_add_min_u32_e64 v3, v6, -1, v3
	v_lshlrev_b64_e32 v[4:5], v3, v[4:5]
	v_sub_nc_u32_e32 v3, 32, v3
	s_delay_alu instid0(VALU_DEP_2) | instskip(NEXT) | instid1(VALU_DEP_1)
	v_min_u32_e32 v4, 1, v4
	v_or_b32_e32 v4, v5, v4
	s_delay_alu instid0(VALU_DEP_1) | instskip(NEXT) | instid1(VALU_DEP_1)
	v_cvt_f32_i32_e32 v4, v4
	v_ldexp_f32 v3, v4, v3
	s_delay_alu instid0(VALU_DEP_1)
	v_cvt_f16_f32_e32 v5, v3
	s_branch .LBB56_1457
.LBB56_1454:
                                        ; implicit-def: $vgpr5
	s_branch .LBB56_1463
.LBB56_1455:
	s_mov_b32 s7, -1
                                        ; implicit-def: $vgpr5
	s_branch .LBB56_1460
.LBB56_1456:
	s_mov_b32 s7, -1
                                        ; implicit-def: $vgpr5
.LBB56_1457:
	s_delay_alu instid0(SALU_CYCLE_1)
	s_and_not1_b32 vcc_lo, exec_lo, s7
	s_cbranch_vccnz .LBB56_1459
; %bb.1458:
	s_wait_loadcnt 0x0
	global_load_b32 v3, v[0:1], off
	s_wait_loadcnt 0x0
	v_cvt_f32_i32_e32 v3, v3
	s_delay_alu instid0(VALU_DEP_1)
	v_cvt_f16_f32_e32 v5, v3
.LBB56_1459:
	s_mov_b32 s7, 0
.LBB56_1460:
	s_delay_alu instid0(SALU_CYCLE_1)
	s_and_not1_b32 vcc_lo, exec_lo, s7
	s_cbranch_vccnz .LBB56_1462
; %bb.1461:
	s_wait_loadcnt 0x0
	global_load_u16 v3, v[0:1], off
	s_wait_loadcnt 0x0
	v_cvt_f16_i16_e32 v5, v3
.LBB56_1462:
	s_cbranch_execnz .LBB56_1468
.LBB56_1463:
	s_sext_i32_i16 s0, s0
	s_delay_alu instid0(SALU_CYCLE_1)
	s_cmp_gt_i32 s0, 0
	s_mov_b32 s0, 0
	s_cbranch_scc0 .LBB56_1465
; %bb.1464:
	s_wait_loadcnt 0x0
	global_load_i8 v3, v[0:1], off
	s_wait_loadcnt 0x0
	v_cvt_f16_i16_e32 v5, v3
	s_branch .LBB56_1466
.LBB56_1465:
	s_mov_b32 s0, -1
                                        ; implicit-def: $vgpr5
.LBB56_1466:
	s_delay_alu instid0(SALU_CYCLE_1)
	s_and_not1_b32 vcc_lo, exec_lo, s0
	s_cbranch_vccnz .LBB56_1468
; %bb.1467:
	s_wait_loadcnt 0x0
	global_load_u8 v0, v[0:1], off
	s_wait_loadcnt 0x0
	v_cvt_f16_u16_e32 v5, v0
.LBB56_1468:
	s_or_b32 s10, s10, exec_lo
.LBB56_1469:
	s_wait_xcnt 0x0
	s_or_b32 exec_lo, exec_lo, s6
	s_mov_b32 s0, 0
	s_mov_b32 s8, 0
                                        ; implicit-def: $sgpr6
                                        ; implicit-def: $vgpr0_vgpr1
                                        ; implicit-def: $vgpr3
	s_and_saveexec_b32 s7, s10
	s_cbranch_execz .LBB56_1544
; %bb.1470:
	v_mov_b32_e32 v3, 0
	s_wait_loadcnt 0x0
	v_mul_f16_e32 v4, v8, v5
	v_cmp_lt_f16_e32 vcc_lo, 0, v8
	s_and_b32 s6, s31, 0xff
	s_mov_b32 s9, 0
	v_add_nc_u64_e32 v[0:1], s[4:5], v[2:3]
	s_mov_b32 s5, -1
	v_cndmask_b32_e32 v3, v4, v8, vcc_lo
	s_cmp_lt_i32 s6, 11
	s_mov_b32 s0, s38
	s_cbranch_scc1 .LBB56_1548
; %bb.1471:
	s_and_b32 s4, 0xffff, s6
	s_mov_b32 s0, s38
	s_cmp_gt_i32 s4, 25
	s_cbranch_scc0 .LBB56_1504
; %bb.1472:
	s_cmp_gt_i32 s4, 28
	s_mov_b32 s0, s38
	s_cbranch_scc0 .LBB56_1488
; %bb.1473:
	s_cmp_gt_i32 s4, 43
	s_mov_b32 s0, s38
	;; [unrolled: 4-line block ×3, first 2 shown]
	s_cbranch_scc0 .LBB56_1478
; %bb.1475:
	s_cmp_eq_u32 s4, 46
	s_mov_b32 s0, -1
	s_cbranch_scc0 .LBB56_1477
; %bb.1476:
	v_cvt_f32_f16_e32 v2, v3
	v_cmp_o_f16_e32 vcc_lo, v3, v3
	s_mov_b32 s0, 0
	s_delay_alu instid0(VALU_DEP_2) | instskip(NEXT) | instid1(VALU_DEP_1)
	v_bfe_u32 v4, v2, 16, 1
	v_add3_u32 v2, v2, v4, 0x7fff
	s_delay_alu instid0(VALU_DEP_1) | instskip(NEXT) | instid1(VALU_DEP_1)
	v_lshrrev_b32_e32 v2, 16, v2
	v_cndmask_b32_e32 v2, 0x7fc0, v2, vcc_lo
	global_store_b32 v[0:1], v2, off
.LBB56_1477:
	s_mov_b32 s5, 0
.LBB56_1478:
	s_delay_alu instid0(SALU_CYCLE_1)
	s_and_b32 vcc_lo, exec_lo, s5
	s_cbranch_vccz .LBB56_1483
; %bb.1479:
	s_cmp_eq_u32 s4, 44
	s_mov_b32 s0, -1
	s_cbranch_scc0 .LBB56_1483
; %bb.1480:
	s_wait_xcnt 0x0
	v_cvt_f32_f16_e32 v2, v3
	v_mov_b32_e32 v4, 0xff
	s_mov_b32 s5, exec_lo
	s_delay_alu instid0(VALU_DEP_2) | instskip(NEXT) | instid1(VALU_DEP_1)
	v_bfe_u32 v5, v2, 23, 8
	v_cmpx_ne_u32_e32 0xff, v5
	s_cbranch_execz .LBB56_1482
; %bb.1481:
	v_and_b32_e32 v4, 0x400000, v2
	v_and_or_b32 v5, 0x3fffff, v2, v5
	v_lshrrev_b32_e32 v2, 23, v2
	s_delay_alu instid0(VALU_DEP_3) | instskip(NEXT) | instid1(VALU_DEP_3)
	v_cmp_ne_u32_e32 vcc_lo, 0, v4
	v_cmp_ne_u32_e64 s0, 0, v5
	s_and_b32 s0, vcc_lo, s0
	s_delay_alu instid0(SALU_CYCLE_1) | instskip(NEXT) | instid1(VALU_DEP_1)
	v_cndmask_b32_e64 v4, 0, 1, s0
	v_add_nc_u32_e32 v4, v2, v4
.LBB56_1482:
	s_or_b32 exec_lo, exec_lo, s5
	s_mov_b32 s0, 0
	global_store_b8 v[0:1], v4, off
.LBB56_1483:
	s_mov_b32 s5, 0
.LBB56_1484:
	s_delay_alu instid0(SALU_CYCLE_1)
	s_and_b32 vcc_lo, exec_lo, s5
	s_cbranch_vccz .LBB56_1487
; %bb.1485:
	s_cmp_eq_u32 s4, 29
	s_mov_b32 s0, -1
	s_cbranch_scc0 .LBB56_1487
; %bb.1486:
	s_wait_xcnt 0x0
	v_cvt_f32_f16_e32 v2, v3
	v_mov_b32_e32 v5, 0
	s_mov_b32 s0, 0
	s_delay_alu instid0(VALU_DEP_2)
	v_cvt_u32_f32_e32 v4, v2
	global_store_b64 v[0:1], v[4:5], off
.LBB56_1487:
	s_mov_b32 s5, 0
.LBB56_1488:
	s_delay_alu instid0(SALU_CYCLE_1)
	s_and_b32 vcc_lo, exec_lo, s5
	s_cbranch_vccz .LBB56_1503
; %bb.1489:
	s_cmp_lt_i32 s4, 27
	s_mov_b32 s5, -1
	s_cbranch_scc1 .LBB56_1495
; %bb.1490:
	s_cmp_gt_i32 s4, 27
	s_cbranch_scc0 .LBB56_1492
; %bb.1491:
	s_wait_xcnt 0x0
	v_cvt_f32_f16_e32 v2, v3
	s_mov_b32 s5, 0
	s_delay_alu instid0(VALU_DEP_1)
	v_cvt_u32_f32_e32 v2, v2
	global_store_b32 v[0:1], v2, off
.LBB56_1492:
	s_and_not1_b32 vcc_lo, exec_lo, s5
	s_cbranch_vccnz .LBB56_1494
; %bb.1493:
	s_wait_xcnt 0x0
	v_cvt_u16_f16_e32 v2, v3
	global_store_b16 v[0:1], v2, off
.LBB56_1494:
	s_mov_b32 s5, 0
.LBB56_1495:
	s_delay_alu instid0(SALU_CYCLE_1)
	s_and_not1_b32 vcc_lo, exec_lo, s5
	s_cbranch_vccnz .LBB56_1503
; %bb.1496:
	s_wait_xcnt 0x0
	v_cvt_f32_f16_e32 v2, v3
	v_mov_b32_e32 v5, 0x80
	s_mov_b32 s5, exec_lo
	s_delay_alu instid0(VALU_DEP_2) | instskip(NEXT) | instid1(VALU_DEP_1)
	v_and_b32_e32 v4, 0x7fffffff, v2
	v_cmpx_gt_u32_e32 0x43800000, v4
	s_cbranch_execz .LBB56_1502
; %bb.1497:
	v_cmp_lt_u32_e32 vcc_lo, 0x3bffffff, v4
                                        ; implicit-def: $vgpr4
	s_and_saveexec_b32 s9, vcc_lo
	s_delay_alu instid0(SALU_CYCLE_1)
	s_xor_b32 s9, exec_lo, s9
	s_cbranch_execz .LBB56_1647
; %bb.1498:
	v_bfe_u32 v4, v2, 20, 1
	s_mov_b32 s8, exec_lo
	s_delay_alu instid0(VALU_DEP_1) | instskip(NEXT) | instid1(VALU_DEP_1)
	v_add3_u32 v4, v2, v4, 0x487ffff
	v_lshrrev_b32_e32 v4, 20, v4
	s_and_not1_saveexec_b32 s9, s9
	s_cbranch_execnz .LBB56_1648
.LBB56_1499:
	s_or_b32 exec_lo, exec_lo, s9
	v_mov_b32_e32 v5, 0
	s_and_saveexec_b32 s9, s8
.LBB56_1500:
	v_lshrrev_b32_e32 v2, 24, v2
	s_delay_alu instid0(VALU_DEP_1)
	v_and_or_b32 v5, 0x80, v2, v4
.LBB56_1501:
	s_or_b32 exec_lo, exec_lo, s9
.LBB56_1502:
	s_delay_alu instid0(SALU_CYCLE_1)
	s_or_b32 exec_lo, exec_lo, s5
	global_store_b8 v[0:1], v5, off
.LBB56_1503:
	s_mov_b32 s5, 0
.LBB56_1504:
	s_delay_alu instid0(SALU_CYCLE_1)
	s_and_b32 vcc_lo, exec_lo, s5
	s_mov_b32 s5, 0
	s_cbranch_vccz .LBB56_1547
; %bb.1505:
	s_cmp_gt_i32 s4, 22
	s_mov_b32 s8, -1
	s_cbranch_scc0 .LBB56_1537
; %bb.1506:
	s_cmp_lt_i32 s4, 24
	s_cbranch_scc1 .LBB56_1526
; %bb.1507:
	s_cmp_gt_i32 s4, 24
	s_cbranch_scc0 .LBB56_1515
; %bb.1508:
	s_wait_xcnt 0x0
	v_cvt_f32_f16_e32 v2, v3
	v_mov_b32_e32 v5, 0x80
	s_mov_b32 s8, exec_lo
	s_delay_alu instid0(VALU_DEP_2) | instskip(NEXT) | instid1(VALU_DEP_1)
	v_and_b32_e32 v4, 0x7fffffff, v2
	v_cmpx_gt_u32_e32 0x47800000, v4
	s_cbranch_execz .LBB56_1514
; %bb.1509:
	v_cmp_lt_u32_e32 vcc_lo, 0x37ffffff, v4
	s_mov_b32 s9, 0
                                        ; implicit-def: $vgpr4
	s_and_saveexec_b32 s10, vcc_lo
	s_delay_alu instid0(SALU_CYCLE_1)
	s_xor_b32 s10, exec_lo, s10
	s_cbranch_execz .LBB56_1773
; %bb.1510:
	v_bfe_u32 v4, v2, 21, 1
	s_mov_b32 s9, exec_lo
	s_delay_alu instid0(VALU_DEP_1) | instskip(NEXT) | instid1(VALU_DEP_1)
	v_add3_u32 v4, v2, v4, 0x88fffff
	v_lshrrev_b32_e32 v4, 21, v4
	s_and_not1_saveexec_b32 s10, s10
	s_cbranch_execnz .LBB56_1774
.LBB56_1511:
	s_or_b32 exec_lo, exec_lo, s10
	v_mov_b32_e32 v5, 0
	s_and_saveexec_b32 s10, s9
.LBB56_1512:
	v_lshrrev_b32_e32 v2, 24, v2
	s_delay_alu instid0(VALU_DEP_1)
	v_and_or_b32 v5, 0x80, v2, v4
.LBB56_1513:
	s_or_b32 exec_lo, exec_lo, s10
.LBB56_1514:
	s_delay_alu instid0(SALU_CYCLE_1)
	s_or_b32 exec_lo, exec_lo, s8
	s_mov_b32 s8, 0
	global_store_b8 v[0:1], v5, off
.LBB56_1515:
	s_and_b32 vcc_lo, exec_lo, s8
	s_cbranch_vccz .LBB56_1525
; %bb.1516:
	s_wait_xcnt 0x0
	v_cvt_f32_f16_e32 v2, v3
	s_mov_b32 s8, exec_lo
                                        ; implicit-def: $vgpr4
	s_delay_alu instid0(VALU_DEP_1) | instskip(NEXT) | instid1(VALU_DEP_1)
	v_and_b32_e32 v5, 0x7fffffff, v2
	v_cmpx_gt_u32_e32 0x43f00000, v5
	s_xor_b32 s8, exec_lo, s8
	s_cbranch_execz .LBB56_1522
; %bb.1517:
	s_mov_b32 s9, exec_lo
                                        ; implicit-def: $vgpr4
	v_cmpx_lt_u32_e32 0x3c7fffff, v5
	s_xor_b32 s9, exec_lo, s9
; %bb.1518:
	v_bfe_u32 v4, v2, 20, 1
	s_delay_alu instid0(VALU_DEP_1) | instskip(NEXT) | instid1(VALU_DEP_1)
	v_add3_u32 v4, v2, v4, 0x407ffff
	v_and_b32_e32 v5, 0xff00000, v4
	v_lshrrev_b32_e32 v4, 20, v4
	s_delay_alu instid0(VALU_DEP_2) | instskip(NEXT) | instid1(VALU_DEP_2)
	v_cmp_ne_u32_e32 vcc_lo, 0x7f00000, v5
	v_cndmask_b32_e32 v4, 0x7e, v4, vcc_lo
; %bb.1519:
	s_and_not1_saveexec_b32 s9, s9
; %bb.1520:
	v_add_f32_e64 v4, 0x46800000, |v2|
; %bb.1521:
	s_or_b32 exec_lo, exec_lo, s9
                                        ; implicit-def: $vgpr5
.LBB56_1522:
	s_and_not1_saveexec_b32 s8, s8
; %bb.1523:
	v_mov_b32_e32 v4, 0x7f
	v_cmp_lt_u32_e32 vcc_lo, 0x7f800000, v5
	s_delay_alu instid0(VALU_DEP_2)
	v_cndmask_b32_e32 v4, 0x7e, v4, vcc_lo
; %bb.1524:
	s_or_b32 exec_lo, exec_lo, s8
	v_lshrrev_b32_e32 v2, 24, v2
	s_delay_alu instid0(VALU_DEP_1)
	v_and_or_b32 v2, 0x80, v2, v4
	global_store_b8 v[0:1], v2, off
.LBB56_1525:
	s_mov_b32 s8, 0
.LBB56_1526:
	s_delay_alu instid0(SALU_CYCLE_1)
	s_and_not1_b32 vcc_lo, exec_lo, s8
	s_cbranch_vccnz .LBB56_1536
; %bb.1527:
	s_wait_xcnt 0x0
	v_cvt_f32_f16_e32 v2, v3
	s_mov_b32 s8, exec_lo
                                        ; implicit-def: $vgpr4
	s_delay_alu instid0(VALU_DEP_1) | instskip(NEXT) | instid1(VALU_DEP_1)
	v_and_b32_e32 v5, 0x7fffffff, v2
	v_cmpx_gt_u32_e32 0x47800000, v5
	s_xor_b32 s8, exec_lo, s8
	s_cbranch_execz .LBB56_1533
; %bb.1528:
	s_mov_b32 s9, exec_lo
                                        ; implicit-def: $vgpr4
	v_cmpx_lt_u32_e32 0x387fffff, v5
	s_xor_b32 s9, exec_lo, s9
; %bb.1529:
	v_bfe_u32 v4, v2, 21, 1
	s_delay_alu instid0(VALU_DEP_1) | instskip(NEXT) | instid1(VALU_DEP_1)
	v_add3_u32 v4, v2, v4, 0x80fffff
	v_lshrrev_b32_e32 v4, 21, v4
; %bb.1530:
	s_and_not1_saveexec_b32 s9, s9
; %bb.1531:
	v_add_f32_e64 v4, 0x43000000, |v2|
; %bb.1532:
	s_or_b32 exec_lo, exec_lo, s9
                                        ; implicit-def: $vgpr5
.LBB56_1533:
	s_and_not1_saveexec_b32 s8, s8
; %bb.1534:
	v_mov_b32_e32 v4, 0x7f
	v_cmp_lt_u32_e32 vcc_lo, 0x7f800000, v5
	s_delay_alu instid0(VALU_DEP_2)
	v_cndmask_b32_e32 v4, 0x7c, v4, vcc_lo
; %bb.1535:
	s_or_b32 exec_lo, exec_lo, s8
	v_lshrrev_b32_e32 v2, 24, v2
	s_delay_alu instid0(VALU_DEP_1)
	v_and_or_b32 v2, 0x80, v2, v4
	global_store_b8 v[0:1], v2, off
.LBB56_1536:
	s_mov_b32 s8, 0
.LBB56_1537:
	s_delay_alu instid0(SALU_CYCLE_1)
	s_and_not1_b32 vcc_lo, exec_lo, s8
	s_mov_b32 s9, 0
	s_cbranch_vccnz .LBB56_1548
; %bb.1538:
	s_cmp_gt_i32 s4, 14
	s_mov_b32 s8, -1
	s_cbranch_scc0 .LBB56_1542
; %bb.1539:
	s_cmp_eq_u32 s4, 15
	s_mov_b32 s0, -1
	s_cbranch_scc0 .LBB56_1541
; %bb.1540:
	s_wait_xcnt 0x0
	v_cvt_f32_f16_e32 v2, v3
	v_cmp_o_f16_e32 vcc_lo, v3, v3
	s_mov_b32 s0, 0
	s_delay_alu instid0(VALU_DEP_2) | instskip(NEXT) | instid1(VALU_DEP_1)
	v_bfe_u32 v4, v2, 16, 1
	v_add3_u32 v2, v2, v4, 0x7fff
	s_delay_alu instid0(VALU_DEP_1) | instskip(NEXT) | instid1(VALU_DEP_1)
	v_lshrrev_b32_e32 v2, 16, v2
	v_cndmask_b32_e32 v2, 0x7fc0, v2, vcc_lo
	global_store_b16 v[0:1], v2, off
.LBB56_1541:
	s_mov_b32 s8, 0
.LBB56_1542:
	s_delay_alu instid0(SALU_CYCLE_1)
	s_and_b32 vcc_lo, exec_lo, s8
	s_cbranch_vccz .LBB56_1548
; %bb.1543:
	s_cmp_lg_u32 s4, 11
	s_mov_b32 s9, -1
	s_cselect_b32 s4, -1, 0
	s_and_not1_b32 s0, s0, exec_lo
	s_and_b32 s4, s4, exec_lo
	s_delay_alu instid0(SALU_CYCLE_1)
	s_or_b32 s0, s0, s4
	s_branch .LBB56_1548
.LBB56_1544:
	s_or_b32 exec_lo, exec_lo, s7
	s_and_saveexec_b32 s4, s38
	s_cbranch_execnz .LBB56_1549
.LBB56_1545:
	s_or_b32 exec_lo, exec_lo, s4
	s_and_saveexec_b32 s4, s0
	s_delay_alu instid0(SALU_CYCLE_1)
	s_xor_b32 s0, exec_lo, s4
	s_cbranch_execz .LBB56_1550
.LBB56_1546:
	v_and_b32_e32 v2, 0x7fff, v3
	s_delay_alu instid0(VALU_DEP_1)
	v_cmp_ne_u16_e32 vcc_lo, 0, v2
	v_cndmask_b32_e64 v2, 0, 1, vcc_lo
	s_wait_loadcnt 0x0
	global_store_b8 v[0:1], v2, off
	s_wait_xcnt 0x0
	s_or_b32 exec_lo, exec_lo, s0
	s_and_saveexec_b32 s0, s8
	s_delay_alu instid0(SALU_CYCLE_1)
	s_xor_b32 s0, exec_lo, s0
	s_cbranch_execz .LBB56_1588
	s_branch .LBB56_1551
.LBB56_1547:
	s_mov_b32 s9, 0
.LBB56_1548:
	s_and_b32 s8, s5, exec_lo
	s_and_not1_b32 s4, s38, exec_lo
	s_and_b32 s5, s0, exec_lo
	s_and_b32 s0, s9, exec_lo
	s_or_b32 s38, s4, s5
	s_wait_xcnt 0x0
	s_or_b32 exec_lo, exec_lo, s7
	s_and_saveexec_b32 s4, s38
	s_cbranch_execz .LBB56_1545
.LBB56_1549:
	s_or_b32 s1, s1, exec_lo
	s_and_not1_b32 s0, s0, exec_lo
	s_trap 2
	s_or_b32 exec_lo, exec_lo, s4
	s_and_saveexec_b32 s4, s0
	s_delay_alu instid0(SALU_CYCLE_1)
	s_xor_b32 s0, exec_lo, s4
	s_cbranch_execnz .LBB56_1546
.LBB56_1550:
	s_or_b32 exec_lo, exec_lo, s0
	s_and_saveexec_b32 s0, s8
	s_delay_alu instid0(SALU_CYCLE_1)
	s_xor_b32 s0, exec_lo, s0
	s_cbranch_execz .LBB56_1588
.LBB56_1551:
	s_sext_i32_i16 s5, s6
	s_mov_b32 s4, -1
	s_cmp_lt_i32 s5, 5
	s_cbranch_scc1 .LBB56_1572
; %bb.1552:
	s_cmp_lt_i32 s5, 8
	s_cbranch_scc1 .LBB56_1562
; %bb.1553:
	;; [unrolled: 3-line block ×3, first 2 shown]
	s_cmp_gt_i32 s5, 9
	s_cbranch_scc0 .LBB56_1556
; %bb.1555:
	v_cvt_f32_f16_e32 v2, v3
	s_wait_loadcnt 0x0
	v_mov_b32_e32 v6, 0
	s_mov_b32 s4, 0
	s_delay_alu instid0(VALU_DEP_2) | instskip(NEXT) | instid1(VALU_DEP_2)
	v_cvt_f64_f32_e32 v[4:5], v2
	v_mov_b32_e32 v7, v6
	global_store_b128 v[0:1], v[4:7], off
.LBB56_1556:
	s_and_not1_b32 vcc_lo, exec_lo, s4
	s_cbranch_vccnz .LBB56_1558
; %bb.1557:
	s_wait_xcnt 0x0
	v_cvt_f32_f16_e32 v4, v3
	s_wait_loadcnt 0x0
	v_mov_b32_e32 v5, 0
	global_store_b64 v[0:1], v[4:5], off
.LBB56_1558:
	s_mov_b32 s4, 0
.LBB56_1559:
	s_delay_alu instid0(SALU_CYCLE_1)
	s_and_not1_b32 vcc_lo, exec_lo, s4
	s_cbranch_vccnz .LBB56_1561
; %bb.1560:
	v_and_b32_e32 v2, 0xffff, v3
	s_wait_loadcnt 0x0
	global_store_b32 v[0:1], v2, off
.LBB56_1561:
	s_mov_b32 s4, 0
.LBB56_1562:
	s_delay_alu instid0(SALU_CYCLE_1)
	s_and_not1_b32 vcc_lo, exec_lo, s4
	s_cbranch_vccnz .LBB56_1571
; %bb.1563:
	s_sext_i32_i16 s5, s6
	s_mov_b32 s4, -1
	s_cmp_lt_i32 s5, 6
	s_cbranch_scc1 .LBB56_1569
; %bb.1564:
	s_cmp_gt_i32 s5, 6
	s_cbranch_scc0 .LBB56_1566
; %bb.1565:
	s_wait_xcnt 0x0
	v_cvt_f32_f16_e32 v2, v3
	s_mov_b32 s4, 0
	s_wait_loadcnt 0x0
	s_delay_alu instid0(VALU_DEP_1)
	v_cvt_f64_f32_e32 v[4:5], v2
	global_store_b64 v[0:1], v[4:5], off
.LBB56_1566:
	s_and_not1_b32 vcc_lo, exec_lo, s4
	s_cbranch_vccnz .LBB56_1568
; %bb.1567:
	s_wait_xcnt 0x0
	v_cvt_f32_f16_e32 v2, v3
	s_wait_loadcnt 0x0
	global_store_b32 v[0:1], v2, off
.LBB56_1568:
	s_mov_b32 s4, 0
.LBB56_1569:
	s_delay_alu instid0(SALU_CYCLE_1)
	s_and_not1_b32 vcc_lo, exec_lo, s4
	s_cbranch_vccnz .LBB56_1571
; %bb.1570:
	s_wait_loadcnt 0x0
	global_store_b16 v[0:1], v3, off
.LBB56_1571:
	s_mov_b32 s4, 0
.LBB56_1572:
	s_delay_alu instid0(SALU_CYCLE_1)
	s_and_not1_b32 vcc_lo, exec_lo, s4
	s_cbranch_vccnz .LBB56_1588
; %bb.1573:
	s_sext_i32_i16 s5, s6
	s_mov_b32 s4, -1
	s_cmp_lt_i32 s5, 2
	s_cbranch_scc1 .LBB56_1583
; %bb.1574:
	s_cmp_lt_i32 s5, 3
	s_cbranch_scc1 .LBB56_1580
; %bb.1575:
	s_cmp_gt_i32 s5, 3
	s_cbranch_scc0 .LBB56_1577
; %bb.1576:
	s_wait_xcnt 0x0
	v_cvt_f32_f16_e32 v2, v3
	s_mov_b32 s4, 0
	s_delay_alu instid0(VALU_DEP_1) | instskip(SKIP_1) | instid1(VALU_DEP_1)
	v_cvt_i32_f32_e32 v4, v2
	s_wait_loadcnt 0x0
	v_ashrrev_i32_e32 v5, 31, v4
	global_store_b64 v[0:1], v[4:5], off
.LBB56_1577:
	s_and_not1_b32 vcc_lo, exec_lo, s4
	s_cbranch_vccnz .LBB56_1579
; %bb.1578:
	s_wait_xcnt 0x0
	v_cvt_f32_f16_e32 v2, v3
	s_delay_alu instid0(VALU_DEP_1)
	v_cvt_i32_f32_e32 v2, v2
	s_wait_loadcnt 0x0
	global_store_b32 v[0:1], v2, off
.LBB56_1579:
	s_mov_b32 s4, 0
.LBB56_1580:
	s_delay_alu instid0(SALU_CYCLE_1)
	s_and_not1_b32 vcc_lo, exec_lo, s4
	s_cbranch_vccnz .LBB56_1582
; %bb.1581:
	s_wait_xcnt 0x0
	v_cvt_i16_f16_e32 v2, v3
	s_wait_loadcnt 0x0
	global_store_b16 v[0:1], v2, off
.LBB56_1582:
	s_mov_b32 s4, 0
.LBB56_1583:
	s_delay_alu instid0(SALU_CYCLE_1)
	s_and_not1_b32 vcc_lo, exec_lo, s4
	s_cbranch_vccnz .LBB56_1588
; %bb.1584:
	s_sext_i32_i16 s4, s6
	s_delay_alu instid0(SALU_CYCLE_1)
	s_cmp_gt_i32 s4, 0
	s_mov_b32 s4, -1
	s_cbranch_scc0 .LBB56_1586
; %bb.1585:
	s_wait_xcnt 0x0
	v_cvt_i16_f16_e32 v2, v3
	s_mov_b32 s4, 0
	s_wait_loadcnt 0x0
	global_store_b8 v[0:1], v2, off
.LBB56_1586:
	s_and_not1_b32 vcc_lo, exec_lo, s4
	s_cbranch_vccnz .LBB56_1588
; %bb.1587:
	s_wait_xcnt 0x0
	v_cvt_f32_f16_e32 v2, v3
	s_delay_alu instid0(VALU_DEP_1)
	v_cvt_i32_f32_e32 v2, v2
	s_wait_loadcnt 0x0
	global_store_b8 v[0:1], v2, off
.LBB56_1588:
	s_wait_xcnt 0x0
	s_or_b32 exec_lo, exec_lo, s0
	s_delay_alu instid0(SALU_CYCLE_1)
	s_and_b32 s8, s1, exec_lo
                                        ; implicit-def: $vgpr5
                                        ; implicit-def: $vgpr0
.LBB56_1589:
	s_or_saveexec_b32 s9, s30
	s_mov_b32 s0, 0
                                        ; implicit-def: $vgpr2_vgpr3
                                        ; implicit-def: $sgpr1
                                        ; implicit-def: $vgpr1
	s_xor_b32 exec_lo, exec_lo, s9
	s_cbranch_execz .LBB56_3108
; %bb.1590:
	s_wait_loadcnt 0x0
	v_cndmask_b32_e64 v1, 0, 1, s29
	s_and_not1_b32 vcc_lo, exec_lo, s29
	s_cbranch_vccnz .LBB56_1596
; %bb.1591:
	s_cmp_lg_u32 s26, 0
	s_mov_b32 s4, 0
	s_cbranch_scc0 .LBB56_1600
; %bb.1592:
	s_min_u32 s5, s27, 15
	v_dual_mov_b32 v6, 0 :: v_dual_mov_b32 v2, v0
	v_dual_mov_b32 v22, 0 :: v_dual_mov_b32 v20, 0
	s_add_co_i32 s6, s5, 1
	s_mov_b64 s[0:1], 0xffffffffffffffe8
	s_and_b32 s6, s6, 30
	s_add_nc_u64 s[0:1], s[2:3], s[0:1]
.LBB56_1593:                            ; =>This Inner Loop Header: Depth=1
	s_clause 0x1
	s_load_b128 s[12:15], s[0:1], 0x1c
	s_load_b64 s[10:11], s[0:1], 0x2c
	s_add_co_i32 s6, s6, -2
	s_delay_alu instid0(SALU_CYCLE_1) | instskip(SKIP_2) | instid1(VALU_DEP_1)
	s_cmp_lg_u32 s6, 0
	s_wait_kmcnt 0x0
	v_mul_hi_u32 v3, s13, v2
	v_add_nc_u32_e32 v3, v2, v3
	s_delay_alu instid0(VALU_DEP_1) | instskip(NEXT) | instid1(VALU_DEP_1)
	v_lshrrev_b32_e32 v3, s14, v3
	v_mul_hi_u32 v4, s10, v3
	v_mul_lo_u32 v7, v3, s12
	s_clause 0x1
	s_load_b128 s[16:19], s[0:1], 0xdc
	s_load_b64 s[12:13], s[0:1], 0xec
	s_wait_xcnt 0x0
	s_add_nc_u64 s[0:1], s[0:1], 24
	s_delay_alu instid0(VALU_DEP_1) | instskip(NEXT) | instid1(VALU_DEP_1)
	v_dual_add_nc_u32 v4, v3, v4 :: v_dual_sub_nc_u32 v7, v2, v7
	v_lshrrev_b32_e32 v2, s11, v4
	s_wait_kmcnt 0x0
	s_delay_alu instid0(VALU_DEP_2) | instskip(NEXT) | instid1(VALU_DEP_2)
	v_mad_u32 v6, v7, s16, v6
	v_mul_lo_u32 v4, v2, s15
	v_mad_u32 v8, v7, s18, v20
	v_mad_u32 v7, v7, s17, v22
	s_delay_alu instid0(VALU_DEP_3) | instskip(NEXT) | instid1(VALU_DEP_1)
	v_sub_nc_u32_e32 v3, v3, v4
	v_mad_u32 v6, v3, s19, v6
	s_delay_alu instid0(VALU_DEP_4) | instskip(NEXT) | instid1(VALU_DEP_4)
	v_mad_u32 v20, v3, s13, v8
	v_mad_u32 v22, v3, s12, v7
	s_cbranch_scc1 .LBB56_1593
; %bb.1594:
	s_bitcmp1_b32 s5, 0
	s_cselect_b32 s5, -1, 0
	s_delay_alu instid0(SALU_CYCLE_1)
	s_and_b32 vcc_lo, exec_lo, s5
	s_cbranch_vccnz .LBB56_1597
; %bb.1595:
	s_clause 0x1
	s_load_b96 s[12:14], s[0:1], 0x1c
	s_load_b96 s[16:18], s[0:1], 0xdc
	s_wait_kmcnt 0x0
	v_mul_hi_u32 v3, s13, v2
	s_delay_alu instid0(VALU_DEP_1) | instskip(NEXT) | instid1(VALU_DEP_1)
	v_add_nc_u32_e32 v3, v2, v3
	v_lshrrev_b32_e32 v3, s14, v3
	s_delay_alu instid0(VALU_DEP_1) | instskip(NEXT) | instid1(VALU_DEP_1)
	v_mul_lo_u32 v3, v3, s12
	v_sub_nc_u32_e32 v2, v2, v3
	s_delay_alu instid0(VALU_DEP_1)
	v_mad_u32 v6, v2, s16, v6
	v_mad_u32 v22, v2, s17, v22
	;; [unrolled: 1-line block ×3, first 2 shown]
	s_and_not1_b32 vcc_lo, exec_lo, s4
	s_cbranch_vccz .LBB56_1598
	s_branch .LBB56_1601
.LBB56_1596:
	s_mov_b32 s4, -1
                                        ; implicit-def: $vgpr20
                                        ; implicit-def: $vgpr22
                                        ; implicit-def: $vgpr6
.LBB56_1597:
	s_delay_alu instid0(SALU_CYCLE_1)
	s_and_not1_b32 vcc_lo, exec_lo, s4
	s_cbranch_vccnz .LBB56_1601
.LBB56_1598:
	s_clause 0x1
	s_load_b96 s[4:6], s[2:3], 0x4
	s_load_b96 s[12:14], s[2:3], 0xc4
	s_cmp_lt_u32 s26, 2
	s_wait_kmcnt 0x0
	v_mul_hi_u32 v2, s5, v0
	s_delay_alu instid0(VALU_DEP_1) | instskip(NEXT) | instid1(VALU_DEP_1)
	v_add_nc_u32_e32 v2, v0, v2
	v_lshrrev_b32_e32 v2, s6, v2
	s_delay_alu instid0(VALU_DEP_1) | instskip(NEXT) | instid1(VALU_DEP_1)
	v_mul_lo_u32 v3, v2, s4
	v_sub_nc_u32_e32 v3, v0, v3
	s_delay_alu instid0(VALU_DEP_1)
	v_mul_lo_u32 v6, v3, s12
	v_mul_lo_u32 v20, v3, s14
	;; [unrolled: 1-line block ×3, first 2 shown]
	s_cbranch_scc1 .LBB56_1601
; %bb.1599:
	s_clause 0x1
	s_load_b96 s[4:6], s[2:3], 0x10
	s_load_b96 s[12:14], s[2:3], 0xd0
	s_wait_kmcnt 0x0
	v_mul_hi_u32 v3, s5, v2
	s_delay_alu instid0(VALU_DEP_1) | instskip(NEXT) | instid1(VALU_DEP_1)
	v_add_nc_u32_e32 v3, v2, v3
	v_lshrrev_b32_e32 v3, s6, v3
	s_delay_alu instid0(VALU_DEP_1) | instskip(NEXT) | instid1(VALU_DEP_1)
	v_mul_lo_u32 v3, v3, s4
	v_sub_nc_u32_e32 v2, v2, v3
	s_delay_alu instid0(VALU_DEP_1)
	v_mad_u32 v6, v2, s12, v6
	v_mad_u32 v22, v2, s13, v22
	;; [unrolled: 1-line block ×3, first 2 shown]
	s_branch .LBB56_1601
.LBB56_1600:
	v_dual_mov_b32 v20, 0 :: v_dual_mov_b32 v22, 0
	v_mov_b32_e32 v6, 0
	s_and_not1_b32 vcc_lo, exec_lo, s4
	s_cbranch_vccz .LBB56_1598
.LBB56_1601:
	v_cmp_ne_u32_e32 vcc_lo, 1, v1
	v_add_nc_u32_e32 v2, 0x80, v0
	s_cbranch_vccnz .LBB56_1607
; %bb.1602:
	s_cmp_lg_u32 s26, 0
	s_mov_b32 s4, 0
	s_cbranch_scc0 .LBB56_1611
; %bb.1603:
	s_min_u32 s5, s27, 15
	v_dual_mov_b32 v4, 0 :: v_dual_mov_b32 v3, v2
	v_dual_mov_b32 v18, 0 :: v_dual_mov_b32 v16, 0
	s_add_co_i32 s6, s5, 1
	s_mov_b64 s[0:1], 0xffffffffffffffe8
	s_and_b32 s6, s6, 30
	s_add_nc_u64 s[0:1], s[2:3], s[0:1]
.LBB56_1604:                            ; =>This Inner Loop Header: Depth=1
	s_clause 0x1
	s_load_b128 s[12:15], s[0:1], 0x1c
	s_load_b64 s[10:11], s[0:1], 0x2c
	s_add_co_i32 s6, s6, -2
	s_delay_alu instid0(SALU_CYCLE_1) | instskip(SKIP_2) | instid1(VALU_DEP_1)
	s_cmp_lg_u32 s6, 0
	s_wait_kmcnt 0x0
	v_mul_hi_u32 v7, s13, v3
	v_add_nc_u32_e32 v7, v3, v7
	s_delay_alu instid0(VALU_DEP_1) | instskip(NEXT) | instid1(VALU_DEP_1)
	v_lshrrev_b32_e32 v7, s14, v7
	v_mul_hi_u32 v8, s10, v7
	v_mul_lo_u32 v9, v7, s12
	s_clause 0x1
	s_load_b128 s[16:19], s[0:1], 0xdc
	s_load_b64 s[12:13], s[0:1], 0xec
	s_wait_xcnt 0x0
	s_add_nc_u64 s[0:1], s[0:1], 24
	s_delay_alu instid0(VALU_DEP_2) | instskip(NEXT) | instid1(VALU_DEP_1)
	v_add_nc_u32_e32 v8, v7, v8
	v_dual_sub_nc_u32 v9, v3, v9 :: v_dual_lshrrev_b32 v3, s11, v8
	s_wait_kmcnt 0x0
	s_delay_alu instid0(VALU_DEP_1) | instskip(NEXT) | instid1(VALU_DEP_2)
	v_mad_u32 v4, v9, s16, v4
	v_mul_lo_u32 v8, v3, s15
	v_mad_u32 v10, v9, s18, v16
	v_mad_u32 v9, v9, s17, v18
	s_delay_alu instid0(VALU_DEP_3) | instskip(NEXT) | instid1(VALU_DEP_1)
	v_sub_nc_u32_e32 v7, v7, v8
	v_mad_u32 v4, v7, s19, v4
	s_delay_alu instid0(VALU_DEP_4) | instskip(NEXT) | instid1(VALU_DEP_4)
	v_mad_u32 v16, v7, s13, v10
	v_mad_u32 v18, v7, s12, v9
	s_cbranch_scc1 .LBB56_1604
; %bb.1605:
	s_bitcmp1_b32 s5, 0
	s_cselect_b32 s5, -1, 0
	s_delay_alu instid0(SALU_CYCLE_1)
	s_and_b32 vcc_lo, exec_lo, s5
	s_cbranch_vccnz .LBB56_1608
; %bb.1606:
	s_clause 0x1
	s_load_b96 s[12:14], s[0:1], 0x1c
	s_load_b96 s[16:18], s[0:1], 0xdc
	s_wait_kmcnt 0x0
	v_mul_hi_u32 v7, s13, v3
	s_delay_alu instid0(VALU_DEP_1) | instskip(NEXT) | instid1(VALU_DEP_1)
	v_add_nc_u32_e32 v7, v3, v7
	v_lshrrev_b32_e32 v7, s14, v7
	s_delay_alu instid0(VALU_DEP_1) | instskip(NEXT) | instid1(VALU_DEP_1)
	v_mul_lo_u32 v7, v7, s12
	v_sub_nc_u32_e32 v3, v3, v7
	s_delay_alu instid0(VALU_DEP_1)
	v_mad_u32 v4, v3, s16, v4
	v_mad_u32 v18, v3, s17, v18
	;; [unrolled: 1-line block ×3, first 2 shown]
	s_and_not1_b32 vcc_lo, exec_lo, s4
	s_cbranch_vccz .LBB56_1609
	s_branch .LBB56_1612
.LBB56_1607:
	s_mov_b32 s4, -1
                                        ; implicit-def: $vgpr16
                                        ; implicit-def: $vgpr18
                                        ; implicit-def: $vgpr4
.LBB56_1608:
	s_delay_alu instid0(SALU_CYCLE_1)
	s_and_not1_b32 vcc_lo, exec_lo, s4
	s_cbranch_vccnz .LBB56_1612
.LBB56_1609:
	s_clause 0x1
	s_load_b96 s[4:6], s[2:3], 0x4
	s_load_b96 s[12:14], s[2:3], 0xc4
	s_cmp_lt_u32 s26, 2
	s_wait_kmcnt 0x0
	v_mul_hi_u32 v3, s5, v2
	s_delay_alu instid0(VALU_DEP_1) | instskip(NEXT) | instid1(VALU_DEP_1)
	v_add_nc_u32_e32 v3, v2, v3
	v_lshrrev_b32_e32 v3, s6, v3
	s_delay_alu instid0(VALU_DEP_1) | instskip(NEXT) | instid1(VALU_DEP_1)
	v_mul_lo_u32 v4, v3, s4
	v_sub_nc_u32_e32 v2, v2, v4
	s_delay_alu instid0(VALU_DEP_1)
	v_mul_lo_u32 v4, v2, s12
	v_mul_lo_u32 v16, v2, s14
	;; [unrolled: 1-line block ×3, first 2 shown]
	s_cbranch_scc1 .LBB56_1612
; %bb.1610:
	s_clause 0x1
	s_load_b96 s[4:6], s[2:3], 0x10
	s_load_b96 s[12:14], s[2:3], 0xd0
	s_wait_kmcnt 0x0
	v_mul_hi_u32 v2, s5, v3
	s_delay_alu instid0(VALU_DEP_1) | instskip(NEXT) | instid1(VALU_DEP_1)
	v_add_nc_u32_e32 v2, v3, v2
	v_lshrrev_b32_e32 v2, s6, v2
	s_delay_alu instid0(VALU_DEP_1) | instskip(NEXT) | instid1(VALU_DEP_1)
	v_mul_lo_u32 v2, v2, s4
	v_sub_nc_u32_e32 v2, v3, v2
	s_delay_alu instid0(VALU_DEP_1)
	v_mad_u32 v4, v2, s12, v4
	v_mad_u32 v18, v2, s13, v18
	;; [unrolled: 1-line block ×3, first 2 shown]
	s_branch .LBB56_1612
.LBB56_1611:
	v_dual_mov_b32 v16, 0 :: v_dual_mov_b32 v18, 0
	v_mov_b32_e32 v4, 0
	s_and_not1_b32 vcc_lo, exec_lo, s4
	s_cbranch_vccz .LBB56_1609
.LBB56_1612:
	v_cmp_ne_u32_e32 vcc_lo, 1, v1
	v_add_nc_u32_e32 v0, 0x100, v0
	s_cbranch_vccnz .LBB56_1618
; %bb.1613:
	s_cmp_lg_u32 s26, 0
	s_mov_b32 s4, 0
	s_cbranch_scc0 .LBB56_1622
; %bb.1614:
	s_min_u32 s5, s27, 15
	v_dual_mov_b32 v2, 0 :: v_dual_mov_b32 v3, v0
	v_dual_mov_b32 v14, 0 :: v_dual_mov_b32 v12, 0
	s_add_co_i32 s6, s5, 1
	s_mov_b64 s[0:1], 0xffffffffffffffe8
	s_and_b32 s6, s6, 30
	s_add_nc_u64 s[0:1], s[2:3], s[0:1]
.LBB56_1615:                            ; =>This Inner Loop Header: Depth=1
	s_clause 0x1
	s_load_b128 s[12:15], s[0:1], 0x1c
	s_load_b64 s[10:11], s[0:1], 0x2c
	s_add_co_i32 s6, s6, -2
	s_delay_alu instid0(SALU_CYCLE_1) | instskip(SKIP_2) | instid1(VALU_DEP_1)
	s_cmp_lg_u32 s6, 0
	s_wait_kmcnt 0x0
	v_mul_hi_u32 v7, s13, v3
	v_add_nc_u32_e32 v7, v3, v7
	s_delay_alu instid0(VALU_DEP_1) | instskip(NEXT) | instid1(VALU_DEP_1)
	v_lshrrev_b32_e32 v7, s14, v7
	v_mul_hi_u32 v8, s10, v7
	v_mul_lo_u32 v9, v7, s12
	s_clause 0x1
	s_load_b128 s[16:19], s[0:1], 0xdc
	s_load_b64 s[12:13], s[0:1], 0xec
	s_wait_xcnt 0x0
	s_add_nc_u64 s[0:1], s[0:1], 24
	s_delay_alu instid0(VALU_DEP_2) | instskip(NEXT) | instid1(VALU_DEP_1)
	v_add_nc_u32_e32 v8, v7, v8
	v_dual_sub_nc_u32 v9, v3, v9 :: v_dual_lshrrev_b32 v3, s11, v8
	s_wait_kmcnt 0x0
	s_delay_alu instid0(VALU_DEP_1) | instskip(NEXT) | instid1(VALU_DEP_2)
	v_mad_u32 v2, v9, s16, v2
	v_mul_lo_u32 v8, v3, s15
	v_mad_u32 v10, v9, s18, v12
	v_mad_u32 v9, v9, s17, v14
	s_delay_alu instid0(VALU_DEP_3) | instskip(NEXT) | instid1(VALU_DEP_1)
	v_sub_nc_u32_e32 v7, v7, v8
	v_mad_u32 v2, v7, s19, v2
	s_delay_alu instid0(VALU_DEP_4) | instskip(NEXT) | instid1(VALU_DEP_4)
	v_mad_u32 v12, v7, s13, v10
	v_mad_u32 v14, v7, s12, v9
	s_cbranch_scc1 .LBB56_1615
; %bb.1616:
	s_bitcmp1_b32 s5, 0
	s_cselect_b32 s5, -1, 0
	s_delay_alu instid0(SALU_CYCLE_1)
	s_and_b32 vcc_lo, exec_lo, s5
	s_cbranch_vccnz .LBB56_1619
; %bb.1617:
	s_clause 0x1
	s_load_b96 s[12:14], s[0:1], 0x1c
	s_load_b96 s[16:18], s[0:1], 0xdc
	s_wait_kmcnt 0x0
	v_mul_hi_u32 v7, s13, v3
	s_delay_alu instid0(VALU_DEP_1) | instskip(NEXT) | instid1(VALU_DEP_1)
	v_add_nc_u32_e32 v7, v3, v7
	v_lshrrev_b32_e32 v7, s14, v7
	s_delay_alu instid0(VALU_DEP_1) | instskip(NEXT) | instid1(VALU_DEP_1)
	v_mul_lo_u32 v7, v7, s12
	v_sub_nc_u32_e32 v3, v3, v7
	s_delay_alu instid0(VALU_DEP_1)
	v_mad_u32 v2, v3, s16, v2
	v_mad_u32 v14, v3, s17, v14
	;; [unrolled: 1-line block ×3, first 2 shown]
	s_and_not1_b32 vcc_lo, exec_lo, s4
	s_cbranch_vccz .LBB56_1620
	s_branch .LBB56_1623
.LBB56_1618:
	s_mov_b32 s4, -1
                                        ; implicit-def: $vgpr12
                                        ; implicit-def: $vgpr14
                                        ; implicit-def: $vgpr2
.LBB56_1619:
	s_delay_alu instid0(SALU_CYCLE_1)
	s_and_not1_b32 vcc_lo, exec_lo, s4
	s_cbranch_vccnz .LBB56_1623
.LBB56_1620:
	s_clause 0x1
	s_load_b96 s[4:6], s[2:3], 0x4
	s_load_b96 s[12:14], s[2:3], 0xc4
	s_cmp_lt_u32 s26, 2
	s_wait_kmcnt 0x0
	v_mul_hi_u32 v2, s5, v0
	s_delay_alu instid0(VALU_DEP_1) | instskip(NEXT) | instid1(VALU_DEP_1)
	v_add_nc_u32_e32 v2, v0, v2
	v_lshrrev_b32_e32 v3, s6, v2
	s_delay_alu instid0(VALU_DEP_1) | instskip(NEXT) | instid1(VALU_DEP_1)
	v_mul_lo_u32 v2, v3, s4
	v_sub_nc_u32_e32 v0, v0, v2
	s_delay_alu instid0(VALU_DEP_1)
	v_mul_lo_u32 v2, v0, s12
	v_mul_lo_u32 v12, v0, s14
	;; [unrolled: 1-line block ×3, first 2 shown]
	s_cbranch_scc1 .LBB56_1623
; %bb.1621:
	s_clause 0x1
	s_load_b96 s[4:6], s[2:3], 0x10
	s_load_b96 s[12:14], s[2:3], 0xd0
	s_wait_kmcnt 0x0
	v_mul_hi_u32 v0, s5, v3
	s_delay_alu instid0(VALU_DEP_1) | instskip(NEXT) | instid1(VALU_DEP_1)
	v_add_nc_u32_e32 v0, v3, v0
	v_lshrrev_b32_e32 v0, s6, v0
	s_delay_alu instid0(VALU_DEP_1) | instskip(NEXT) | instid1(VALU_DEP_1)
	v_mul_lo_u32 v0, v0, s4
	v_sub_nc_u32_e32 v0, v3, v0
	s_delay_alu instid0(VALU_DEP_1)
	v_mad_u32 v2, v0, s12, v2
	v_mad_u32 v14, v0, s13, v14
	;; [unrolled: 1-line block ×3, first 2 shown]
	s_branch .LBB56_1623
.LBB56_1622:
	v_dual_mov_b32 v12, 0 :: v_dual_mov_b32 v14, 0
	v_mov_b32_e32 v2, 0
	s_and_not1_b32 vcc_lo, exec_lo, s4
	s_cbranch_vccz .LBB56_1620
.LBB56_1623:
	v_cmp_ne_u32_e32 vcc_lo, 1, v1
	s_cbranch_vccnz .LBB56_1629
; %bb.1624:
	s_cmp_lg_u32 s26, 0
	s_mov_b32 s4, 0
	s_cbranch_scc0 .LBB56_1633
; %bb.1625:
	s_min_u32 s5, s27, 15
	v_dual_mov_b32 v0, 0 :: v_dual_mov_b32 v1, v5
	v_dual_mov_b32 v10, 0 :: v_dual_mov_b32 v8, 0
	s_add_co_i32 s6, s5, 1
	s_mov_b64 s[0:1], 0xffffffffffffffe8
	s_and_b32 s6, s6, 30
	s_add_nc_u64 s[0:1], s[2:3], s[0:1]
.LBB56_1626:                            ; =>This Inner Loop Header: Depth=1
	s_clause 0x1
	s_load_b128 s[12:15], s[0:1], 0x1c
	s_load_b64 s[10:11], s[0:1], 0x2c
	s_add_co_i32 s6, s6, -2
	s_delay_alu instid0(SALU_CYCLE_1) | instskip(SKIP_2) | instid1(VALU_DEP_1)
	s_cmp_lg_u32 s6, 0
	s_wait_kmcnt 0x0
	v_mul_hi_u32 v3, s13, v1
	v_add_nc_u32_e32 v3, v1, v3
	s_delay_alu instid0(VALU_DEP_1) | instskip(NEXT) | instid1(VALU_DEP_1)
	v_lshrrev_b32_e32 v3, s14, v3
	v_mul_hi_u32 v7, s10, v3
	v_mul_lo_u32 v9, v3, s12
	s_clause 0x1
	s_load_b128 s[16:19], s[0:1], 0xdc
	s_load_b64 s[12:13], s[0:1], 0xec
	s_wait_xcnt 0x0
	s_add_nc_u64 s[0:1], s[0:1], 24
	s_delay_alu instid0(VALU_DEP_1) | instskip(NEXT) | instid1(VALU_DEP_1)
	v_dual_add_nc_u32 v7, v3, v7 :: v_dual_sub_nc_u32 v9, v1, v9
	v_lshrrev_b32_e32 v1, s11, v7
	s_wait_kmcnt 0x0
	s_delay_alu instid0(VALU_DEP_2) | instskip(NEXT) | instid1(VALU_DEP_2)
	v_mad_u32 v0, v9, s16, v0
	v_mul_lo_u32 v7, v1, s15
	v_mad_u32 v8, v9, s18, v8
	v_mad_u32 v9, v9, s17, v10
	s_delay_alu instid0(VALU_DEP_3) | instskip(NEXT) | instid1(VALU_DEP_1)
	v_sub_nc_u32_e32 v3, v3, v7
	v_mad_u32 v0, v3, s19, v0
	s_delay_alu instid0(VALU_DEP_4) | instskip(NEXT) | instid1(VALU_DEP_4)
	v_mad_u32 v8, v3, s13, v8
	v_mad_u32 v10, v3, s12, v9
	s_cbranch_scc1 .LBB56_1626
; %bb.1627:
	s_bitcmp1_b32 s5, 0
	s_cselect_b32 s5, -1, 0
	s_delay_alu instid0(SALU_CYCLE_1)
	s_and_b32 vcc_lo, exec_lo, s5
	s_cbranch_vccnz .LBB56_1630
; %bb.1628:
	s_clause 0x1
	s_load_b96 s[12:14], s[0:1], 0x1c
	s_load_b96 s[16:18], s[0:1], 0xdc
	s_wait_kmcnt 0x0
	v_mul_hi_u32 v3, s13, v1
	s_delay_alu instid0(VALU_DEP_1) | instskip(NEXT) | instid1(VALU_DEP_1)
	v_add_nc_u32_e32 v3, v1, v3
	v_lshrrev_b32_e32 v3, s14, v3
	s_delay_alu instid0(VALU_DEP_1) | instskip(NEXT) | instid1(VALU_DEP_1)
	v_mul_lo_u32 v3, v3, s12
	v_sub_nc_u32_e32 v1, v1, v3
	s_delay_alu instid0(VALU_DEP_1)
	v_mad_u32 v0, v1, s16, v0
	v_mad_u32 v10, v1, s17, v10
	;; [unrolled: 1-line block ×3, first 2 shown]
	s_and_not1_b32 vcc_lo, exec_lo, s4
	s_cbranch_vccz .LBB56_1631
	s_branch .LBB56_1634
.LBB56_1629:
	s_mov_b32 s4, -1
                                        ; implicit-def: $vgpr8
                                        ; implicit-def: $vgpr10
                                        ; implicit-def: $vgpr0
.LBB56_1630:
	s_delay_alu instid0(SALU_CYCLE_1)
	s_and_not1_b32 vcc_lo, exec_lo, s4
	s_cbranch_vccnz .LBB56_1634
.LBB56_1631:
	s_clause 0x1
	s_load_b96 s[4:6], s[2:3], 0x4
	s_load_b96 s[12:14], s[2:3], 0xc4
	s_cmp_lt_u32 s26, 2
	s_wait_kmcnt 0x0
	v_mul_hi_u32 v0, s5, v5
	s_delay_alu instid0(VALU_DEP_1) | instskip(NEXT) | instid1(VALU_DEP_1)
	v_add_nc_u32_e32 v0, v5, v0
	v_lshrrev_b32_e32 v1, s6, v0
	s_delay_alu instid0(VALU_DEP_1) | instskip(NEXT) | instid1(VALU_DEP_1)
	v_mul_lo_u32 v0, v1, s4
	v_sub_nc_u32_e32 v3, v5, v0
	s_delay_alu instid0(VALU_DEP_1)
	v_mul_lo_u32 v0, v3, s12
	v_mul_lo_u32 v8, v3, s14
	v_mul_lo_u32 v10, v3, s13
	s_cbranch_scc1 .LBB56_1634
; %bb.1632:
	s_clause 0x1
	s_load_b96 s[4:6], s[2:3], 0x10
	s_load_b96 s[12:14], s[2:3], 0xd0
	s_wait_kmcnt 0x0
	v_mul_hi_u32 v3, s5, v1
	s_delay_alu instid0(VALU_DEP_1) | instskip(NEXT) | instid1(VALU_DEP_1)
	v_add_nc_u32_e32 v3, v1, v3
	v_lshrrev_b32_e32 v3, s6, v3
	s_delay_alu instid0(VALU_DEP_1) | instskip(NEXT) | instid1(VALU_DEP_1)
	v_mul_lo_u32 v3, v3, s4
	v_sub_nc_u32_e32 v1, v1, v3
	s_delay_alu instid0(VALU_DEP_1)
	v_mad_u32 v0, v1, s12, v0
	v_mad_u32 v10, v1, s13, v10
	;; [unrolled: 1-line block ×3, first 2 shown]
	s_branch .LBB56_1634
.LBB56_1633:
	v_dual_mov_b32 v8, 0 :: v_dual_mov_b32 v10, 0
	v_mov_b32_e32 v0, 0
	s_and_not1_b32 vcc_lo, exec_lo, s4
	s_cbranch_vccz .LBB56_1631
.LBB56_1634:
	v_mov_b32_e32 v23, 0
	s_load_b128 s[4:7], s[2:3], 0x188
	global_load_u8 v1, v23, s[2:3] offset:418
	s_wait_kmcnt 0x0
	v_add_nc_u64_e32 v[22:23], s[6:7], v[22:23]
	s_wait_loadcnt 0x0
	v_and_b32_e32 v3, 0xffff, v1
	v_readfirstlane_b32 s11, v1
	s_delay_alu instid0(VALU_DEP_2)
	v_cmp_gt_i32_e32 vcc_lo, 11, v3
	s_cbranch_vccnz .LBB56_1641
; %bb.1635:
	s_and_b32 s0, 0xffff, s11
	s_mov_b32 s12, 0
	s_cmp_gt_i32 s0, 25
	s_cbranch_scc0 .LBB56_1643
; %bb.1636:
	s_cmp_gt_i32 s0, 28
	s_cbranch_scc0 .LBB56_1644
; %bb.1637:
	;; [unrolled: 3-line block ×4, first 2 shown]
	s_cmp_eq_u32 s0, 46
	s_mov_b32 s10, 0
	s_cbranch_scc0 .LBB56_1649
; %bb.1640:
	global_load_b32 v1, v[22:23], off
	s_mov_b32 s1, 0
	s_mov_b32 s13, -1
	s_wait_loadcnt 0x0
	v_lshlrev_b32_e32 v1, 16, v1
	s_delay_alu instid0(VALU_DEP_1)
	v_cvt_f16_f32_e32 v1, v1
	s_branch .LBB56_1651
.LBB56_1641:
	s_mov_b32 s13, 0
	s_mov_b32 s10, s8
                                        ; implicit-def: $vgpr1
	s_cbranch_execnz .LBB56_1714
.LBB56_1642:
	s_and_not1_b32 vcc_lo, exec_lo, s13
	s_cbranch_vccz .LBB56_1759
	s_branch .LBB56_3106
.LBB56_1643:
	s_mov_b32 s13, 0
	s_mov_b32 s1, 0
                                        ; implicit-def: $vgpr1
	s_cbranch_execnz .LBB56_1679
	s_branch .LBB56_1710
.LBB56_1644:
	s_mov_b32 s10, -1
	s_mov_b32 s13, 0
	s_mov_b32 s1, 0
                                        ; implicit-def: $vgpr1
	s_branch .LBB56_1660
.LBB56_1645:
	s_mov_b32 s13, 0
	s_mov_b32 s1, 0
                                        ; implicit-def: $vgpr1
	s_cbranch_execnz .LBB56_1656
	s_branch .LBB56_1659
.LBB56_1646:
	s_mov_b32 s10, -1
	s_mov_b32 s13, 0
	s_mov_b32 s1, 0
	s_branch .LBB56_1650
.LBB56_1647:
	s_and_not1_saveexec_b32 s9, s9
	s_cbranch_execz .LBB56_1499
.LBB56_1648:
	v_add_f32_e64 v4, 0x46000000, |v2|
	s_and_not1_b32 s8, s8, exec_lo
	s_delay_alu instid0(VALU_DEP_1) | instskip(NEXT) | instid1(VALU_DEP_1)
	v_and_b32_e32 v4, 0xff, v4
	v_cmp_ne_u32_e32 vcc_lo, 0, v4
	s_and_b32 s10, vcc_lo, exec_lo
	s_delay_alu instid0(SALU_CYCLE_1)
	s_or_b32 s8, s8, s10
	s_or_b32 exec_lo, exec_lo, s9
	v_mov_b32_e32 v5, 0
	s_and_saveexec_b32 s9, s8
	s_cbranch_execnz .LBB56_1500
	s_branch .LBB56_1501
.LBB56_1649:
	s_mov_b32 s1, -1
	s_mov_b32 s13, 0
.LBB56_1650:
                                        ; implicit-def: $vgpr1
.LBB56_1651:
	s_and_b32 vcc_lo, exec_lo, s10
	s_cbranch_vccz .LBB56_1654
; %bb.1652:
	s_cmp_eq_u32 s0, 44
	s_cbranch_scc0 .LBB56_1655
; %bb.1653:
	global_load_u8 v1, v[22:23], off
	s_mov_b32 s1, 0
	s_mov_b32 s13, -1
	s_wait_loadcnt 0x0
	v_lshlrev_b32_e32 v3, 23, v1
	v_cmp_ne_u32_e32 vcc_lo, 0xff, v1
	s_delay_alu instid0(VALU_DEP_2) | instskip(NEXT) | instid1(VALU_DEP_1)
	v_cvt_f16_f32_e32 v3, v3
	v_cndmask_b32_e32 v3, 0x7e00, v3, vcc_lo
	v_cmp_ne_u32_e32 vcc_lo, 0, v1
	s_delay_alu instid0(VALU_DEP_2)
	v_cndmask_b32_e32 v1, 0, v3, vcc_lo
.LBB56_1654:
	s_branch .LBB56_1659
.LBB56_1655:
	s_mov_b32 s1, -1
                                        ; implicit-def: $vgpr1
	s_branch .LBB56_1659
.LBB56_1656:
	s_cmp_eq_u32 s0, 29
	s_cbranch_scc0 .LBB56_1658
; %bb.1657:
	global_load_b64 v[24:25], v[22:23], off
	s_mov_b32 s1, 0
	s_mov_b32 s13, -1
	s_mov_b32 s10, 0
	s_wait_loadcnt 0x0
	v_clz_i32_u32_e32 v1, v25
	s_delay_alu instid0(VALU_DEP_1) | instskip(NEXT) | instid1(VALU_DEP_1)
	v_min_u32_e32 v1, 32, v1
	v_lshlrev_b64_e32 v[24:25], v1, v[24:25]
	v_sub_nc_u32_e32 v1, 32, v1
	s_delay_alu instid0(VALU_DEP_2) | instskip(NEXT) | instid1(VALU_DEP_1)
	v_min_u32_e32 v3, 1, v24
	v_or_b32_e32 v3, v25, v3
	s_delay_alu instid0(VALU_DEP_1) | instskip(NEXT) | instid1(VALU_DEP_1)
	v_cvt_f32_u32_e32 v3, v3
	v_ldexp_f32 v1, v3, v1
	s_delay_alu instid0(VALU_DEP_1)
	v_cvt_f16_f32_e32 v1, v1
	s_branch .LBB56_1660
.LBB56_1658:
	s_mov_b32 s1, -1
                                        ; implicit-def: $vgpr1
.LBB56_1659:
	s_mov_b32 s10, 0
.LBB56_1660:
	s_delay_alu instid0(SALU_CYCLE_1)
	s_and_b32 vcc_lo, exec_lo, s10
	s_cbranch_vccz .LBB56_1678
; %bb.1661:
	s_cmp_lt_i32 s0, 27
	s_cbranch_scc1 .LBB56_1664
; %bb.1662:
	s_cmp_gt_i32 s0, 27
	s_cbranch_scc0 .LBB56_1665
; %bb.1663:
	global_load_b32 v1, v[22:23], off
	s_mov_b32 s10, 0
	s_wait_loadcnt 0x0
	v_cvt_f32_u32_e32 v1, v1
	s_delay_alu instid0(VALU_DEP_1)
	v_cvt_f16_f32_e32 v1, v1
	s_branch .LBB56_1666
.LBB56_1664:
	s_mov_b32 s10, -1
                                        ; implicit-def: $vgpr1
	s_branch .LBB56_1669
.LBB56_1665:
	s_mov_b32 s10, -1
                                        ; implicit-def: $vgpr1
.LBB56_1666:
	s_delay_alu instid0(SALU_CYCLE_1)
	s_and_not1_b32 vcc_lo, exec_lo, s10
	s_cbranch_vccnz .LBB56_1668
; %bb.1667:
	global_load_u16 v1, v[22:23], off
	s_wait_loadcnt 0x0
	v_cvt_f16_u16_e32 v1, v1
.LBB56_1668:
	s_mov_b32 s10, 0
.LBB56_1669:
	s_delay_alu instid0(SALU_CYCLE_1)
	s_and_not1_b32 vcc_lo, exec_lo, s10
	s_cbranch_vccnz .LBB56_1677
; %bb.1670:
	global_load_u8 v3, v[22:23], off
	s_mov_b32 s10, 0
	s_mov_b32 s13, exec_lo
	s_wait_loadcnt 0x0
	v_cmpx_lt_i16_e32 0x7f, v3
	s_xor_b32 s13, exec_lo, s13
	s_cbranch_execz .LBB56_1690
; %bb.1671:
	s_mov_b32 s10, -1
	s_mov_b32 s14, exec_lo
	v_cmpx_eq_u16_e32 0x80, v3
; %bb.1672:
	s_xor_b32 s10, exec_lo, -1
; %bb.1673:
	s_or_b32 exec_lo, exec_lo, s14
	s_delay_alu instid0(SALU_CYCLE_1)
	s_and_b32 s10, s10, exec_lo
	s_or_saveexec_b32 s13, s13
	v_mov_b32_e32 v1, 0x7e00
	s_xor_b32 exec_lo, exec_lo, s13
	s_cbranch_execnz .LBB56_1691
.LBB56_1674:
	s_or_b32 exec_lo, exec_lo, s13
	s_and_saveexec_b32 s13, s10
	s_cbranch_execz .LBB56_1676
.LBB56_1675:
	v_and_b32_e32 v1, 0xffff, v3
	s_delay_alu instid0(VALU_DEP_1) | instskip(SKIP_1) | instid1(VALU_DEP_2)
	v_and_b32_e32 v5, 7, v1
	v_bfe_u32 v11, v1, 3, 4
	v_clz_i32_u32_e32 v7, v5
	s_delay_alu instid0(VALU_DEP_2) | instskip(NEXT) | instid1(VALU_DEP_2)
	v_cmp_eq_u32_e32 vcc_lo, 0, v11
	v_min_u32_e32 v7, 32, v7
	s_delay_alu instid0(VALU_DEP_1) | instskip(NEXT) | instid1(VALU_DEP_1)
	v_subrev_nc_u32_e32 v9, 28, v7
	v_dual_lshlrev_b32 v1, v9, v1 :: v_dual_sub_nc_u32 v7, 29, v7
	s_delay_alu instid0(VALU_DEP_1) | instskip(NEXT) | instid1(VALU_DEP_1)
	v_dual_lshlrev_b32 v3, 24, v3 :: v_dual_bitop2_b32 v1, 7, v1 bitop3:0x40
	v_dual_cndmask_b32 v1, v5, v1, vcc_lo :: v_dual_cndmask_b32 v7, v11, v7, vcc_lo
	s_delay_alu instid0(VALU_DEP_2) | instskip(NEXT) | instid1(VALU_DEP_2)
	v_and_b32_e32 v3, 0x80000000, v3
	v_lshlrev_b32_e32 v1, 20, v1
	s_delay_alu instid0(VALU_DEP_3) | instskip(NEXT) | instid1(VALU_DEP_1)
	v_lshl_add_u32 v5, v7, 23, 0x3b800000
	v_or3_b32 v1, v3, v5, v1
	s_delay_alu instid0(VALU_DEP_1)
	v_cvt_f16_f32_e32 v1, v1
.LBB56_1676:
	s_or_b32 exec_lo, exec_lo, s13
.LBB56_1677:
	s_mov_b32 s13, -1
.LBB56_1678:
	s_branch .LBB56_1710
.LBB56_1679:
	s_cmp_gt_i32 s0, 22
	s_cbranch_scc0 .LBB56_1689
; %bb.1680:
	s_cmp_lt_i32 s0, 24
	s_cbranch_scc1 .LBB56_1692
; %bb.1681:
	s_cmp_gt_i32 s0, 24
	s_cbranch_scc0 .LBB56_1693
; %bb.1682:
	global_load_u8 v3, v[22:23], off
	s_mov_b32 s10, 0
	s_mov_b32 s12, exec_lo
	s_wait_loadcnt 0x0
	v_cmpx_lt_i16_e32 0x7f, v3
	s_xor_b32 s12, exec_lo, s12
	s_cbranch_execz .LBB56_1704
; %bb.1683:
	s_mov_b32 s10, -1
	s_mov_b32 s13, exec_lo
	v_cmpx_eq_u16_e32 0x80, v3
; %bb.1684:
	s_xor_b32 s10, exec_lo, -1
; %bb.1685:
	s_or_b32 exec_lo, exec_lo, s13
	s_delay_alu instid0(SALU_CYCLE_1)
	s_and_b32 s10, s10, exec_lo
	s_or_saveexec_b32 s12, s12
	v_mov_b32_e32 v1, 0x7e00
	s_xor_b32 exec_lo, exec_lo, s12
	s_cbranch_execnz .LBB56_1705
.LBB56_1686:
	s_or_b32 exec_lo, exec_lo, s12
	s_and_saveexec_b32 s12, s10
	s_cbranch_execz .LBB56_1688
.LBB56_1687:
	v_and_b32_e32 v1, 0xffff, v3
	s_delay_alu instid0(VALU_DEP_1) | instskip(SKIP_1) | instid1(VALU_DEP_2)
	v_and_b32_e32 v5, 3, v1
	v_bfe_u32 v11, v1, 2, 5
	v_clz_i32_u32_e32 v7, v5
	s_delay_alu instid0(VALU_DEP_2) | instskip(NEXT) | instid1(VALU_DEP_2)
	v_cmp_eq_u32_e32 vcc_lo, 0, v11
	v_min_u32_e32 v7, 32, v7
	s_delay_alu instid0(VALU_DEP_1) | instskip(NEXT) | instid1(VALU_DEP_1)
	v_subrev_nc_u32_e32 v9, 29, v7
	v_dual_lshlrev_b32 v1, v9, v1 :: v_dual_sub_nc_u32 v7, 30, v7
	s_delay_alu instid0(VALU_DEP_1) | instskip(NEXT) | instid1(VALU_DEP_1)
	v_dual_lshlrev_b32 v3, 24, v3 :: v_dual_bitop2_b32 v1, 3, v1 bitop3:0x40
	v_dual_cndmask_b32 v1, v5, v1, vcc_lo :: v_dual_cndmask_b32 v7, v11, v7, vcc_lo
	s_delay_alu instid0(VALU_DEP_2) | instskip(NEXT) | instid1(VALU_DEP_2)
	v_and_b32_e32 v3, 0x80000000, v3
	v_lshlrev_b32_e32 v1, 21, v1
	s_delay_alu instid0(VALU_DEP_3) | instskip(NEXT) | instid1(VALU_DEP_1)
	v_lshl_add_u32 v5, v7, 23, 0x37800000
	v_or3_b32 v1, v3, v5, v1
	s_delay_alu instid0(VALU_DEP_1)
	v_cvt_f16_f32_e32 v1, v1
.LBB56_1688:
	s_or_b32 exec_lo, exec_lo, s12
	s_mov_b32 s10, 0
	s_branch .LBB56_1694
.LBB56_1689:
                                        ; implicit-def: $vgpr1
	s_mov_b32 s12, 0
	s_branch .LBB56_1700
.LBB56_1690:
	s_or_saveexec_b32 s13, s13
	v_mov_b32_e32 v1, 0x7e00
	s_xor_b32 exec_lo, exec_lo, s13
	s_cbranch_execz .LBB56_1674
.LBB56_1691:
	v_cmp_ne_u16_e32 vcc_lo, 0, v3
	v_mov_b32_e32 v1, v3
	s_and_not1_b32 s10, s10, exec_lo
	s_and_b32 s14, vcc_lo, exec_lo
	s_delay_alu instid0(SALU_CYCLE_1)
	s_or_b32 s10, s10, s14
	s_or_b32 exec_lo, exec_lo, s13
	s_and_saveexec_b32 s13, s10
	s_cbranch_execnz .LBB56_1675
	s_branch .LBB56_1676
.LBB56_1692:
	s_mov_b32 s10, -1
                                        ; implicit-def: $vgpr1
	s_branch .LBB56_1697
.LBB56_1693:
	s_mov_b32 s10, -1
                                        ; implicit-def: $vgpr1
.LBB56_1694:
	s_delay_alu instid0(SALU_CYCLE_1)
	s_and_b32 vcc_lo, exec_lo, s10
	s_cbranch_vccz .LBB56_1696
; %bb.1695:
	global_load_u8 v1, v[22:23], off
	s_wait_loadcnt 0x0
	v_lshlrev_b32_e32 v1, 24, v1
	s_delay_alu instid0(VALU_DEP_1) | instskip(NEXT) | instid1(VALU_DEP_1)
	v_and_b32_e32 v3, 0x7f000000, v1
	v_clz_i32_u32_e32 v5, v3
	v_add_nc_u32_e32 v9, 0x1000000, v3
	v_cmp_ne_u32_e32 vcc_lo, 0, v3
	s_delay_alu instid0(VALU_DEP_3) | instskip(NEXT) | instid1(VALU_DEP_1)
	v_min_u32_e32 v5, 32, v5
	v_sub_nc_u32_e64 v5, v5, 4 clamp
	s_delay_alu instid0(VALU_DEP_1) | instskip(NEXT) | instid1(VALU_DEP_1)
	v_dual_lshlrev_b32 v7, v5, v3 :: v_dual_lshlrev_b32 v5, 23, v5
	v_lshrrev_b32_e32 v7, 4, v7
	s_delay_alu instid0(VALU_DEP_1) | instskip(SKIP_1) | instid1(VALU_DEP_2)
	v_sub_nc_u32_e32 v5, v7, v5
	v_ashrrev_i32_e32 v7, 8, v9
	v_add_nc_u32_e32 v5, 0x3c000000, v5
	s_delay_alu instid0(VALU_DEP_1) | instskip(NEXT) | instid1(VALU_DEP_1)
	v_and_or_b32 v5, 0x7f800000, v7, v5
	v_cndmask_b32_e32 v3, 0, v5, vcc_lo
	s_delay_alu instid0(VALU_DEP_1) | instskip(NEXT) | instid1(VALU_DEP_1)
	v_and_or_b32 v1, 0x80000000, v1, v3
	v_cvt_f16_f32_e32 v1, v1
.LBB56_1696:
	s_mov_b32 s10, 0
.LBB56_1697:
	s_delay_alu instid0(SALU_CYCLE_1)
	s_and_not1_b32 vcc_lo, exec_lo, s10
	s_cbranch_vccnz .LBB56_1699
; %bb.1698:
	global_load_u8 v1, v[22:23], off
	s_wait_loadcnt 0x0
	v_lshlrev_b32_e32 v3, 25, v1
	v_lshlrev_b16 v1, 8, v1
	s_delay_alu instid0(VALU_DEP_1) | instskip(SKIP_1) | instid1(VALU_DEP_2)
	v_and_or_b32 v7, 0x7f00, v1, 0.5
	v_bfe_i32 v1, v1, 0, 16
	v_add_f32_e32 v7, -0.5, v7
	v_lshrrev_b32_e32 v5, 4, v3
	v_cmp_gt_u32_e32 vcc_lo, 0x8000000, v3
	s_delay_alu instid0(VALU_DEP_2) | instskip(NEXT) | instid1(VALU_DEP_1)
	v_or_b32_e32 v5, 0x70000000, v5
	v_mul_f32_e32 v5, 0x7800000, v5
	s_delay_alu instid0(VALU_DEP_1) | instskip(NEXT) | instid1(VALU_DEP_1)
	v_cndmask_b32_e32 v3, v5, v7, vcc_lo
	v_and_or_b32 v1, 0x80000000, v1, v3
	s_delay_alu instid0(VALU_DEP_1)
	v_cvt_f16_f32_e32 v1, v1
.LBB56_1699:
	s_mov_b32 s13, -1
	s_mov_b32 s12, 0
	s_cbranch_execnz .LBB56_1710
.LBB56_1700:
	s_cmp_gt_i32 s0, 14
	s_cbranch_scc0 .LBB56_1703
; %bb.1701:
	s_cmp_eq_u32 s0, 15
	s_cbranch_scc0 .LBB56_1706
; %bb.1702:
	global_load_u16 v1, v[22:23], off
	s_mov_b32 s1, 0
	s_mov_b32 s13, -1
	s_wait_loadcnt 0x0
	v_lshlrev_b32_e32 v1, 16, v1
	s_delay_alu instid0(VALU_DEP_1)
	v_cvt_f16_f32_e32 v1, v1
	s_branch .LBB56_1707
.LBB56_1703:
	s_mov_b32 s10, -1
                                        ; implicit-def: $vgpr1
	s_branch .LBB56_1708
.LBB56_1704:
	s_or_saveexec_b32 s12, s12
	v_mov_b32_e32 v1, 0x7e00
	s_xor_b32 exec_lo, exec_lo, s12
	s_cbranch_execz .LBB56_1686
.LBB56_1705:
	v_cmp_ne_u16_e32 vcc_lo, 0, v3
	v_mov_b32_e32 v1, v3
	s_and_not1_b32 s10, s10, exec_lo
	s_and_b32 s13, vcc_lo, exec_lo
	s_delay_alu instid0(SALU_CYCLE_1)
	s_or_b32 s10, s10, s13
	s_or_b32 exec_lo, exec_lo, s12
	s_and_saveexec_b32 s12, s10
	s_cbranch_execnz .LBB56_1687
	s_branch .LBB56_1688
.LBB56_1706:
	s_mov_b32 s1, -1
                                        ; implicit-def: $vgpr1
.LBB56_1707:
	s_mov_b32 s10, 0
.LBB56_1708:
	s_delay_alu instid0(SALU_CYCLE_1)
	s_and_b32 vcc_lo, exec_lo, s10
	s_cbranch_vccz .LBB56_1710
; %bb.1709:
	s_cmp_lg_u32 s0, 11
	s_mov_b32 s12, -1
	s_cselect_b32 s1, -1, 0
.LBB56_1710:
	s_delay_alu instid0(SALU_CYCLE_1)
	s_and_b32 vcc_lo, exec_lo, s1
	s_mov_b32 s10, s8
	s_cbranch_vccnz .LBB56_1771
; %bb.1711:
	s_and_not1_b32 vcc_lo, exec_lo, s12
	s_cbranch_vccnz .LBB56_1713
.LBB56_1712:
	global_load_u8 v1, v[22:23], off
	s_mov_b32 s13, -1
	s_wait_loadcnt 0x0
	v_cmp_ne_u16_e32 vcc_lo, 0, v1
	v_cndmask_b32_e64 v1, 0, 0x3c00, vcc_lo
.LBB56_1713:
	s_branch .LBB56_1642
.LBB56_1714:
	s_and_b32 s0, 0xffff, s11
	s_delay_alu instid0(SALU_CYCLE_1)
	s_cmp_lt_i32 s0, 5
	s_cbranch_scc1 .LBB56_1719
; %bb.1715:
	s_cmp_lt_i32 s0, 8
	s_cbranch_scc1 .LBB56_1720
; %bb.1716:
	;; [unrolled: 3-line block ×3, first 2 shown]
	s_cmp_gt_i32 s0, 9
	s_cbranch_scc0 .LBB56_1722
; %bb.1718:
	global_load_b64 v[24:25], v[22:23], off
	s_mov_b32 s1, 0
	s_wait_loadcnt 0x0
	v_and_or_b32 v1, 0x1ff, v25, v24
	v_lshrrev_b32_e32 v3, 8, v25
	v_bfe_u32 v5, v25, 20, 11
	s_delay_alu instid0(VALU_DEP_3) | instskip(NEXT) | instid1(VALU_DEP_2)
	v_cmp_ne_u32_e32 vcc_lo, 0, v1
	v_sub_nc_u32_e32 v7, 0x3f1, v5
	v_add_nc_u32_e32 v5, 0xfffffc10, v5
	v_cndmask_b32_e64 v1, 0, 1, vcc_lo
	s_delay_alu instid0(VALU_DEP_1) | instskip(NEXT) | instid1(VALU_DEP_4)
	v_and_or_b32 v1, 0xffe, v3, v1
	v_med3_i32 v3, v7, 0, 13
	s_delay_alu instid0(VALU_DEP_2) | instskip(NEXT) | instid1(VALU_DEP_1)
	v_or_b32_e32 v7, 0x1000, v1
	v_lshrrev_b32_e32 v9, v3, v7
	s_delay_alu instid0(VALU_DEP_1) | instskip(NEXT) | instid1(VALU_DEP_1)
	v_lshlrev_b32_e32 v3, v3, v9
	v_cmp_ne_u32_e32 vcc_lo, v3, v7
	v_lshl_or_b32 v7, v5, 12, v1
	v_cndmask_b32_e64 v3, 0, 1, vcc_lo
	v_cmp_gt_i32_e32 vcc_lo, 1, v5
	s_delay_alu instid0(VALU_DEP_2) | instskip(NEXT) | instid1(VALU_DEP_1)
	v_or_b32_e32 v3, v9, v3
	v_cndmask_b32_e32 v3, v7, v3, vcc_lo
	s_delay_alu instid0(VALU_DEP_1) | instskip(NEXT) | instid1(VALU_DEP_1)
	v_and_b32_e32 v7, 7, v3
	v_cmp_lt_i32_e32 vcc_lo, 5, v7
	v_cndmask_b32_e64 v9, 0, 1, vcc_lo
	v_cmp_eq_u32_e32 vcc_lo, 3, v7
	v_cndmask_b32_e64 v7, 0, 1, vcc_lo
	v_cmp_ne_u32_e32 vcc_lo, 0, v1
	s_delay_alu instid0(VALU_DEP_2) | instskip(SKIP_1) | instid1(VALU_DEP_2)
	v_dual_lshrrev_b32 v3, 2, v3 :: v_dual_bitop2_b32 v7, v7, v9 bitop3:0x54
	v_mov_b32_e32 v9, 0x7e00
	v_add_nc_u32_e32 v3, v3, v7
	s_delay_alu instid0(VALU_DEP_2) | instskip(SKIP_1) | instid1(VALU_DEP_3)
	v_cndmask_b32_e32 v1, 0x7c00, v9, vcc_lo
	v_cmp_gt_i32_e32 vcc_lo, 31, v5
	v_cndmask_b32_e32 v3, 0x7c00, v3, vcc_lo
	v_cmp_eq_u32_e32 vcc_lo, 0x40f, v5
	s_delay_alu instid0(VALU_DEP_2) | instskip(SKIP_1) | instid1(VALU_DEP_1)
	v_cndmask_b32_e32 v1, v3, v1, vcc_lo
	v_lshrrev_b32_e32 v3, 16, v25
	v_and_or_b32 v1, 0x8000, v3, v1
	s_branch .LBB56_1723
.LBB56_1719:
                                        ; implicit-def: $vgpr1
	s_branch .LBB56_1740
.LBB56_1720:
                                        ; implicit-def: $vgpr1
	s_branch .LBB56_1729
.LBB56_1721:
	s_mov_b32 s1, -1
                                        ; implicit-def: $vgpr1
	s_branch .LBB56_1726
.LBB56_1722:
	s_mov_b32 s1, -1
                                        ; implicit-def: $vgpr1
.LBB56_1723:
	s_delay_alu instid0(SALU_CYCLE_1)
	s_and_not1_b32 vcc_lo, exec_lo, s1
	s_cbranch_vccnz .LBB56_1725
; %bb.1724:
	global_load_b32 v1, v[22:23], off
	s_wait_loadcnt 0x0
	v_cvt_f16_f32_e32 v1, v1
.LBB56_1725:
	s_mov_b32 s1, 0
.LBB56_1726:
	s_delay_alu instid0(SALU_CYCLE_1)
	s_and_not1_b32 vcc_lo, exec_lo, s1
	s_cbranch_vccnz .LBB56_1728
; %bb.1727:
	global_load_b32 v1, v[22:23], off
.LBB56_1728:
	s_cbranch_execnz .LBB56_1739
.LBB56_1729:
	s_cmp_lt_i32 s0, 6
	s_cbranch_scc1 .LBB56_1732
; %bb.1730:
	s_cmp_gt_i32 s0, 6
	s_cbranch_scc0 .LBB56_1733
; %bb.1731:
	global_load_b64 v[24:25], v[22:23], off
	s_mov_b32 s1, 0
	s_wait_loadcnt 0x0
	v_and_or_b32 v1, 0x1ff, v25, v24
	v_lshrrev_b32_e32 v3, 8, v25
	v_bfe_u32 v5, v25, 20, 11
	s_delay_alu instid0(VALU_DEP_3) | instskip(NEXT) | instid1(VALU_DEP_2)
	v_cmp_ne_u32_e32 vcc_lo, 0, v1
	v_sub_nc_u32_e32 v7, 0x3f1, v5
	v_add_nc_u32_e32 v5, 0xfffffc10, v5
	v_cndmask_b32_e64 v1, 0, 1, vcc_lo
	s_delay_alu instid0(VALU_DEP_1) | instskip(NEXT) | instid1(VALU_DEP_4)
	v_and_or_b32 v1, 0xffe, v3, v1
	v_med3_i32 v3, v7, 0, 13
	s_delay_alu instid0(VALU_DEP_2) | instskip(NEXT) | instid1(VALU_DEP_1)
	v_or_b32_e32 v7, 0x1000, v1
	v_lshrrev_b32_e32 v9, v3, v7
	s_delay_alu instid0(VALU_DEP_1) | instskip(NEXT) | instid1(VALU_DEP_1)
	v_lshlrev_b32_e32 v3, v3, v9
	v_cmp_ne_u32_e32 vcc_lo, v3, v7
	v_lshl_or_b32 v7, v5, 12, v1
	v_cndmask_b32_e64 v3, 0, 1, vcc_lo
	v_cmp_gt_i32_e32 vcc_lo, 1, v5
	s_delay_alu instid0(VALU_DEP_2) | instskip(NEXT) | instid1(VALU_DEP_1)
	v_or_b32_e32 v3, v9, v3
	v_cndmask_b32_e32 v3, v7, v3, vcc_lo
	s_delay_alu instid0(VALU_DEP_1) | instskip(NEXT) | instid1(VALU_DEP_1)
	v_and_b32_e32 v7, 7, v3
	v_cmp_lt_i32_e32 vcc_lo, 5, v7
	v_cndmask_b32_e64 v9, 0, 1, vcc_lo
	v_cmp_eq_u32_e32 vcc_lo, 3, v7
	v_cndmask_b32_e64 v7, 0, 1, vcc_lo
	v_cmp_ne_u32_e32 vcc_lo, 0, v1
	s_delay_alu instid0(VALU_DEP_2) | instskip(SKIP_1) | instid1(VALU_DEP_2)
	v_dual_lshrrev_b32 v3, 2, v3 :: v_dual_bitop2_b32 v7, v7, v9 bitop3:0x54
	v_mov_b32_e32 v9, 0x7e00
	v_add_nc_u32_e32 v3, v3, v7
	s_delay_alu instid0(VALU_DEP_2) | instskip(SKIP_1) | instid1(VALU_DEP_3)
	v_cndmask_b32_e32 v1, 0x7c00, v9, vcc_lo
	v_cmp_gt_i32_e32 vcc_lo, 31, v5
	v_cndmask_b32_e32 v3, 0x7c00, v3, vcc_lo
	v_cmp_eq_u32_e32 vcc_lo, 0x40f, v5
	s_delay_alu instid0(VALU_DEP_2) | instskip(SKIP_1) | instid1(VALU_DEP_1)
	v_cndmask_b32_e32 v1, v3, v1, vcc_lo
	v_lshrrev_b32_e32 v3, 16, v25
	v_and_or_b32 v1, 0x8000, v3, v1
	s_branch .LBB56_1734
.LBB56_1732:
	s_mov_b32 s1, -1
                                        ; implicit-def: $vgpr1
	s_branch .LBB56_1737
.LBB56_1733:
	s_mov_b32 s1, -1
                                        ; implicit-def: $vgpr1
.LBB56_1734:
	s_delay_alu instid0(SALU_CYCLE_1)
	s_and_not1_b32 vcc_lo, exec_lo, s1
	s_cbranch_vccnz .LBB56_1736
; %bb.1735:
	s_wait_loadcnt 0x0
	global_load_b32 v1, v[22:23], off
	s_wait_loadcnt 0x0
	v_cvt_f16_f32_e32 v1, v1
.LBB56_1736:
	s_mov_b32 s1, 0
.LBB56_1737:
	s_delay_alu instid0(SALU_CYCLE_1)
	s_and_not1_b32 vcc_lo, exec_lo, s1
	s_cbranch_vccnz .LBB56_1739
; %bb.1738:
	s_wait_loadcnt 0x0
	global_load_u16 v1, v[22:23], off
.LBB56_1739:
	s_cbranch_execnz .LBB56_1758
.LBB56_1740:
	s_cmp_lt_i32 s0, 2
	s_cbranch_scc1 .LBB56_1744
; %bb.1741:
	s_cmp_lt_i32 s0, 3
	s_cbranch_scc1 .LBB56_1745
; %bb.1742:
	s_cmp_gt_i32 s0, 3
	s_cbranch_scc0 .LBB56_1746
; %bb.1743:
	global_load_b64 v[24:25], v[22:23], off
	s_mov_b32 s1, 0
	s_wait_loadcnt 0x0
	v_xor_b32_e32 v1, v24, v25
	v_cls_i32_e32 v3, v25
	s_delay_alu instid0(VALU_DEP_2) | instskip(NEXT) | instid1(VALU_DEP_1)
	v_ashrrev_i32_e32 v1, 31, v1
	v_add_nc_u32_e32 v1, 32, v1
	s_delay_alu instid0(VALU_DEP_1) | instskip(NEXT) | instid1(VALU_DEP_1)
	v_add_min_u32_e64 v1, v3, -1, v1
	v_lshlrev_b64_e32 v[24:25], v1, v[24:25]
	v_sub_nc_u32_e32 v1, 32, v1
	s_delay_alu instid0(VALU_DEP_2) | instskip(NEXT) | instid1(VALU_DEP_1)
	v_min_u32_e32 v3, 1, v24
	v_or_b32_e32 v3, v25, v3
	s_delay_alu instid0(VALU_DEP_1) | instskip(NEXT) | instid1(VALU_DEP_1)
	v_cvt_f32_i32_e32 v3, v3
	v_ldexp_f32 v1, v3, v1
	s_delay_alu instid0(VALU_DEP_1)
	v_cvt_f16_f32_e32 v1, v1
	s_branch .LBB56_1747
.LBB56_1744:
                                        ; implicit-def: $vgpr1
	s_branch .LBB56_1753
.LBB56_1745:
	s_mov_b32 s1, -1
                                        ; implicit-def: $vgpr1
	s_branch .LBB56_1750
.LBB56_1746:
	s_mov_b32 s1, -1
                                        ; implicit-def: $vgpr1
.LBB56_1747:
	s_delay_alu instid0(SALU_CYCLE_1)
	s_and_not1_b32 vcc_lo, exec_lo, s1
	s_cbranch_vccnz .LBB56_1749
; %bb.1748:
	s_wait_loadcnt 0x0
	global_load_b32 v1, v[22:23], off
	s_wait_loadcnt 0x0
	v_cvt_f32_i32_e32 v1, v1
	s_delay_alu instid0(VALU_DEP_1)
	v_cvt_f16_f32_e32 v1, v1
.LBB56_1749:
	s_mov_b32 s1, 0
.LBB56_1750:
	s_delay_alu instid0(SALU_CYCLE_1)
	s_and_not1_b32 vcc_lo, exec_lo, s1
	s_cbranch_vccnz .LBB56_1752
; %bb.1751:
	s_wait_loadcnt 0x0
	global_load_u16 v1, v[22:23], off
	s_wait_loadcnt 0x0
	v_cvt_f16_i16_e32 v1, v1
.LBB56_1752:
	s_cbranch_execnz .LBB56_1758
.LBB56_1753:
	s_cmp_gt_i32 s0, 0
	s_mov_b32 s0, 0
	s_cbranch_scc0 .LBB56_1755
; %bb.1754:
	s_wait_loadcnt 0x0
	global_load_i8 v1, v[22:23], off
	s_wait_loadcnt 0x0
	v_cvt_f16_i16_e32 v1, v1
	s_branch .LBB56_1756
.LBB56_1755:
	s_mov_b32 s0, -1
                                        ; implicit-def: $vgpr1
.LBB56_1756:
	s_delay_alu instid0(SALU_CYCLE_1)
	s_and_not1_b32 vcc_lo, exec_lo, s0
	s_cbranch_vccnz .LBB56_1758
; %bb.1757:
	s_wait_loadcnt 0x0
	global_load_u8 v1, v[22:23], off
	s_wait_loadcnt 0x0
	v_cvt_f16_u16_e32 v1, v1
.LBB56_1758:
.LBB56_1759:
	v_mov_b32_e32 v21, 0
	s_load_b64 s[0:1], s[2:3], 0x198
	global_load_u8 v3, v21, s[2:3] offset:419
	s_wait_kmcnt 0x0
	v_add_nc_u64_e32 v[20:21], s[0:1], v[20:21]
	s_wait_loadcnt 0x0
	v_and_b32_e32 v5, 0xffff, v3
	v_readfirstlane_b32 s12, v3
	s_delay_alu instid0(VALU_DEP_2)
	v_cmp_gt_i32_e32 vcc_lo, 11, v5
	s_cbranch_vccnz .LBB56_1766
; %bb.1760:
	s_and_b32 s13, 0xffff, s12
	s_mov_b32 s15, 0
	s_cmp_gt_i32 s13, 25
	s_cbranch_scc0 .LBB56_1768
; %bb.1761:
	s_cmp_gt_i32 s13, 28
	s_cbranch_scc0 .LBB56_1769
; %bb.1762:
	;; [unrolled: 3-line block ×4, first 2 shown]
	s_cmp_eq_u32 s13, 46
	s_mov_b32 s17, 0
	s_cbranch_scc0 .LBB56_1775
; %bb.1765:
	global_load_b32 v3, v[20:21], off
	s_mov_b32 s14, 0
	s_mov_b32 s16, -1
	s_wait_loadcnt 0x0
	v_lshlrev_b32_e32 v3, 16, v3
	s_delay_alu instid0(VALU_DEP_1)
	v_cvt_f16_f32_e32 v3, v3
	s_branch .LBB56_1777
.LBB56_1766:
	s_mov_b32 s16, 0
                                        ; implicit-def: $vgpr3
	s_cbranch_execnz .LBB56_1842
.LBB56_1767:
	s_and_not1_b32 vcc_lo, exec_lo, s16
	s_cbranch_vccz .LBB56_1889
	s_branch .LBB56_3106
.LBB56_1768:
	s_mov_b32 s16, 0
	s_mov_b32 s14, 0
                                        ; implicit-def: $vgpr3
	s_cbranch_execnz .LBB56_1806
	s_branch .LBB56_1838
.LBB56_1769:
	s_mov_b32 s17, -1
	s_mov_b32 s16, 0
	s_mov_b32 s14, 0
                                        ; implicit-def: $vgpr3
	s_branch .LBB56_1787
.LBB56_1770:
	s_mov_b32 s17, -1
	s_mov_b32 s16, 0
	s_mov_b32 s14, 0
                                        ; implicit-def: $vgpr3
	s_branch .LBB56_1782
.LBB56_1771:
	s_or_b32 s10, s8, exec_lo
	s_trap 2
	s_cbranch_execz .LBB56_1712
	s_branch .LBB56_1713
.LBB56_1772:
	s_mov_b32 s17, -1
	s_mov_b32 s16, 0
	s_mov_b32 s14, 0
	s_branch .LBB56_1776
.LBB56_1773:
	s_and_not1_saveexec_b32 s10, s10
	s_cbranch_execz .LBB56_1511
.LBB56_1774:
	v_add_f32_e64 v4, 0x42800000, |v2|
	s_and_not1_b32 s9, s9, exec_lo
	s_delay_alu instid0(VALU_DEP_1) | instskip(NEXT) | instid1(VALU_DEP_1)
	v_and_b32_e32 v4, 0xff, v4
	v_cmp_ne_u32_e32 vcc_lo, 0, v4
	s_and_b32 s11, vcc_lo, exec_lo
	s_delay_alu instid0(SALU_CYCLE_1)
	s_or_b32 s9, s9, s11
	s_or_b32 exec_lo, exec_lo, s10
	v_mov_b32_e32 v5, 0
	s_and_saveexec_b32 s10, s9
	s_cbranch_execnz .LBB56_1512
	s_branch .LBB56_1513
.LBB56_1775:
	s_mov_b32 s14, -1
	s_mov_b32 s16, 0
.LBB56_1776:
                                        ; implicit-def: $vgpr3
.LBB56_1777:
	s_and_b32 vcc_lo, exec_lo, s17
	s_cbranch_vccz .LBB56_1781
; %bb.1778:
	s_cmp_eq_u32 s13, 44
	s_cbranch_scc0 .LBB56_1780
; %bb.1779:
	global_load_u8 v3, v[20:21], off
	s_mov_b32 s14, 0
	s_mov_b32 s16, -1
	s_wait_loadcnt 0x0
	v_lshlrev_b32_e32 v5, 23, v3
	v_cmp_ne_u32_e32 vcc_lo, 0xff, v3
	s_delay_alu instid0(VALU_DEP_2) | instskip(NEXT) | instid1(VALU_DEP_1)
	v_cvt_f16_f32_e32 v5, v5
	v_cndmask_b32_e32 v5, 0x7e00, v5, vcc_lo
	v_cmp_ne_u32_e32 vcc_lo, 0, v3
	s_delay_alu instid0(VALU_DEP_2)
	v_cndmask_b32_e32 v3, 0, v5, vcc_lo
	s_branch .LBB56_1781
.LBB56_1780:
	s_mov_b32 s14, -1
                                        ; implicit-def: $vgpr3
.LBB56_1781:
	s_mov_b32 s17, 0
.LBB56_1782:
	s_delay_alu instid0(SALU_CYCLE_1)
	s_and_b32 vcc_lo, exec_lo, s17
	s_cbranch_vccz .LBB56_1786
; %bb.1783:
	s_cmp_eq_u32 s13, 29
	s_cbranch_scc0 .LBB56_1785
; %bb.1784:
	global_load_b64 v[22:23], v[20:21], off
	s_mov_b32 s14, 0
	s_mov_b32 s16, -1
	s_mov_b32 s17, 0
	s_wait_loadcnt 0x0
	v_clz_i32_u32_e32 v3, v23
	s_delay_alu instid0(VALU_DEP_1) | instskip(NEXT) | instid1(VALU_DEP_1)
	v_min_u32_e32 v3, 32, v3
	v_lshlrev_b64_e32 v[22:23], v3, v[22:23]
	v_sub_nc_u32_e32 v3, 32, v3
	s_delay_alu instid0(VALU_DEP_2) | instskip(NEXT) | instid1(VALU_DEP_1)
	v_min_u32_e32 v5, 1, v22
	v_or_b32_e32 v5, v23, v5
	s_delay_alu instid0(VALU_DEP_1) | instskip(NEXT) | instid1(VALU_DEP_1)
	v_cvt_f32_u32_e32 v5, v5
	v_ldexp_f32 v3, v5, v3
	s_delay_alu instid0(VALU_DEP_1)
	v_cvt_f16_f32_e32 v3, v3
	s_branch .LBB56_1787
.LBB56_1785:
	s_mov_b32 s14, -1
                                        ; implicit-def: $vgpr3
.LBB56_1786:
	s_mov_b32 s17, 0
.LBB56_1787:
	s_delay_alu instid0(SALU_CYCLE_1)
	s_and_b32 vcc_lo, exec_lo, s17
	s_cbranch_vccz .LBB56_1805
; %bb.1788:
	s_cmp_lt_i32 s13, 27
	s_cbranch_scc1 .LBB56_1791
; %bb.1789:
	s_cmp_gt_i32 s13, 27
	s_cbranch_scc0 .LBB56_1792
; %bb.1790:
	global_load_b32 v3, v[20:21], off
	s_mov_b32 s16, 0
	s_wait_loadcnt 0x0
	v_cvt_f32_u32_e32 v3, v3
	s_delay_alu instid0(VALU_DEP_1)
	v_cvt_f16_f32_e32 v3, v3
	s_branch .LBB56_1793
.LBB56_1791:
	s_mov_b32 s16, -1
                                        ; implicit-def: $vgpr3
	s_branch .LBB56_1796
.LBB56_1792:
	s_mov_b32 s16, -1
                                        ; implicit-def: $vgpr3
.LBB56_1793:
	s_delay_alu instid0(SALU_CYCLE_1)
	s_and_not1_b32 vcc_lo, exec_lo, s16
	s_cbranch_vccnz .LBB56_1795
; %bb.1794:
	global_load_u16 v3, v[20:21], off
	s_wait_loadcnt 0x0
	v_cvt_f16_u16_e32 v3, v3
.LBB56_1795:
	s_mov_b32 s16, 0
.LBB56_1796:
	s_delay_alu instid0(SALU_CYCLE_1)
	s_and_not1_b32 vcc_lo, exec_lo, s16
	s_cbranch_vccnz .LBB56_1804
; %bb.1797:
	global_load_u8 v5, v[20:21], off
	s_mov_b32 s16, 0
	s_mov_b32 s17, exec_lo
	s_wait_loadcnt 0x0
	v_cmpx_lt_i16_e32 0x7f, v5
	s_xor_b32 s17, exec_lo, s17
	s_cbranch_execz .LBB56_1817
; %bb.1798:
	s_mov_b32 s16, -1
	s_mov_b32 s18, exec_lo
	v_cmpx_eq_u16_e32 0x80, v5
; %bb.1799:
	s_xor_b32 s16, exec_lo, -1
; %bb.1800:
	s_or_b32 exec_lo, exec_lo, s18
	s_delay_alu instid0(SALU_CYCLE_1)
	s_and_b32 s16, s16, exec_lo
	s_or_saveexec_b32 s17, s17
	v_mov_b32_e32 v3, 0x7e00
	s_xor_b32 exec_lo, exec_lo, s17
	s_cbranch_execnz .LBB56_1818
.LBB56_1801:
	s_or_b32 exec_lo, exec_lo, s17
	s_and_saveexec_b32 s17, s16
	s_cbranch_execz .LBB56_1803
.LBB56_1802:
	v_and_b32_e32 v3, 0xffff, v5
	s_delay_alu instid0(VALU_DEP_1) | instskip(SKIP_1) | instid1(VALU_DEP_2)
	v_and_b32_e32 v7, 7, v3
	v_bfe_u32 v13, v3, 3, 4
	v_clz_i32_u32_e32 v9, v7
	s_delay_alu instid0(VALU_DEP_2) | instskip(NEXT) | instid1(VALU_DEP_2)
	v_cmp_eq_u32_e32 vcc_lo, 0, v13
	v_min_u32_e32 v9, 32, v9
	s_delay_alu instid0(VALU_DEP_1) | instskip(NEXT) | instid1(VALU_DEP_1)
	v_subrev_nc_u32_e32 v11, 28, v9
	v_dual_lshlrev_b32 v3, v11, v3 :: v_dual_sub_nc_u32 v9, 29, v9
	s_delay_alu instid0(VALU_DEP_1) | instskip(NEXT) | instid1(VALU_DEP_1)
	v_dual_lshlrev_b32 v5, 24, v5 :: v_dual_bitop2_b32 v3, 7, v3 bitop3:0x40
	v_dual_cndmask_b32 v3, v7, v3, vcc_lo :: v_dual_cndmask_b32 v9, v13, v9, vcc_lo
	s_delay_alu instid0(VALU_DEP_2) | instskip(NEXT) | instid1(VALU_DEP_2)
	v_and_b32_e32 v5, 0x80000000, v5
	v_lshlrev_b32_e32 v3, 20, v3
	s_delay_alu instid0(VALU_DEP_3) | instskip(NEXT) | instid1(VALU_DEP_1)
	v_lshl_add_u32 v7, v9, 23, 0x3b800000
	v_or3_b32 v3, v5, v7, v3
	s_delay_alu instid0(VALU_DEP_1)
	v_cvt_f16_f32_e32 v3, v3
.LBB56_1803:
	s_or_b32 exec_lo, exec_lo, s17
.LBB56_1804:
	s_mov_b32 s16, -1
.LBB56_1805:
	s_branch .LBB56_1838
.LBB56_1806:
	s_cmp_gt_i32 s13, 22
	s_cbranch_scc0 .LBB56_1816
; %bb.1807:
	s_cmp_lt_i32 s13, 24
	s_cbranch_scc1 .LBB56_1819
; %bb.1808:
	s_cmp_gt_i32 s13, 24
	s_cbranch_scc0 .LBB56_1820
; %bb.1809:
	global_load_u8 v5, v[20:21], off
	s_mov_b32 s16, exec_lo
	s_wait_loadcnt 0x0
	v_cmpx_lt_i16_e32 0x7f, v5
	s_xor_b32 s16, exec_lo, s16
	s_cbranch_execz .LBB56_1832
; %bb.1810:
	s_mov_b32 s15, -1
	s_mov_b32 s17, exec_lo
	v_cmpx_eq_u16_e32 0x80, v5
; %bb.1811:
	s_xor_b32 s15, exec_lo, -1
; %bb.1812:
	s_or_b32 exec_lo, exec_lo, s17
	s_delay_alu instid0(SALU_CYCLE_1)
	s_and_b32 s15, s15, exec_lo
	s_or_saveexec_b32 s16, s16
	v_mov_b32_e32 v3, 0x7e00
	s_xor_b32 exec_lo, exec_lo, s16
	s_cbranch_execnz .LBB56_1833
.LBB56_1813:
	s_or_b32 exec_lo, exec_lo, s16
	s_and_saveexec_b32 s16, s15
	s_cbranch_execz .LBB56_1815
.LBB56_1814:
	v_and_b32_e32 v3, 0xffff, v5
	s_delay_alu instid0(VALU_DEP_1) | instskip(SKIP_1) | instid1(VALU_DEP_2)
	v_and_b32_e32 v7, 3, v3
	v_bfe_u32 v13, v3, 2, 5
	v_clz_i32_u32_e32 v9, v7
	s_delay_alu instid0(VALU_DEP_2) | instskip(NEXT) | instid1(VALU_DEP_2)
	v_cmp_eq_u32_e32 vcc_lo, 0, v13
	v_min_u32_e32 v9, 32, v9
	s_delay_alu instid0(VALU_DEP_1) | instskip(NEXT) | instid1(VALU_DEP_1)
	v_subrev_nc_u32_e32 v11, 29, v9
	v_dual_lshlrev_b32 v3, v11, v3 :: v_dual_sub_nc_u32 v9, 30, v9
	s_delay_alu instid0(VALU_DEP_1) | instskip(NEXT) | instid1(VALU_DEP_1)
	v_dual_lshlrev_b32 v5, 24, v5 :: v_dual_bitop2_b32 v3, 3, v3 bitop3:0x40
	v_dual_cndmask_b32 v3, v7, v3, vcc_lo :: v_dual_cndmask_b32 v9, v13, v9, vcc_lo
	s_delay_alu instid0(VALU_DEP_2) | instskip(NEXT) | instid1(VALU_DEP_2)
	v_and_b32_e32 v5, 0x80000000, v5
	v_lshlrev_b32_e32 v3, 21, v3
	s_delay_alu instid0(VALU_DEP_3) | instskip(NEXT) | instid1(VALU_DEP_1)
	v_lshl_add_u32 v7, v9, 23, 0x37800000
	v_or3_b32 v3, v5, v7, v3
	s_delay_alu instid0(VALU_DEP_1)
	v_cvt_f16_f32_e32 v3, v3
.LBB56_1815:
	s_or_b32 exec_lo, exec_lo, s16
	s_mov_b32 s15, 0
	s_branch .LBB56_1821
.LBB56_1816:
	s_mov_b32 s15, -1
                                        ; implicit-def: $vgpr3
	s_branch .LBB56_1827
.LBB56_1817:
	s_or_saveexec_b32 s17, s17
	v_mov_b32_e32 v3, 0x7e00
	s_xor_b32 exec_lo, exec_lo, s17
	s_cbranch_execz .LBB56_1801
.LBB56_1818:
	v_cmp_ne_u16_e32 vcc_lo, 0, v5
	v_mov_b32_e32 v3, v5
	s_and_not1_b32 s16, s16, exec_lo
	s_and_b32 s18, vcc_lo, exec_lo
	s_delay_alu instid0(SALU_CYCLE_1)
	s_or_b32 s16, s16, s18
	s_or_b32 exec_lo, exec_lo, s17
	s_and_saveexec_b32 s17, s16
	s_cbranch_execnz .LBB56_1802
	s_branch .LBB56_1803
.LBB56_1819:
	s_mov_b32 s15, -1
                                        ; implicit-def: $vgpr3
	s_branch .LBB56_1824
.LBB56_1820:
	s_mov_b32 s15, -1
                                        ; implicit-def: $vgpr3
.LBB56_1821:
	s_delay_alu instid0(SALU_CYCLE_1)
	s_and_b32 vcc_lo, exec_lo, s15
	s_cbranch_vccz .LBB56_1823
; %bb.1822:
	global_load_u8 v3, v[20:21], off
	s_wait_loadcnt 0x0
	v_lshlrev_b32_e32 v3, 24, v3
	s_delay_alu instid0(VALU_DEP_1) | instskip(NEXT) | instid1(VALU_DEP_1)
	v_and_b32_e32 v5, 0x7f000000, v3
	v_clz_i32_u32_e32 v7, v5
	v_add_nc_u32_e32 v11, 0x1000000, v5
	v_cmp_ne_u32_e32 vcc_lo, 0, v5
	s_delay_alu instid0(VALU_DEP_3) | instskip(NEXT) | instid1(VALU_DEP_1)
	v_min_u32_e32 v7, 32, v7
	v_sub_nc_u32_e64 v7, v7, 4 clamp
	s_delay_alu instid0(VALU_DEP_1) | instskip(NEXT) | instid1(VALU_DEP_1)
	v_dual_lshlrev_b32 v9, v7, v5 :: v_dual_lshlrev_b32 v7, 23, v7
	v_lshrrev_b32_e32 v9, 4, v9
	s_delay_alu instid0(VALU_DEP_1) | instskip(SKIP_1) | instid1(VALU_DEP_2)
	v_sub_nc_u32_e32 v7, v9, v7
	v_ashrrev_i32_e32 v9, 8, v11
	v_add_nc_u32_e32 v7, 0x3c000000, v7
	s_delay_alu instid0(VALU_DEP_1) | instskip(NEXT) | instid1(VALU_DEP_1)
	v_and_or_b32 v7, 0x7f800000, v9, v7
	v_cndmask_b32_e32 v5, 0, v7, vcc_lo
	s_delay_alu instid0(VALU_DEP_1) | instskip(NEXT) | instid1(VALU_DEP_1)
	v_and_or_b32 v3, 0x80000000, v3, v5
	v_cvt_f16_f32_e32 v3, v3
.LBB56_1823:
	s_mov_b32 s15, 0
.LBB56_1824:
	s_delay_alu instid0(SALU_CYCLE_1)
	s_and_not1_b32 vcc_lo, exec_lo, s15
	s_cbranch_vccnz .LBB56_1826
; %bb.1825:
	global_load_u8 v3, v[20:21], off
	s_wait_loadcnt 0x0
	v_lshlrev_b32_e32 v5, 25, v3
	v_lshlrev_b16 v3, 8, v3
	s_delay_alu instid0(VALU_DEP_1) | instskip(SKIP_1) | instid1(VALU_DEP_2)
	v_and_or_b32 v9, 0x7f00, v3, 0.5
	v_bfe_i32 v3, v3, 0, 16
	v_add_f32_e32 v9, -0.5, v9
	v_lshrrev_b32_e32 v7, 4, v5
	v_cmp_gt_u32_e32 vcc_lo, 0x8000000, v5
	s_delay_alu instid0(VALU_DEP_2) | instskip(NEXT) | instid1(VALU_DEP_1)
	v_or_b32_e32 v7, 0x70000000, v7
	v_mul_f32_e32 v7, 0x7800000, v7
	s_delay_alu instid0(VALU_DEP_1) | instskip(NEXT) | instid1(VALU_DEP_1)
	v_cndmask_b32_e32 v5, v7, v9, vcc_lo
	v_and_or_b32 v3, 0x80000000, v3, v5
	s_delay_alu instid0(VALU_DEP_1)
	v_cvt_f16_f32_e32 v3, v3
.LBB56_1826:
	s_mov_b32 s15, 0
	s_mov_b32 s16, -1
.LBB56_1827:
	s_and_not1_b32 vcc_lo, exec_lo, s15
	s_mov_b32 s15, 0
	s_cbranch_vccnz .LBB56_1838
; %bb.1828:
	s_cmp_gt_i32 s13, 14
	s_cbranch_scc0 .LBB56_1831
; %bb.1829:
	s_cmp_eq_u32 s13, 15
	s_cbranch_scc0 .LBB56_1834
; %bb.1830:
	global_load_u16 v3, v[20:21], off
	s_mov_b32 s14, 0
	s_mov_b32 s16, -1
	s_wait_loadcnt 0x0
	v_lshlrev_b32_e32 v3, 16, v3
	s_delay_alu instid0(VALU_DEP_1)
	v_cvt_f16_f32_e32 v3, v3
	s_branch .LBB56_1836
.LBB56_1831:
	s_mov_b32 s15, -1
	s_branch .LBB56_1835
.LBB56_1832:
	s_or_saveexec_b32 s16, s16
	v_mov_b32_e32 v3, 0x7e00
	s_xor_b32 exec_lo, exec_lo, s16
	s_cbranch_execz .LBB56_1813
.LBB56_1833:
	v_cmp_ne_u16_e32 vcc_lo, 0, v5
	v_mov_b32_e32 v3, v5
	s_and_not1_b32 s15, s15, exec_lo
	s_and_b32 s17, vcc_lo, exec_lo
	s_delay_alu instid0(SALU_CYCLE_1)
	s_or_b32 s15, s15, s17
	s_or_b32 exec_lo, exec_lo, s16
	s_and_saveexec_b32 s16, s15
	s_cbranch_execnz .LBB56_1814
	s_branch .LBB56_1815
.LBB56_1834:
	s_mov_b32 s14, -1
.LBB56_1835:
                                        ; implicit-def: $vgpr3
.LBB56_1836:
	s_and_b32 vcc_lo, exec_lo, s15
	s_mov_b32 s15, 0
	s_cbranch_vccz .LBB56_1838
; %bb.1837:
	s_cmp_lg_u32 s13, 11
	s_mov_b32 s15, -1
	s_cselect_b32 s14, -1, 0
.LBB56_1838:
	s_delay_alu instid0(SALU_CYCLE_1)
	s_and_b32 vcc_lo, exec_lo, s14
	s_cbranch_vccnz .LBB56_1901
; %bb.1839:
	s_and_not1_b32 vcc_lo, exec_lo, s15
	s_cbranch_vccnz .LBB56_1841
.LBB56_1840:
	global_load_u8 v3, v[20:21], off
	s_mov_b32 s16, -1
	s_wait_loadcnt 0x0
	v_cmp_ne_u16_e32 vcc_lo, 0, v3
	v_cndmask_b32_e64 v3, 0, 0x3c00, vcc_lo
.LBB56_1841:
	s_branch .LBB56_1767
.LBB56_1842:
	s_and_b32 s13, 0xffff, s12
	s_delay_alu instid0(SALU_CYCLE_1)
	s_cmp_lt_i32 s13, 5
	s_cbranch_scc1 .LBB56_1847
; %bb.1843:
	s_cmp_lt_i32 s13, 8
	s_cbranch_scc1 .LBB56_1848
; %bb.1844:
	;; [unrolled: 3-line block ×3, first 2 shown]
	s_cmp_gt_i32 s13, 9
	s_cbranch_scc0 .LBB56_1850
; %bb.1846:
	global_load_b64 v[22:23], v[20:21], off
	s_mov_b32 s14, 0
	s_wait_loadcnt 0x0
	v_and_or_b32 v3, 0x1ff, v23, v22
	v_lshrrev_b32_e32 v5, 8, v23
	v_bfe_u32 v7, v23, 20, 11
	s_delay_alu instid0(VALU_DEP_3) | instskip(NEXT) | instid1(VALU_DEP_2)
	v_cmp_ne_u32_e32 vcc_lo, 0, v3
	v_sub_nc_u32_e32 v9, 0x3f1, v7
	v_add_nc_u32_e32 v7, 0xfffffc10, v7
	v_cndmask_b32_e64 v3, 0, 1, vcc_lo
	s_delay_alu instid0(VALU_DEP_1) | instskip(NEXT) | instid1(VALU_DEP_4)
	v_and_or_b32 v3, 0xffe, v5, v3
	v_med3_i32 v5, v9, 0, 13
	s_delay_alu instid0(VALU_DEP_2) | instskip(NEXT) | instid1(VALU_DEP_1)
	v_or_b32_e32 v9, 0x1000, v3
	v_lshrrev_b32_e32 v11, v5, v9
	s_delay_alu instid0(VALU_DEP_1) | instskip(NEXT) | instid1(VALU_DEP_1)
	v_lshlrev_b32_e32 v5, v5, v11
	v_cmp_ne_u32_e32 vcc_lo, v5, v9
	v_lshl_or_b32 v9, v7, 12, v3
	v_cndmask_b32_e64 v5, 0, 1, vcc_lo
	v_cmp_gt_i32_e32 vcc_lo, 1, v7
	s_delay_alu instid0(VALU_DEP_2) | instskip(NEXT) | instid1(VALU_DEP_1)
	v_or_b32_e32 v5, v11, v5
	v_cndmask_b32_e32 v5, v9, v5, vcc_lo
	s_delay_alu instid0(VALU_DEP_1) | instskip(NEXT) | instid1(VALU_DEP_1)
	v_and_b32_e32 v9, 7, v5
	v_cmp_lt_i32_e32 vcc_lo, 5, v9
	v_cndmask_b32_e64 v11, 0, 1, vcc_lo
	v_cmp_eq_u32_e32 vcc_lo, 3, v9
	v_cndmask_b32_e64 v9, 0, 1, vcc_lo
	v_cmp_ne_u32_e32 vcc_lo, 0, v3
	s_delay_alu instid0(VALU_DEP_2) | instskip(SKIP_1) | instid1(VALU_DEP_2)
	v_dual_lshrrev_b32 v5, 2, v5 :: v_dual_bitop2_b32 v9, v9, v11 bitop3:0x54
	v_mov_b32_e32 v11, 0x7e00
	v_add_nc_u32_e32 v5, v5, v9
	s_delay_alu instid0(VALU_DEP_2) | instskip(SKIP_1) | instid1(VALU_DEP_3)
	v_cndmask_b32_e32 v3, 0x7c00, v11, vcc_lo
	v_cmp_gt_i32_e32 vcc_lo, 31, v7
	v_cndmask_b32_e32 v5, 0x7c00, v5, vcc_lo
	v_cmp_eq_u32_e32 vcc_lo, 0x40f, v7
	s_delay_alu instid0(VALU_DEP_2) | instskip(SKIP_1) | instid1(VALU_DEP_1)
	v_cndmask_b32_e32 v3, v5, v3, vcc_lo
	v_lshrrev_b32_e32 v5, 16, v23
	v_and_or_b32 v3, 0x8000, v5, v3
	s_branch .LBB56_1851
.LBB56_1847:
                                        ; implicit-def: $vgpr3
	s_branch .LBB56_1869
.LBB56_1848:
	s_mov_b32 s14, -1
                                        ; implicit-def: $vgpr3
	s_branch .LBB56_1857
.LBB56_1849:
	s_mov_b32 s14, -1
                                        ; implicit-def: $vgpr3
	s_branch .LBB56_1854
.LBB56_1850:
	s_mov_b32 s14, -1
                                        ; implicit-def: $vgpr3
.LBB56_1851:
	s_delay_alu instid0(SALU_CYCLE_1)
	s_and_not1_b32 vcc_lo, exec_lo, s14
	s_cbranch_vccnz .LBB56_1853
; %bb.1852:
	global_load_b32 v3, v[20:21], off
	s_wait_loadcnt 0x0
	v_cvt_f16_f32_e32 v3, v3
.LBB56_1853:
	s_mov_b32 s14, 0
.LBB56_1854:
	s_delay_alu instid0(SALU_CYCLE_1)
	s_and_not1_b32 vcc_lo, exec_lo, s14
	s_cbranch_vccnz .LBB56_1856
; %bb.1855:
	global_load_b32 v3, v[20:21], off
.LBB56_1856:
	s_mov_b32 s14, 0
.LBB56_1857:
	s_delay_alu instid0(SALU_CYCLE_1)
	s_and_not1_b32 vcc_lo, exec_lo, s14
	s_cbranch_vccnz .LBB56_1868
; %bb.1858:
	s_cmp_lt_i32 s13, 6
	s_cbranch_scc1 .LBB56_1861
; %bb.1859:
	s_cmp_gt_i32 s13, 6
	s_cbranch_scc0 .LBB56_1862
; %bb.1860:
	global_load_b64 v[22:23], v[20:21], off
	s_mov_b32 s14, 0
	s_wait_loadcnt 0x0
	v_and_or_b32 v3, 0x1ff, v23, v22
	v_lshrrev_b32_e32 v5, 8, v23
	v_bfe_u32 v7, v23, 20, 11
	s_delay_alu instid0(VALU_DEP_3) | instskip(NEXT) | instid1(VALU_DEP_2)
	v_cmp_ne_u32_e32 vcc_lo, 0, v3
	v_sub_nc_u32_e32 v9, 0x3f1, v7
	v_add_nc_u32_e32 v7, 0xfffffc10, v7
	v_cndmask_b32_e64 v3, 0, 1, vcc_lo
	s_delay_alu instid0(VALU_DEP_1) | instskip(NEXT) | instid1(VALU_DEP_4)
	v_and_or_b32 v3, 0xffe, v5, v3
	v_med3_i32 v5, v9, 0, 13
	s_delay_alu instid0(VALU_DEP_2) | instskip(NEXT) | instid1(VALU_DEP_1)
	v_or_b32_e32 v9, 0x1000, v3
	v_lshrrev_b32_e32 v11, v5, v9
	s_delay_alu instid0(VALU_DEP_1) | instskip(NEXT) | instid1(VALU_DEP_1)
	v_lshlrev_b32_e32 v5, v5, v11
	v_cmp_ne_u32_e32 vcc_lo, v5, v9
	v_lshl_or_b32 v9, v7, 12, v3
	v_cndmask_b32_e64 v5, 0, 1, vcc_lo
	v_cmp_gt_i32_e32 vcc_lo, 1, v7
	s_delay_alu instid0(VALU_DEP_2) | instskip(NEXT) | instid1(VALU_DEP_1)
	v_or_b32_e32 v5, v11, v5
	v_cndmask_b32_e32 v5, v9, v5, vcc_lo
	s_delay_alu instid0(VALU_DEP_1) | instskip(NEXT) | instid1(VALU_DEP_1)
	v_and_b32_e32 v9, 7, v5
	v_cmp_lt_i32_e32 vcc_lo, 5, v9
	v_cndmask_b32_e64 v11, 0, 1, vcc_lo
	v_cmp_eq_u32_e32 vcc_lo, 3, v9
	v_cndmask_b32_e64 v9, 0, 1, vcc_lo
	v_cmp_ne_u32_e32 vcc_lo, 0, v3
	s_delay_alu instid0(VALU_DEP_2) | instskip(SKIP_1) | instid1(VALU_DEP_2)
	v_dual_lshrrev_b32 v5, 2, v5 :: v_dual_bitop2_b32 v9, v9, v11 bitop3:0x54
	v_mov_b32_e32 v11, 0x7e00
	v_add_nc_u32_e32 v5, v5, v9
	s_delay_alu instid0(VALU_DEP_2) | instskip(SKIP_1) | instid1(VALU_DEP_3)
	v_cndmask_b32_e32 v3, 0x7c00, v11, vcc_lo
	v_cmp_gt_i32_e32 vcc_lo, 31, v7
	v_cndmask_b32_e32 v5, 0x7c00, v5, vcc_lo
	v_cmp_eq_u32_e32 vcc_lo, 0x40f, v7
	s_delay_alu instid0(VALU_DEP_2) | instskip(SKIP_1) | instid1(VALU_DEP_1)
	v_cndmask_b32_e32 v3, v5, v3, vcc_lo
	v_lshrrev_b32_e32 v5, 16, v23
	v_and_or_b32 v3, 0x8000, v5, v3
	s_branch .LBB56_1863
.LBB56_1861:
	s_mov_b32 s14, -1
                                        ; implicit-def: $vgpr3
	s_branch .LBB56_1866
.LBB56_1862:
	s_mov_b32 s14, -1
                                        ; implicit-def: $vgpr3
.LBB56_1863:
	s_delay_alu instid0(SALU_CYCLE_1)
	s_and_not1_b32 vcc_lo, exec_lo, s14
	s_cbranch_vccnz .LBB56_1865
; %bb.1864:
	s_wait_loadcnt 0x0
	global_load_b32 v3, v[20:21], off
	s_wait_loadcnt 0x0
	v_cvt_f16_f32_e32 v3, v3
.LBB56_1865:
	s_mov_b32 s14, 0
.LBB56_1866:
	s_delay_alu instid0(SALU_CYCLE_1)
	s_and_not1_b32 vcc_lo, exec_lo, s14
	s_cbranch_vccnz .LBB56_1868
; %bb.1867:
	s_wait_loadcnt 0x0
	global_load_u16 v3, v[20:21], off
.LBB56_1868:
	s_cbranch_execnz .LBB56_1888
.LBB56_1869:
	s_cmp_lt_i32 s13, 2
	s_cbranch_scc1 .LBB56_1873
; %bb.1870:
	s_cmp_lt_i32 s13, 3
	s_cbranch_scc1 .LBB56_1874
; %bb.1871:
	s_cmp_gt_i32 s13, 3
	s_cbranch_scc0 .LBB56_1875
; %bb.1872:
	global_load_b64 v[22:23], v[20:21], off
	s_mov_b32 s14, 0
	s_wait_loadcnt 0x0
	v_xor_b32_e32 v3, v22, v23
	v_cls_i32_e32 v5, v23
	s_delay_alu instid0(VALU_DEP_2) | instskip(NEXT) | instid1(VALU_DEP_1)
	v_ashrrev_i32_e32 v3, 31, v3
	v_add_nc_u32_e32 v3, 32, v3
	s_delay_alu instid0(VALU_DEP_1) | instskip(NEXT) | instid1(VALU_DEP_1)
	v_add_min_u32_e64 v3, v5, -1, v3
	v_lshlrev_b64_e32 v[22:23], v3, v[22:23]
	v_sub_nc_u32_e32 v3, 32, v3
	s_delay_alu instid0(VALU_DEP_2) | instskip(NEXT) | instid1(VALU_DEP_1)
	v_min_u32_e32 v5, 1, v22
	v_or_b32_e32 v5, v23, v5
	s_delay_alu instid0(VALU_DEP_1) | instskip(NEXT) | instid1(VALU_DEP_1)
	v_cvt_f32_i32_e32 v5, v5
	v_ldexp_f32 v3, v5, v3
	s_delay_alu instid0(VALU_DEP_1)
	v_cvt_f16_f32_e32 v3, v3
	s_branch .LBB56_1876
.LBB56_1873:
	s_mov_b32 s14, -1
                                        ; implicit-def: $vgpr3
	s_branch .LBB56_1882
.LBB56_1874:
	s_mov_b32 s14, -1
                                        ; implicit-def: $vgpr3
	s_branch .LBB56_1879
.LBB56_1875:
	s_mov_b32 s14, -1
                                        ; implicit-def: $vgpr3
.LBB56_1876:
	s_delay_alu instid0(SALU_CYCLE_1)
	s_and_not1_b32 vcc_lo, exec_lo, s14
	s_cbranch_vccnz .LBB56_1878
; %bb.1877:
	s_wait_loadcnt 0x0
	global_load_b32 v3, v[20:21], off
	s_wait_loadcnt 0x0
	v_cvt_f32_i32_e32 v3, v3
	s_delay_alu instid0(VALU_DEP_1)
	v_cvt_f16_f32_e32 v3, v3
.LBB56_1878:
	s_mov_b32 s14, 0
.LBB56_1879:
	s_delay_alu instid0(SALU_CYCLE_1)
	s_and_not1_b32 vcc_lo, exec_lo, s14
	s_cbranch_vccnz .LBB56_1881
; %bb.1880:
	s_wait_loadcnt 0x0
	global_load_u16 v3, v[20:21], off
	s_wait_loadcnt 0x0
	v_cvt_f16_i16_e32 v3, v3
.LBB56_1881:
	s_mov_b32 s14, 0
.LBB56_1882:
	s_delay_alu instid0(SALU_CYCLE_1)
	s_and_not1_b32 vcc_lo, exec_lo, s14
	s_cbranch_vccnz .LBB56_1888
; %bb.1883:
	s_cmp_gt_i32 s13, 0
	s_mov_b32 s13, 0
	s_cbranch_scc0 .LBB56_1885
; %bb.1884:
	s_wait_loadcnt 0x0
	global_load_i8 v3, v[20:21], off
	s_wait_loadcnt 0x0
	v_cvt_f16_i16_e32 v3, v3
	s_branch .LBB56_1886
.LBB56_1885:
	s_mov_b32 s13, -1
                                        ; implicit-def: $vgpr3
.LBB56_1886:
	s_delay_alu instid0(SALU_CYCLE_1)
	s_and_not1_b32 vcc_lo, exec_lo, s13
	s_cbranch_vccnz .LBB56_1888
; %bb.1887:
	s_wait_loadcnt 0x0
	global_load_u8 v3, v[20:21], off
	s_wait_loadcnt 0x0
	v_cvt_f16_u16_e32 v3, v3
.LBB56_1888:
.LBB56_1889:
	v_mov_b32_e32 v19, 0
	s_and_b32 s11, 0xffff, s11
	s_delay_alu instid0(SALU_CYCLE_1) | instskip(NEXT) | instid1(VALU_DEP_1)
	s_cmp_lt_i32 s11, 11
	v_add_nc_u64_e32 v[18:19], s[6:7], v[18:19]
	s_cbranch_scc1 .LBB56_1896
; %bb.1890:
	s_cmp_gt_i32 s11, 25
	s_mov_b32 s14, 0
	s_cbranch_scc0 .LBB56_1898
; %bb.1891:
	s_cmp_gt_i32 s11, 28
	s_cbranch_scc0 .LBB56_1899
; %bb.1892:
	s_cmp_gt_i32 s11, 43
	;; [unrolled: 3-line block ×3, first 2 shown]
	s_cbranch_scc0 .LBB56_1902
; %bb.1894:
	s_cmp_eq_u32 s11, 46
	s_mov_b32 s16, 0
	s_cbranch_scc0 .LBB56_1903
; %bb.1895:
	global_load_b32 v5, v[18:19], off
	s_mov_b32 s13, 0
	s_mov_b32 s15, -1
	s_wait_loadcnt 0x0
	v_lshlrev_b32_e32 v5, 16, v5
	s_wait_xcnt 0x1
	s_delay_alu instid0(VALU_DEP_1)
	v_cvt_f16_f32_e32 v20, v5
	s_branch .LBB56_1905
.LBB56_1896:
	s_mov_b32 s15, 0
                                        ; implicit-def: $vgpr20
	s_cbranch_execnz .LBB56_1971
.LBB56_1897:
	s_and_not1_b32 vcc_lo, exec_lo, s15
	s_cbranch_vccz .LBB56_2019
	s_branch .LBB56_3106
.LBB56_1898:
	s_mov_b32 s16, -1
	s_mov_b32 s15, 0
	s_mov_b32 s13, 0
                                        ; implicit-def: $vgpr20
	s_branch .LBB56_1934
.LBB56_1899:
	s_mov_b32 s16, -1
	s_mov_b32 s15, 0
	s_mov_b32 s13, 0
                                        ; implicit-def: $vgpr20
	s_branch .LBB56_1915
.LBB56_1900:
	s_mov_b32 s16, -1
	s_mov_b32 s15, 0
	s_mov_b32 s13, 0
                                        ; implicit-def: $vgpr20
	s_branch .LBB56_1910
.LBB56_1901:
	s_or_b32 s10, s10, exec_lo
	s_trap 2
	s_cbranch_execz .LBB56_1840
	s_branch .LBB56_1841
.LBB56_1902:
	s_mov_b32 s16, -1
	s_mov_b32 s15, 0
	s_mov_b32 s13, 0
	s_branch .LBB56_1904
.LBB56_1903:
	s_mov_b32 s13, -1
	s_mov_b32 s15, 0
.LBB56_1904:
                                        ; implicit-def: $vgpr20
.LBB56_1905:
	s_and_b32 vcc_lo, exec_lo, s16
	s_cbranch_vccz .LBB56_1909
; %bb.1906:
	s_cmp_eq_u32 s11, 44
	s_cbranch_scc0 .LBB56_1908
; %bb.1907:
	global_load_u8 v5, v[18:19], off
	s_mov_b32 s13, 0
	s_mov_b32 s15, -1
	s_wait_loadcnt 0x0
	v_lshlrev_b32_e32 v7, 23, v5
	v_cmp_ne_u32_e32 vcc_lo, 0xff, v5
	s_delay_alu instid0(VALU_DEP_2) | instskip(NEXT) | instid1(VALU_DEP_1)
	v_cvt_f16_f32_e32 v7, v7
	v_cndmask_b32_e32 v7, 0x7e00, v7, vcc_lo
	v_cmp_ne_u32_e32 vcc_lo, 0, v5
	s_wait_xcnt 0x1
	s_delay_alu instid0(VALU_DEP_2)
	v_cndmask_b32_e32 v20, 0, v7, vcc_lo
	s_branch .LBB56_1909
.LBB56_1908:
	s_mov_b32 s13, -1
                                        ; implicit-def: $vgpr20
.LBB56_1909:
	s_mov_b32 s16, 0
.LBB56_1910:
	s_delay_alu instid0(SALU_CYCLE_1)
	s_and_b32 vcc_lo, exec_lo, s16
	s_cbranch_vccz .LBB56_1914
; %bb.1911:
	s_cmp_eq_u32 s11, 29
	s_cbranch_scc0 .LBB56_1913
; %bb.1912:
	global_load_b64 v[20:21], v[18:19], off
	s_mov_b32 s13, 0
	s_mov_b32 s15, -1
	s_mov_b32 s16, 0
	s_wait_loadcnt 0x0
	v_clz_i32_u32_e32 v5, v21
	s_delay_alu instid0(VALU_DEP_1) | instskip(NEXT) | instid1(VALU_DEP_1)
	v_min_u32_e32 v5, 32, v5
	v_lshlrev_b64_e32 v[20:21], v5, v[20:21]
	v_sub_nc_u32_e32 v5, 32, v5
	s_delay_alu instid0(VALU_DEP_2) | instskip(NEXT) | instid1(VALU_DEP_1)
	v_min_u32_e32 v7, 1, v20
	v_or_b32_e32 v7, v21, v7
	s_delay_alu instid0(VALU_DEP_1) | instskip(NEXT) | instid1(VALU_DEP_1)
	v_cvt_f32_u32_e32 v7, v7
	v_ldexp_f32 v5, v7, v5
	s_delay_alu instid0(VALU_DEP_1)
	v_cvt_f16_f32_e32 v20, v5
	s_branch .LBB56_1915
.LBB56_1913:
	s_mov_b32 s13, -1
                                        ; implicit-def: $vgpr20
.LBB56_1914:
	s_mov_b32 s16, 0
.LBB56_1915:
	s_delay_alu instid0(SALU_CYCLE_1)
	s_and_b32 vcc_lo, exec_lo, s16
	s_cbranch_vccz .LBB56_1933
; %bb.1916:
	s_cmp_lt_i32 s11, 27
	s_cbranch_scc1 .LBB56_1919
; %bb.1917:
	s_cmp_gt_i32 s11, 27
	s_cbranch_scc0 .LBB56_1920
; %bb.1918:
	global_load_b32 v5, v[18:19], off
	s_mov_b32 s15, 0
	s_wait_loadcnt 0x0
	v_cvt_f32_u32_e32 v5, v5
	s_wait_xcnt 0x1
	s_delay_alu instid0(VALU_DEP_1)
	v_cvt_f16_f32_e32 v20, v5
	s_branch .LBB56_1921
.LBB56_1919:
	s_mov_b32 s15, -1
                                        ; implicit-def: $vgpr20
	s_branch .LBB56_1924
.LBB56_1920:
	s_mov_b32 s15, -1
                                        ; implicit-def: $vgpr20
.LBB56_1921:
	s_delay_alu instid0(SALU_CYCLE_1)
	s_and_not1_b32 vcc_lo, exec_lo, s15
	s_cbranch_vccnz .LBB56_1923
; %bb.1922:
	global_load_u16 v5, v[18:19], off
	s_wait_loadcnt 0x0
	s_wait_xcnt 0x1
	v_cvt_f16_u16_e32 v20, v5
.LBB56_1923:
	s_mov_b32 s15, 0
.LBB56_1924:
	s_delay_alu instid0(SALU_CYCLE_1)
	s_and_not1_b32 vcc_lo, exec_lo, s15
	s_cbranch_vccnz .LBB56_1932
; %bb.1925:
	global_load_u8 v5, v[18:19], off
	s_mov_b32 s15, 0
	s_mov_b32 s16, exec_lo
	s_wait_loadcnt 0x0
	v_cmpx_lt_i16_e32 0x7f, v5
	s_xor_b32 s16, exec_lo, s16
	s_cbranch_execz .LBB56_1946
; %bb.1926:
	s_mov_b32 s15, -1
	s_mov_b32 s17, exec_lo
	v_cmpx_eq_u16_e32 0x80, v5
; %bb.1927:
	s_xor_b32 s15, exec_lo, -1
; %bb.1928:
	s_or_b32 exec_lo, exec_lo, s17
	s_delay_alu instid0(SALU_CYCLE_1)
	s_and_b32 s15, s15, exec_lo
	s_or_saveexec_b32 s16, s16
	v_mov_b32_e32 v20, 0x7e00
	s_xor_b32 exec_lo, exec_lo, s16
	s_cbranch_execnz .LBB56_1947
.LBB56_1929:
	s_or_b32 exec_lo, exec_lo, s16
	s_and_saveexec_b32 s16, s15
	s_cbranch_execz .LBB56_1931
.LBB56_1930:
	v_and_b32_e32 v7, 0xffff, v5
	s_delay_alu instid0(VALU_DEP_1) | instskip(SKIP_1) | instid1(VALU_DEP_2)
	v_dual_lshlrev_b32 v5, 24, v5 :: v_dual_bitop2_b32 v9, 7, v7 bitop3:0x40
	v_bfe_u32 v15, v7, 3, 4
	v_and_b32_e32 v5, 0x80000000, v5
	s_delay_alu instid0(VALU_DEP_3) | instskip(NEXT) | instid1(VALU_DEP_3)
	v_clz_i32_u32_e32 v11, v9
	v_cmp_eq_u32_e32 vcc_lo, 0, v15
	s_delay_alu instid0(VALU_DEP_2) | instskip(NEXT) | instid1(VALU_DEP_1)
	v_min_u32_e32 v11, 32, v11
	v_subrev_nc_u32_e32 v13, 28, v11
	v_sub_nc_u32_e32 v11, 29, v11
	s_delay_alu instid0(VALU_DEP_2) | instskip(NEXT) | instid1(VALU_DEP_2)
	v_lshlrev_b32_e32 v7, v13, v7
	v_cndmask_b32_e32 v11, v15, v11, vcc_lo
	s_delay_alu instid0(VALU_DEP_2) | instskip(NEXT) | instid1(VALU_DEP_1)
	v_and_b32_e32 v7, 7, v7
	v_cndmask_b32_e32 v7, v9, v7, vcc_lo
	s_delay_alu instid0(VALU_DEP_3) | instskip(NEXT) | instid1(VALU_DEP_2)
	v_lshl_add_u32 v9, v11, 23, 0x3b800000
	v_lshlrev_b32_e32 v7, 20, v7
	s_delay_alu instid0(VALU_DEP_1) | instskip(NEXT) | instid1(VALU_DEP_1)
	v_or3_b32 v5, v5, v9, v7
	v_cvt_f16_f32_e32 v20, v5
.LBB56_1931:
	s_or_b32 exec_lo, exec_lo, s16
.LBB56_1932:
	s_mov_b32 s15, -1
.LBB56_1933:
	s_mov_b32 s16, 0
.LBB56_1934:
	s_delay_alu instid0(SALU_CYCLE_1)
	s_and_b32 vcc_lo, exec_lo, s16
	s_cbranch_vccz .LBB56_1967
; %bb.1935:
	s_cmp_gt_i32 s11, 22
	s_cbranch_scc0 .LBB56_1945
; %bb.1936:
	s_cmp_lt_i32 s11, 24
	s_cbranch_scc1 .LBB56_1948
; %bb.1937:
	s_cmp_gt_i32 s11, 24
	s_cbranch_scc0 .LBB56_1949
; %bb.1938:
	global_load_u8 v5, v[18:19], off
	s_mov_b32 s15, exec_lo
	s_wait_loadcnt 0x0
	v_cmpx_lt_i16_e32 0x7f, v5
	s_xor_b32 s15, exec_lo, s15
	s_cbranch_execz .LBB56_1961
; %bb.1939:
	s_mov_b32 s14, -1
	s_mov_b32 s16, exec_lo
	v_cmpx_eq_u16_e32 0x80, v5
; %bb.1940:
	s_xor_b32 s14, exec_lo, -1
; %bb.1941:
	s_or_b32 exec_lo, exec_lo, s16
	s_delay_alu instid0(SALU_CYCLE_1)
	s_and_b32 s14, s14, exec_lo
	s_or_saveexec_b32 s15, s15
	v_mov_b32_e32 v20, 0x7e00
	s_xor_b32 exec_lo, exec_lo, s15
	s_cbranch_execnz .LBB56_1962
.LBB56_1942:
	s_or_b32 exec_lo, exec_lo, s15
	s_and_saveexec_b32 s15, s14
	s_cbranch_execz .LBB56_1944
.LBB56_1943:
	v_and_b32_e32 v7, 0xffff, v5
	s_delay_alu instid0(VALU_DEP_1) | instskip(SKIP_1) | instid1(VALU_DEP_2)
	v_dual_lshlrev_b32 v5, 24, v5 :: v_dual_bitop2_b32 v9, 3, v7 bitop3:0x40
	v_bfe_u32 v15, v7, 2, 5
	v_and_b32_e32 v5, 0x80000000, v5
	s_delay_alu instid0(VALU_DEP_3) | instskip(NEXT) | instid1(VALU_DEP_3)
	v_clz_i32_u32_e32 v11, v9
	v_cmp_eq_u32_e32 vcc_lo, 0, v15
	s_delay_alu instid0(VALU_DEP_2) | instskip(NEXT) | instid1(VALU_DEP_1)
	v_min_u32_e32 v11, 32, v11
	v_subrev_nc_u32_e32 v13, 29, v11
	v_sub_nc_u32_e32 v11, 30, v11
	s_delay_alu instid0(VALU_DEP_2) | instskip(NEXT) | instid1(VALU_DEP_2)
	v_lshlrev_b32_e32 v7, v13, v7
	v_cndmask_b32_e32 v11, v15, v11, vcc_lo
	s_delay_alu instid0(VALU_DEP_2) | instskip(NEXT) | instid1(VALU_DEP_1)
	v_and_b32_e32 v7, 3, v7
	v_cndmask_b32_e32 v7, v9, v7, vcc_lo
	s_delay_alu instid0(VALU_DEP_3) | instskip(NEXT) | instid1(VALU_DEP_2)
	v_lshl_add_u32 v9, v11, 23, 0x37800000
	v_lshlrev_b32_e32 v7, 21, v7
	s_delay_alu instid0(VALU_DEP_1) | instskip(NEXT) | instid1(VALU_DEP_1)
	v_or3_b32 v5, v5, v9, v7
	v_cvt_f16_f32_e32 v20, v5
.LBB56_1944:
	s_or_b32 exec_lo, exec_lo, s15
	s_mov_b32 s14, 0
	s_branch .LBB56_1950
.LBB56_1945:
	s_mov_b32 s14, -1
                                        ; implicit-def: $vgpr20
	s_branch .LBB56_1956
.LBB56_1946:
	s_or_saveexec_b32 s16, s16
	v_mov_b32_e32 v20, 0x7e00
	s_xor_b32 exec_lo, exec_lo, s16
	s_cbranch_execz .LBB56_1929
.LBB56_1947:
	v_cmp_ne_u16_e32 vcc_lo, 0, v5
	v_mov_b32_e32 v20, v5
	s_and_not1_b32 s15, s15, exec_lo
	s_and_b32 s17, vcc_lo, exec_lo
	s_delay_alu instid0(SALU_CYCLE_1)
	s_or_b32 s15, s15, s17
	s_or_b32 exec_lo, exec_lo, s16
	s_and_saveexec_b32 s16, s15
	s_cbranch_execnz .LBB56_1930
	s_branch .LBB56_1931
.LBB56_1948:
	s_mov_b32 s14, -1
                                        ; implicit-def: $vgpr20
	s_branch .LBB56_1953
.LBB56_1949:
	s_mov_b32 s14, -1
                                        ; implicit-def: $vgpr20
.LBB56_1950:
	s_delay_alu instid0(SALU_CYCLE_1)
	s_and_b32 vcc_lo, exec_lo, s14
	s_cbranch_vccz .LBB56_1952
; %bb.1951:
	global_load_u8 v5, v[18:19], off
	s_wait_loadcnt 0x0
	v_lshlrev_b32_e32 v5, 24, v5
	s_delay_alu instid0(VALU_DEP_1) | instskip(NEXT) | instid1(VALU_DEP_1)
	v_and_b32_e32 v7, 0x7f000000, v5
	v_clz_i32_u32_e32 v9, v7
	v_add_nc_u32_e32 v13, 0x1000000, v7
	v_cmp_ne_u32_e32 vcc_lo, 0, v7
	s_delay_alu instid0(VALU_DEP_3) | instskip(NEXT) | instid1(VALU_DEP_1)
	v_min_u32_e32 v9, 32, v9
	v_sub_nc_u32_e64 v9, v9, 4 clamp
	s_delay_alu instid0(VALU_DEP_1) | instskip(NEXT) | instid1(VALU_DEP_1)
	v_dual_lshlrev_b32 v11, v9, v7 :: v_dual_lshlrev_b32 v9, 23, v9
	v_lshrrev_b32_e32 v11, 4, v11
	s_delay_alu instid0(VALU_DEP_1) | instskip(SKIP_1) | instid1(VALU_DEP_2)
	v_sub_nc_u32_e32 v9, v11, v9
	v_ashrrev_i32_e32 v11, 8, v13
	v_add_nc_u32_e32 v9, 0x3c000000, v9
	s_delay_alu instid0(VALU_DEP_1) | instskip(NEXT) | instid1(VALU_DEP_1)
	v_and_or_b32 v9, 0x7f800000, v11, v9
	v_cndmask_b32_e32 v7, 0, v9, vcc_lo
	s_delay_alu instid0(VALU_DEP_1) | instskip(SKIP_1) | instid1(VALU_DEP_1)
	v_and_or_b32 v5, 0x80000000, v5, v7
	s_wait_xcnt 0x1
	v_cvt_f16_f32_e32 v20, v5
.LBB56_1952:
	s_mov_b32 s14, 0
.LBB56_1953:
	s_delay_alu instid0(SALU_CYCLE_1)
	s_and_not1_b32 vcc_lo, exec_lo, s14
	s_cbranch_vccnz .LBB56_1955
; %bb.1954:
	global_load_u8 v5, v[18:19], off
	s_wait_loadcnt 0x0
	v_lshlrev_b32_e32 v7, 25, v5
	v_lshlrev_b16 v5, 8, v5
	s_delay_alu instid0(VALU_DEP_1) | instskip(SKIP_1) | instid1(VALU_DEP_2)
	v_and_or_b32 v11, 0x7f00, v5, 0.5
	v_bfe_i32 v5, v5, 0, 16
	v_add_f32_e32 v11, -0.5, v11
	v_lshrrev_b32_e32 v9, 4, v7
	v_cmp_gt_u32_e32 vcc_lo, 0x8000000, v7
	s_delay_alu instid0(VALU_DEP_2) | instskip(NEXT) | instid1(VALU_DEP_1)
	v_or_b32_e32 v9, 0x70000000, v9
	v_mul_f32_e32 v9, 0x7800000, v9
	s_delay_alu instid0(VALU_DEP_1) | instskip(NEXT) | instid1(VALU_DEP_1)
	v_cndmask_b32_e32 v7, v9, v11, vcc_lo
	v_and_or_b32 v5, 0x80000000, v5, v7
	s_wait_xcnt 0x1
	s_delay_alu instid0(VALU_DEP_1)
	v_cvt_f16_f32_e32 v20, v5
.LBB56_1955:
	s_mov_b32 s14, 0
	s_mov_b32 s15, -1
.LBB56_1956:
	s_and_not1_b32 vcc_lo, exec_lo, s14
	s_mov_b32 s14, 0
	s_cbranch_vccnz .LBB56_1967
; %bb.1957:
	s_cmp_gt_i32 s11, 14
	s_cbranch_scc0 .LBB56_1960
; %bb.1958:
	s_cmp_eq_u32 s11, 15
	s_cbranch_scc0 .LBB56_1963
; %bb.1959:
	global_load_u16 v5, v[18:19], off
	s_mov_b32 s13, 0
	s_mov_b32 s15, -1
	s_wait_loadcnt 0x0
	v_lshlrev_b32_e32 v5, 16, v5
	s_wait_xcnt 0x1
	s_delay_alu instid0(VALU_DEP_1)
	v_cvt_f16_f32_e32 v20, v5
	s_branch .LBB56_1965
.LBB56_1960:
	s_mov_b32 s14, -1
	s_branch .LBB56_1964
.LBB56_1961:
	s_or_saveexec_b32 s15, s15
	v_mov_b32_e32 v20, 0x7e00
	s_xor_b32 exec_lo, exec_lo, s15
	s_cbranch_execz .LBB56_1942
.LBB56_1962:
	v_cmp_ne_u16_e32 vcc_lo, 0, v5
	v_mov_b32_e32 v20, v5
	s_and_not1_b32 s14, s14, exec_lo
	s_and_b32 s16, vcc_lo, exec_lo
	s_delay_alu instid0(SALU_CYCLE_1)
	s_or_b32 s14, s14, s16
	s_or_b32 exec_lo, exec_lo, s15
	s_and_saveexec_b32 s15, s14
	s_cbranch_execnz .LBB56_1943
	s_branch .LBB56_1944
.LBB56_1963:
	s_mov_b32 s13, -1
.LBB56_1964:
                                        ; implicit-def: $vgpr20
.LBB56_1965:
	s_and_b32 vcc_lo, exec_lo, s14
	s_mov_b32 s14, 0
	s_cbranch_vccz .LBB56_1967
; %bb.1966:
	s_cmp_lg_u32 s11, 11
	s_mov_b32 s14, -1
	s_cselect_b32 s13, -1, 0
.LBB56_1967:
	s_delay_alu instid0(SALU_CYCLE_1)
	s_and_b32 vcc_lo, exec_lo, s13
	s_cbranch_vccnz .LBB56_2030
; %bb.1968:
	s_and_not1_b32 vcc_lo, exec_lo, s14
	s_cbranch_vccnz .LBB56_1970
.LBB56_1969:
	global_load_u8 v5, v[18:19], off
	s_mov_b32 s15, -1
	s_wait_loadcnt 0x0
	v_cmp_ne_u16_e32 vcc_lo, 0, v5
	s_wait_xcnt 0x1
	v_cndmask_b32_e64 v20, 0, 0x3c00, vcc_lo
.LBB56_1970:
	s_branch .LBB56_1897
.LBB56_1971:
	s_cmp_lt_i32 s11, 5
	s_cbranch_scc1 .LBB56_1976
; %bb.1972:
	s_cmp_lt_i32 s11, 8
	s_cbranch_scc1 .LBB56_1977
; %bb.1973:
	s_cmp_lt_i32 s11, 9
	s_cbranch_scc1 .LBB56_1978
; %bb.1974:
	s_cmp_gt_i32 s11, 9
	s_cbranch_scc0 .LBB56_1979
; %bb.1975:
	global_load_b64 v[20:21], v[18:19], off
	s_mov_b32 s13, 0
	s_wait_loadcnt 0x0
	v_and_or_b32 v5, 0x1ff, v21, v20
	v_lshrrev_b32_e32 v7, 8, v21
	v_bfe_u32 v9, v21, 20, 11
	s_delay_alu instid0(VALU_DEP_3) | instskip(NEXT) | instid1(VALU_DEP_2)
	v_cmp_ne_u32_e32 vcc_lo, 0, v5
	v_sub_nc_u32_e32 v11, 0x3f1, v9
	v_add_nc_u32_e32 v9, 0xfffffc10, v9
	v_cndmask_b32_e64 v5, 0, 1, vcc_lo
	s_delay_alu instid0(VALU_DEP_1) | instskip(NEXT) | instid1(VALU_DEP_4)
	v_and_or_b32 v5, 0xffe, v7, v5
	v_med3_i32 v7, v11, 0, 13
	s_delay_alu instid0(VALU_DEP_2) | instskip(NEXT) | instid1(VALU_DEP_1)
	v_or_b32_e32 v11, 0x1000, v5
	v_lshrrev_b32_e32 v13, v7, v11
	s_delay_alu instid0(VALU_DEP_1) | instskip(NEXT) | instid1(VALU_DEP_1)
	v_lshlrev_b32_e32 v7, v7, v13
	v_cmp_ne_u32_e32 vcc_lo, v7, v11
	v_lshl_or_b32 v11, v9, 12, v5
	v_cndmask_b32_e64 v7, 0, 1, vcc_lo
	v_cmp_gt_i32_e32 vcc_lo, 1, v9
	s_delay_alu instid0(VALU_DEP_2) | instskip(NEXT) | instid1(VALU_DEP_1)
	v_or_b32_e32 v7, v13, v7
	v_cndmask_b32_e32 v7, v11, v7, vcc_lo
	s_delay_alu instid0(VALU_DEP_1) | instskip(NEXT) | instid1(VALU_DEP_1)
	v_and_b32_e32 v11, 7, v7
	v_cmp_lt_i32_e32 vcc_lo, 5, v11
	v_cndmask_b32_e64 v13, 0, 1, vcc_lo
	v_cmp_eq_u32_e32 vcc_lo, 3, v11
	v_cndmask_b32_e64 v11, 0, 1, vcc_lo
	v_cmp_ne_u32_e32 vcc_lo, 0, v5
	s_delay_alu instid0(VALU_DEP_2) | instskip(SKIP_1) | instid1(VALU_DEP_2)
	v_dual_lshrrev_b32 v7, 2, v7 :: v_dual_bitop2_b32 v11, v11, v13 bitop3:0x54
	v_mov_b32_e32 v13, 0x7e00
	v_add_nc_u32_e32 v7, v7, v11
	s_delay_alu instid0(VALU_DEP_2) | instskip(SKIP_1) | instid1(VALU_DEP_3)
	v_cndmask_b32_e32 v5, 0x7c00, v13, vcc_lo
	v_cmp_gt_i32_e32 vcc_lo, 31, v9
	v_cndmask_b32_e32 v7, 0x7c00, v7, vcc_lo
	v_cmp_eq_u32_e32 vcc_lo, 0x40f, v9
	s_delay_alu instid0(VALU_DEP_2) | instskip(SKIP_1) | instid1(VALU_DEP_1)
	v_cndmask_b32_e32 v5, v7, v5, vcc_lo
	v_lshrrev_b32_e32 v7, 16, v21
	v_and_or_b32 v20, 0x8000, v7, v5
	s_branch .LBB56_1980
.LBB56_1976:
	s_mov_b32 s13, -1
                                        ; implicit-def: $vgpr20
	s_branch .LBB56_1998
.LBB56_1977:
	s_mov_b32 s13, -1
                                        ; implicit-def: $vgpr20
	s_branch .LBB56_1986
.LBB56_1978:
	s_mov_b32 s13, -1
                                        ; implicit-def: $vgpr20
	s_branch .LBB56_1983
.LBB56_1979:
	s_mov_b32 s13, -1
                                        ; implicit-def: $vgpr20
.LBB56_1980:
	s_delay_alu instid0(SALU_CYCLE_1)
	s_and_not1_b32 vcc_lo, exec_lo, s13
	s_cbranch_vccnz .LBB56_1982
; %bb.1981:
	global_load_b32 v5, v[18:19], off
	s_wait_loadcnt 0x0
	s_wait_xcnt 0x1
	v_cvt_f16_f32_e32 v20, v5
.LBB56_1982:
	s_mov_b32 s13, 0
.LBB56_1983:
	s_delay_alu instid0(SALU_CYCLE_1)
	s_and_not1_b32 vcc_lo, exec_lo, s13
	s_cbranch_vccnz .LBB56_1985
; %bb.1984:
	global_load_b32 v20, v[18:19], off
.LBB56_1985:
	s_mov_b32 s13, 0
.LBB56_1986:
	s_delay_alu instid0(SALU_CYCLE_1)
	s_and_not1_b32 vcc_lo, exec_lo, s13
	s_cbranch_vccnz .LBB56_1997
; %bb.1987:
	s_cmp_lt_i32 s11, 6
	s_cbranch_scc1 .LBB56_1990
; %bb.1988:
	s_cmp_gt_i32 s11, 6
	s_cbranch_scc0 .LBB56_1991
; %bb.1989:
	s_wait_loadcnt 0x0
	global_load_b64 v[20:21], v[18:19], off
	s_mov_b32 s13, 0
	s_wait_loadcnt 0x0
	v_and_or_b32 v5, 0x1ff, v21, v20
	v_lshrrev_b32_e32 v7, 8, v21
	v_bfe_u32 v9, v21, 20, 11
	s_delay_alu instid0(VALU_DEP_3) | instskip(NEXT) | instid1(VALU_DEP_2)
	v_cmp_ne_u32_e32 vcc_lo, 0, v5
	v_sub_nc_u32_e32 v11, 0x3f1, v9
	v_add_nc_u32_e32 v9, 0xfffffc10, v9
	v_cndmask_b32_e64 v5, 0, 1, vcc_lo
	s_delay_alu instid0(VALU_DEP_1) | instskip(NEXT) | instid1(VALU_DEP_4)
	v_and_or_b32 v5, 0xffe, v7, v5
	v_med3_i32 v7, v11, 0, 13
	s_delay_alu instid0(VALU_DEP_2) | instskip(NEXT) | instid1(VALU_DEP_1)
	v_or_b32_e32 v11, 0x1000, v5
	v_lshrrev_b32_e32 v13, v7, v11
	s_delay_alu instid0(VALU_DEP_1) | instskip(NEXT) | instid1(VALU_DEP_1)
	v_lshlrev_b32_e32 v7, v7, v13
	v_cmp_ne_u32_e32 vcc_lo, v7, v11
	v_lshl_or_b32 v11, v9, 12, v5
	v_cndmask_b32_e64 v7, 0, 1, vcc_lo
	v_cmp_gt_i32_e32 vcc_lo, 1, v9
	s_delay_alu instid0(VALU_DEP_2) | instskip(NEXT) | instid1(VALU_DEP_1)
	v_or_b32_e32 v7, v13, v7
	v_cndmask_b32_e32 v7, v11, v7, vcc_lo
	s_delay_alu instid0(VALU_DEP_1) | instskip(NEXT) | instid1(VALU_DEP_1)
	v_and_b32_e32 v11, 7, v7
	v_cmp_lt_i32_e32 vcc_lo, 5, v11
	v_cndmask_b32_e64 v13, 0, 1, vcc_lo
	v_cmp_eq_u32_e32 vcc_lo, 3, v11
	v_cndmask_b32_e64 v11, 0, 1, vcc_lo
	v_cmp_ne_u32_e32 vcc_lo, 0, v5
	s_delay_alu instid0(VALU_DEP_2) | instskip(SKIP_1) | instid1(VALU_DEP_2)
	v_dual_lshrrev_b32 v7, 2, v7 :: v_dual_bitop2_b32 v11, v11, v13 bitop3:0x54
	v_mov_b32_e32 v13, 0x7e00
	v_add_nc_u32_e32 v7, v7, v11
	s_delay_alu instid0(VALU_DEP_2) | instskip(SKIP_1) | instid1(VALU_DEP_3)
	v_cndmask_b32_e32 v5, 0x7c00, v13, vcc_lo
	v_cmp_gt_i32_e32 vcc_lo, 31, v9
	v_cndmask_b32_e32 v7, 0x7c00, v7, vcc_lo
	v_cmp_eq_u32_e32 vcc_lo, 0x40f, v9
	s_delay_alu instid0(VALU_DEP_2) | instskip(SKIP_1) | instid1(VALU_DEP_1)
	v_cndmask_b32_e32 v5, v7, v5, vcc_lo
	v_lshrrev_b32_e32 v7, 16, v21
	v_and_or_b32 v20, 0x8000, v7, v5
	s_branch .LBB56_1992
.LBB56_1990:
	s_mov_b32 s13, -1
                                        ; implicit-def: $vgpr20
	s_branch .LBB56_1995
.LBB56_1991:
	s_mov_b32 s13, -1
                                        ; implicit-def: $vgpr20
.LBB56_1992:
	s_delay_alu instid0(SALU_CYCLE_1)
	s_and_not1_b32 vcc_lo, exec_lo, s13
	s_cbranch_vccnz .LBB56_1994
; %bb.1993:
	global_load_b32 v5, v[18:19], off
	s_wait_loadcnt 0x0
	s_wait_xcnt 0x1
	v_cvt_f16_f32_e32 v20, v5
.LBB56_1994:
	s_mov_b32 s13, 0
.LBB56_1995:
	s_delay_alu instid0(SALU_CYCLE_1)
	s_and_not1_b32 vcc_lo, exec_lo, s13
	s_cbranch_vccnz .LBB56_1997
; %bb.1996:
	s_wait_loadcnt 0x0
	global_load_u16 v20, v[18:19], off
.LBB56_1997:
	s_mov_b32 s13, 0
.LBB56_1998:
	s_delay_alu instid0(SALU_CYCLE_1)
	s_and_not1_b32 vcc_lo, exec_lo, s13
	s_cbranch_vccnz .LBB56_2018
; %bb.1999:
	s_cmp_lt_i32 s11, 2
	s_cbranch_scc1 .LBB56_2003
; %bb.2000:
	s_cmp_lt_i32 s11, 3
	s_cbranch_scc1 .LBB56_2004
; %bb.2001:
	s_cmp_gt_i32 s11, 3
	s_cbranch_scc0 .LBB56_2005
; %bb.2002:
	s_wait_loadcnt 0x0
	global_load_b64 v[20:21], v[18:19], off
	s_mov_b32 s13, 0
	s_wait_loadcnt 0x0
	v_xor_b32_e32 v5, v20, v21
	v_cls_i32_e32 v7, v21
	s_delay_alu instid0(VALU_DEP_2) | instskip(NEXT) | instid1(VALU_DEP_1)
	v_ashrrev_i32_e32 v5, 31, v5
	v_add_nc_u32_e32 v5, 32, v5
	s_delay_alu instid0(VALU_DEP_1) | instskip(NEXT) | instid1(VALU_DEP_1)
	v_add_min_u32_e64 v5, v7, -1, v5
	v_lshlrev_b64_e32 v[20:21], v5, v[20:21]
	v_sub_nc_u32_e32 v5, 32, v5
	s_delay_alu instid0(VALU_DEP_2) | instskip(NEXT) | instid1(VALU_DEP_1)
	v_min_u32_e32 v7, 1, v20
	v_or_b32_e32 v7, v21, v7
	s_delay_alu instid0(VALU_DEP_1) | instskip(NEXT) | instid1(VALU_DEP_1)
	v_cvt_f32_i32_e32 v7, v7
	v_ldexp_f32 v5, v7, v5
	s_delay_alu instid0(VALU_DEP_1)
	v_cvt_f16_f32_e32 v20, v5
	s_branch .LBB56_2006
.LBB56_2003:
	s_mov_b32 s13, -1
                                        ; implicit-def: $vgpr20
	s_branch .LBB56_2012
.LBB56_2004:
	s_mov_b32 s13, -1
                                        ; implicit-def: $vgpr20
	s_branch .LBB56_2009
.LBB56_2005:
	s_mov_b32 s13, -1
                                        ; implicit-def: $vgpr20
.LBB56_2006:
	s_delay_alu instid0(SALU_CYCLE_1)
	s_and_not1_b32 vcc_lo, exec_lo, s13
	s_cbranch_vccnz .LBB56_2008
; %bb.2007:
	global_load_b32 v5, v[18:19], off
	s_wait_loadcnt 0x0
	v_cvt_f32_i32_e32 v5, v5
	s_wait_xcnt 0x1
	s_delay_alu instid0(VALU_DEP_1)
	v_cvt_f16_f32_e32 v20, v5
.LBB56_2008:
	s_mov_b32 s13, 0
.LBB56_2009:
	s_delay_alu instid0(SALU_CYCLE_1)
	s_and_not1_b32 vcc_lo, exec_lo, s13
	s_cbranch_vccnz .LBB56_2011
; %bb.2010:
	global_load_u16 v5, v[18:19], off
	s_wait_loadcnt 0x0
	s_wait_xcnt 0x1
	v_cvt_f16_i16_e32 v20, v5
.LBB56_2011:
	s_mov_b32 s13, 0
.LBB56_2012:
	s_delay_alu instid0(SALU_CYCLE_1)
	s_and_not1_b32 vcc_lo, exec_lo, s13
	s_cbranch_vccnz .LBB56_2018
; %bb.2013:
	s_cmp_gt_i32 s11, 0
	s_mov_b32 s13, 0
	s_cbranch_scc0 .LBB56_2015
; %bb.2014:
	global_load_i8 v5, v[18:19], off
	s_wait_loadcnt 0x0
	s_wait_xcnt 0x1
	v_cvt_f16_i16_e32 v20, v5
	s_branch .LBB56_2016
.LBB56_2015:
	s_mov_b32 s13, -1
                                        ; implicit-def: $vgpr20
.LBB56_2016:
	s_delay_alu instid0(SALU_CYCLE_1)
	s_and_not1_b32 vcc_lo, exec_lo, s13
	s_cbranch_vccnz .LBB56_2018
; %bb.2017:
	global_load_u8 v5, v[18:19], off
	s_wait_loadcnt 0x0
	s_wait_xcnt 0x1
	v_cvt_f16_u16_e32 v20, v5
.LBB56_2018:
.LBB56_2019:
	v_mov_b32_e32 v17, 0
	s_and_b32 s12, 0xffff, s12
	s_delay_alu instid0(SALU_CYCLE_1) | instskip(NEXT) | instid1(VALU_DEP_1)
	s_cmp_lt_i32 s12, 11
	v_add_nc_u64_e32 v[16:17], s[0:1], v[16:17]
	s_cbranch_scc1 .LBB56_2026
; %bb.2020:
	s_cmp_gt_i32 s12, 25
	s_mov_b32 s14, 0
	s_cbranch_scc0 .LBB56_2027
; %bb.2021:
	s_cmp_gt_i32 s12, 28
	s_cbranch_scc0 .LBB56_2028
; %bb.2022:
	s_cmp_gt_i32 s12, 43
	;; [unrolled: 3-line block ×3, first 2 shown]
	s_cbranch_scc0 .LBB56_2031
; %bb.2024:
	s_cmp_eq_u32 s12, 46
	s_mov_b32 s16, 0
	s_cbranch_scc0 .LBB56_2032
; %bb.2025:
	global_load_b32 v5, v[16:17], off
	s_mov_b32 s13, 0
	s_mov_b32 s15, -1
	s_wait_loadcnt 0x0
	v_lshlrev_b32_e32 v5, 16, v5
	s_wait_xcnt 0x1
	s_delay_alu instid0(VALU_DEP_1)
	v_cvt_f16_f32_e32 v18, v5
	s_branch .LBB56_2034
.LBB56_2026:
	s_mov_b32 s13, -1
	s_mov_b32 s15, 0
                                        ; implicit-def: $vgpr18
	s_branch .LBB56_2100
.LBB56_2027:
	s_mov_b32 s16, -1
	s_mov_b32 s15, 0
	s_mov_b32 s13, 0
                                        ; implicit-def: $vgpr18
	s_branch .LBB56_2063
.LBB56_2028:
	s_mov_b32 s16, -1
	s_mov_b32 s15, 0
	s_mov_b32 s13, 0
                                        ; implicit-def: $vgpr18
	s_branch .LBB56_2044
.LBB56_2029:
	s_mov_b32 s16, -1
	s_mov_b32 s15, 0
	s_mov_b32 s13, 0
                                        ; implicit-def: $vgpr18
	s_branch .LBB56_2039
.LBB56_2030:
	s_or_b32 s10, s10, exec_lo
	s_trap 2
	s_cbranch_execz .LBB56_1969
	s_branch .LBB56_1970
.LBB56_2031:
	s_mov_b32 s16, -1
	s_mov_b32 s15, 0
	s_mov_b32 s13, 0
	s_branch .LBB56_2033
.LBB56_2032:
	s_mov_b32 s13, -1
	s_mov_b32 s15, 0
.LBB56_2033:
                                        ; implicit-def: $vgpr18
.LBB56_2034:
	s_and_b32 vcc_lo, exec_lo, s16
	s_cbranch_vccz .LBB56_2038
; %bb.2035:
	s_cmp_eq_u32 s12, 44
	s_cbranch_scc0 .LBB56_2037
; %bb.2036:
	global_load_u8 v5, v[16:17], off
	s_mov_b32 s13, 0
	s_mov_b32 s15, -1
	s_wait_loadcnt 0x0
	v_lshlrev_b32_e32 v7, 23, v5
	v_cmp_ne_u32_e32 vcc_lo, 0xff, v5
	s_delay_alu instid0(VALU_DEP_2) | instskip(NEXT) | instid1(VALU_DEP_1)
	v_cvt_f16_f32_e32 v7, v7
	v_cndmask_b32_e32 v7, 0x7e00, v7, vcc_lo
	v_cmp_ne_u32_e32 vcc_lo, 0, v5
	s_wait_xcnt 0x1
	s_delay_alu instid0(VALU_DEP_2)
	v_cndmask_b32_e32 v18, 0, v7, vcc_lo
	s_branch .LBB56_2038
.LBB56_2037:
	s_mov_b32 s13, -1
                                        ; implicit-def: $vgpr18
.LBB56_2038:
	s_mov_b32 s16, 0
.LBB56_2039:
	s_delay_alu instid0(SALU_CYCLE_1)
	s_and_b32 vcc_lo, exec_lo, s16
	s_cbranch_vccz .LBB56_2043
; %bb.2040:
	s_cmp_eq_u32 s12, 29
	s_cbranch_scc0 .LBB56_2042
; %bb.2041:
	global_load_b64 v[18:19], v[16:17], off
	s_mov_b32 s13, 0
	s_mov_b32 s15, -1
	s_mov_b32 s16, 0
	s_wait_loadcnt 0x0
	v_clz_i32_u32_e32 v5, v19
	s_delay_alu instid0(VALU_DEP_1) | instskip(NEXT) | instid1(VALU_DEP_1)
	v_min_u32_e32 v5, 32, v5
	v_lshlrev_b64_e32 v[18:19], v5, v[18:19]
	v_sub_nc_u32_e32 v5, 32, v5
	s_delay_alu instid0(VALU_DEP_2) | instskip(NEXT) | instid1(VALU_DEP_1)
	v_min_u32_e32 v7, 1, v18
	v_or_b32_e32 v7, v19, v7
	s_delay_alu instid0(VALU_DEP_1) | instskip(NEXT) | instid1(VALU_DEP_1)
	v_cvt_f32_u32_e32 v7, v7
	v_ldexp_f32 v5, v7, v5
	s_delay_alu instid0(VALU_DEP_1)
	v_cvt_f16_f32_e32 v18, v5
	s_branch .LBB56_2044
.LBB56_2042:
	s_mov_b32 s13, -1
                                        ; implicit-def: $vgpr18
.LBB56_2043:
	s_mov_b32 s16, 0
.LBB56_2044:
	s_delay_alu instid0(SALU_CYCLE_1)
	s_and_b32 vcc_lo, exec_lo, s16
	s_cbranch_vccz .LBB56_2062
; %bb.2045:
	s_cmp_lt_i32 s12, 27
	s_cbranch_scc1 .LBB56_2048
; %bb.2046:
	s_cmp_gt_i32 s12, 27
	s_cbranch_scc0 .LBB56_2049
; %bb.2047:
	global_load_b32 v5, v[16:17], off
	s_mov_b32 s15, 0
	s_wait_loadcnt 0x0
	v_cvt_f32_u32_e32 v5, v5
	s_wait_xcnt 0x1
	s_delay_alu instid0(VALU_DEP_1)
	v_cvt_f16_f32_e32 v18, v5
	s_branch .LBB56_2050
.LBB56_2048:
	s_mov_b32 s15, -1
                                        ; implicit-def: $vgpr18
	s_branch .LBB56_2053
.LBB56_2049:
	s_mov_b32 s15, -1
                                        ; implicit-def: $vgpr18
.LBB56_2050:
	s_delay_alu instid0(SALU_CYCLE_1)
	s_and_not1_b32 vcc_lo, exec_lo, s15
	s_cbranch_vccnz .LBB56_2052
; %bb.2051:
	global_load_u16 v5, v[16:17], off
	s_wait_loadcnt 0x0
	s_wait_xcnt 0x1
	v_cvt_f16_u16_e32 v18, v5
.LBB56_2052:
	s_mov_b32 s15, 0
.LBB56_2053:
	s_delay_alu instid0(SALU_CYCLE_1)
	s_and_not1_b32 vcc_lo, exec_lo, s15
	s_cbranch_vccnz .LBB56_2061
; %bb.2054:
	global_load_u8 v5, v[16:17], off
	s_mov_b32 s15, 0
	s_mov_b32 s16, exec_lo
	s_wait_loadcnt 0x0
	v_cmpx_lt_i16_e32 0x7f, v5
	s_xor_b32 s16, exec_lo, s16
	s_cbranch_execz .LBB56_2075
; %bb.2055:
	s_mov_b32 s15, -1
	s_mov_b32 s17, exec_lo
	v_cmpx_eq_u16_e32 0x80, v5
; %bb.2056:
	s_xor_b32 s15, exec_lo, -1
; %bb.2057:
	s_or_b32 exec_lo, exec_lo, s17
	s_delay_alu instid0(SALU_CYCLE_1)
	s_and_b32 s15, s15, exec_lo
	s_or_saveexec_b32 s16, s16
	v_mov_b32_e32 v18, 0x7e00
	s_xor_b32 exec_lo, exec_lo, s16
	s_cbranch_execnz .LBB56_2076
.LBB56_2058:
	s_or_b32 exec_lo, exec_lo, s16
	s_and_saveexec_b32 s16, s15
	s_cbranch_execz .LBB56_2060
.LBB56_2059:
	v_and_b32_e32 v7, 0xffff, v5
	s_delay_alu instid0(VALU_DEP_1) | instskip(SKIP_1) | instid1(VALU_DEP_2)
	v_dual_lshlrev_b32 v5, 24, v5 :: v_dual_bitop2_b32 v9, 7, v7 bitop3:0x40
	v_bfe_u32 v15, v7, 3, 4
	v_and_b32_e32 v5, 0x80000000, v5
	s_delay_alu instid0(VALU_DEP_3) | instskip(NEXT) | instid1(VALU_DEP_3)
	v_clz_i32_u32_e32 v11, v9
	v_cmp_eq_u32_e32 vcc_lo, 0, v15
	s_delay_alu instid0(VALU_DEP_2) | instskip(NEXT) | instid1(VALU_DEP_1)
	v_min_u32_e32 v11, 32, v11
	v_subrev_nc_u32_e32 v13, 28, v11
	v_sub_nc_u32_e32 v11, 29, v11
	s_delay_alu instid0(VALU_DEP_2) | instskip(NEXT) | instid1(VALU_DEP_2)
	v_lshlrev_b32_e32 v7, v13, v7
	v_cndmask_b32_e32 v11, v15, v11, vcc_lo
	s_delay_alu instid0(VALU_DEP_2) | instskip(NEXT) | instid1(VALU_DEP_1)
	v_and_b32_e32 v7, 7, v7
	v_cndmask_b32_e32 v7, v9, v7, vcc_lo
	s_delay_alu instid0(VALU_DEP_3) | instskip(NEXT) | instid1(VALU_DEP_2)
	v_lshl_add_u32 v9, v11, 23, 0x3b800000
	v_lshlrev_b32_e32 v7, 20, v7
	s_delay_alu instid0(VALU_DEP_1) | instskip(NEXT) | instid1(VALU_DEP_1)
	v_or3_b32 v5, v5, v9, v7
	v_cvt_f16_f32_e32 v18, v5
.LBB56_2060:
	s_or_b32 exec_lo, exec_lo, s16
.LBB56_2061:
	s_mov_b32 s15, -1
.LBB56_2062:
	s_mov_b32 s16, 0
.LBB56_2063:
	s_delay_alu instid0(SALU_CYCLE_1)
	s_and_b32 vcc_lo, exec_lo, s16
	s_cbranch_vccz .LBB56_2096
; %bb.2064:
	s_cmp_gt_i32 s12, 22
	s_cbranch_scc0 .LBB56_2074
; %bb.2065:
	s_cmp_lt_i32 s12, 24
	s_cbranch_scc1 .LBB56_2077
; %bb.2066:
	s_cmp_gt_i32 s12, 24
	s_cbranch_scc0 .LBB56_2078
; %bb.2067:
	global_load_u8 v5, v[16:17], off
	s_mov_b32 s15, exec_lo
	s_wait_loadcnt 0x0
	v_cmpx_lt_i16_e32 0x7f, v5
	s_xor_b32 s15, exec_lo, s15
	s_cbranch_execz .LBB56_2090
; %bb.2068:
	s_mov_b32 s14, -1
	s_mov_b32 s16, exec_lo
	v_cmpx_eq_u16_e32 0x80, v5
; %bb.2069:
	s_xor_b32 s14, exec_lo, -1
; %bb.2070:
	s_or_b32 exec_lo, exec_lo, s16
	s_delay_alu instid0(SALU_CYCLE_1)
	s_and_b32 s14, s14, exec_lo
	s_or_saveexec_b32 s15, s15
	v_mov_b32_e32 v18, 0x7e00
	s_xor_b32 exec_lo, exec_lo, s15
	s_cbranch_execnz .LBB56_2091
.LBB56_2071:
	s_or_b32 exec_lo, exec_lo, s15
	s_and_saveexec_b32 s15, s14
	s_cbranch_execz .LBB56_2073
.LBB56_2072:
	v_and_b32_e32 v7, 0xffff, v5
	s_delay_alu instid0(VALU_DEP_1) | instskip(SKIP_1) | instid1(VALU_DEP_2)
	v_dual_lshlrev_b32 v5, 24, v5 :: v_dual_bitop2_b32 v9, 3, v7 bitop3:0x40
	v_bfe_u32 v15, v7, 2, 5
	v_and_b32_e32 v5, 0x80000000, v5
	s_delay_alu instid0(VALU_DEP_3) | instskip(NEXT) | instid1(VALU_DEP_3)
	v_clz_i32_u32_e32 v11, v9
	v_cmp_eq_u32_e32 vcc_lo, 0, v15
	s_delay_alu instid0(VALU_DEP_2) | instskip(NEXT) | instid1(VALU_DEP_1)
	v_min_u32_e32 v11, 32, v11
	v_subrev_nc_u32_e32 v13, 29, v11
	v_sub_nc_u32_e32 v11, 30, v11
	s_delay_alu instid0(VALU_DEP_2) | instskip(NEXT) | instid1(VALU_DEP_2)
	v_lshlrev_b32_e32 v7, v13, v7
	v_cndmask_b32_e32 v11, v15, v11, vcc_lo
	s_delay_alu instid0(VALU_DEP_2) | instskip(NEXT) | instid1(VALU_DEP_1)
	v_and_b32_e32 v7, 3, v7
	v_cndmask_b32_e32 v7, v9, v7, vcc_lo
	s_delay_alu instid0(VALU_DEP_3) | instskip(NEXT) | instid1(VALU_DEP_2)
	v_lshl_add_u32 v9, v11, 23, 0x37800000
	v_lshlrev_b32_e32 v7, 21, v7
	s_delay_alu instid0(VALU_DEP_1) | instskip(NEXT) | instid1(VALU_DEP_1)
	v_or3_b32 v5, v5, v9, v7
	v_cvt_f16_f32_e32 v18, v5
.LBB56_2073:
	s_or_b32 exec_lo, exec_lo, s15
	s_mov_b32 s14, 0
	s_branch .LBB56_2079
.LBB56_2074:
	s_mov_b32 s14, -1
                                        ; implicit-def: $vgpr18
	s_branch .LBB56_2085
.LBB56_2075:
	s_or_saveexec_b32 s16, s16
	v_mov_b32_e32 v18, 0x7e00
	s_xor_b32 exec_lo, exec_lo, s16
	s_cbranch_execz .LBB56_2058
.LBB56_2076:
	v_cmp_ne_u16_e32 vcc_lo, 0, v5
	v_mov_b32_e32 v18, v5
	s_and_not1_b32 s15, s15, exec_lo
	s_and_b32 s17, vcc_lo, exec_lo
	s_delay_alu instid0(SALU_CYCLE_1)
	s_or_b32 s15, s15, s17
	s_or_b32 exec_lo, exec_lo, s16
	s_and_saveexec_b32 s16, s15
	s_cbranch_execnz .LBB56_2059
	s_branch .LBB56_2060
.LBB56_2077:
	s_mov_b32 s14, -1
                                        ; implicit-def: $vgpr18
	s_branch .LBB56_2082
.LBB56_2078:
	s_mov_b32 s14, -1
                                        ; implicit-def: $vgpr18
.LBB56_2079:
	s_delay_alu instid0(SALU_CYCLE_1)
	s_and_b32 vcc_lo, exec_lo, s14
	s_cbranch_vccz .LBB56_2081
; %bb.2080:
	global_load_u8 v5, v[16:17], off
	s_wait_loadcnt 0x0
	v_lshlrev_b32_e32 v5, 24, v5
	s_delay_alu instid0(VALU_DEP_1) | instskip(NEXT) | instid1(VALU_DEP_1)
	v_and_b32_e32 v7, 0x7f000000, v5
	v_clz_i32_u32_e32 v9, v7
	v_add_nc_u32_e32 v13, 0x1000000, v7
	v_cmp_ne_u32_e32 vcc_lo, 0, v7
	s_delay_alu instid0(VALU_DEP_3) | instskip(NEXT) | instid1(VALU_DEP_1)
	v_min_u32_e32 v9, 32, v9
	v_sub_nc_u32_e64 v9, v9, 4 clamp
	s_delay_alu instid0(VALU_DEP_1) | instskip(NEXT) | instid1(VALU_DEP_1)
	v_dual_lshlrev_b32 v11, v9, v7 :: v_dual_lshlrev_b32 v9, 23, v9
	v_lshrrev_b32_e32 v11, 4, v11
	s_delay_alu instid0(VALU_DEP_1) | instskip(SKIP_1) | instid1(VALU_DEP_2)
	v_sub_nc_u32_e32 v9, v11, v9
	v_ashrrev_i32_e32 v11, 8, v13
	v_add_nc_u32_e32 v9, 0x3c000000, v9
	s_delay_alu instid0(VALU_DEP_1) | instskip(NEXT) | instid1(VALU_DEP_1)
	v_and_or_b32 v9, 0x7f800000, v11, v9
	v_cndmask_b32_e32 v7, 0, v9, vcc_lo
	s_delay_alu instid0(VALU_DEP_1) | instskip(SKIP_1) | instid1(VALU_DEP_1)
	v_and_or_b32 v5, 0x80000000, v5, v7
	s_wait_xcnt 0x1
	v_cvt_f16_f32_e32 v18, v5
.LBB56_2081:
	s_mov_b32 s14, 0
.LBB56_2082:
	s_delay_alu instid0(SALU_CYCLE_1)
	s_and_not1_b32 vcc_lo, exec_lo, s14
	s_cbranch_vccnz .LBB56_2084
; %bb.2083:
	global_load_u8 v5, v[16:17], off
	s_wait_loadcnt 0x0
	v_lshlrev_b32_e32 v7, 25, v5
	v_lshlrev_b16 v5, 8, v5
	s_delay_alu instid0(VALU_DEP_1) | instskip(SKIP_1) | instid1(VALU_DEP_2)
	v_and_or_b32 v11, 0x7f00, v5, 0.5
	v_bfe_i32 v5, v5, 0, 16
	v_add_f32_e32 v11, -0.5, v11
	v_lshrrev_b32_e32 v9, 4, v7
	v_cmp_gt_u32_e32 vcc_lo, 0x8000000, v7
	s_delay_alu instid0(VALU_DEP_2) | instskip(NEXT) | instid1(VALU_DEP_1)
	v_or_b32_e32 v9, 0x70000000, v9
	v_mul_f32_e32 v9, 0x7800000, v9
	s_delay_alu instid0(VALU_DEP_1) | instskip(NEXT) | instid1(VALU_DEP_1)
	v_cndmask_b32_e32 v7, v9, v11, vcc_lo
	v_and_or_b32 v5, 0x80000000, v5, v7
	s_wait_xcnt 0x1
	s_delay_alu instid0(VALU_DEP_1)
	v_cvt_f16_f32_e32 v18, v5
.LBB56_2084:
	s_mov_b32 s14, 0
	s_mov_b32 s15, -1
.LBB56_2085:
	s_and_not1_b32 vcc_lo, exec_lo, s14
	s_mov_b32 s14, 0
	s_cbranch_vccnz .LBB56_2096
; %bb.2086:
	s_cmp_gt_i32 s12, 14
	s_cbranch_scc0 .LBB56_2089
; %bb.2087:
	s_cmp_eq_u32 s12, 15
	s_cbranch_scc0 .LBB56_2092
; %bb.2088:
	global_load_u16 v5, v[16:17], off
	s_mov_b32 s13, 0
	s_mov_b32 s15, -1
	s_wait_loadcnt 0x0
	v_lshlrev_b32_e32 v5, 16, v5
	s_wait_xcnt 0x1
	s_delay_alu instid0(VALU_DEP_1)
	v_cvt_f16_f32_e32 v18, v5
	s_branch .LBB56_2094
.LBB56_2089:
	s_mov_b32 s14, -1
	s_branch .LBB56_2093
.LBB56_2090:
	s_or_saveexec_b32 s15, s15
	v_mov_b32_e32 v18, 0x7e00
	s_xor_b32 exec_lo, exec_lo, s15
	s_cbranch_execz .LBB56_2071
.LBB56_2091:
	v_cmp_ne_u16_e32 vcc_lo, 0, v5
	v_mov_b32_e32 v18, v5
	s_and_not1_b32 s14, s14, exec_lo
	s_and_b32 s16, vcc_lo, exec_lo
	s_delay_alu instid0(SALU_CYCLE_1)
	s_or_b32 s14, s14, s16
	s_or_b32 exec_lo, exec_lo, s15
	s_and_saveexec_b32 s15, s14
	s_cbranch_execnz .LBB56_2072
	s_branch .LBB56_2073
.LBB56_2092:
	s_mov_b32 s13, -1
.LBB56_2093:
                                        ; implicit-def: $vgpr18
.LBB56_2094:
	s_and_b32 vcc_lo, exec_lo, s14
	s_mov_b32 s14, 0
	s_cbranch_vccz .LBB56_2096
; %bb.2095:
	s_cmp_lg_u32 s12, 11
	s_mov_b32 s14, -1
	s_cselect_b32 s13, -1, 0
.LBB56_2096:
	s_delay_alu instid0(SALU_CYCLE_1)
	s_and_b32 vcc_lo, exec_lo, s13
	s_cbranch_vccnz .LBB56_2161
; %bb.2097:
	s_and_not1_b32 vcc_lo, exec_lo, s14
	s_cbranch_vccnz .LBB56_2099
.LBB56_2098:
	global_load_u8 v5, v[16:17], off
	s_mov_b32 s15, -1
	s_wait_loadcnt 0x0
	v_cmp_ne_u16_e32 vcc_lo, 0, v5
	s_wait_xcnt 0x1
	v_cndmask_b32_e64 v18, 0, 0x3c00, vcc_lo
.LBB56_2099:
	s_mov_b32 s13, 0
.LBB56_2100:
	s_delay_alu instid0(SALU_CYCLE_1)
	s_and_b32 vcc_lo, exec_lo, s13
	s_cbranch_vccz .LBB56_2149
; %bb.2101:
	s_cmp_lt_i32 s12, 5
	s_cbranch_scc1 .LBB56_2106
; %bb.2102:
	s_cmp_lt_i32 s12, 8
	s_cbranch_scc1 .LBB56_2107
	;; [unrolled: 3-line block ×3, first 2 shown]
; %bb.2104:
	s_cmp_gt_i32 s12, 9
	s_cbranch_scc0 .LBB56_2109
; %bb.2105:
	global_load_b64 v[18:19], v[16:17], off
	s_mov_b32 s13, 0
	s_wait_loadcnt 0x0
	v_and_or_b32 v5, 0x1ff, v19, v18
	v_lshrrev_b32_e32 v7, 8, v19
	v_bfe_u32 v9, v19, 20, 11
	s_delay_alu instid0(VALU_DEP_3) | instskip(NEXT) | instid1(VALU_DEP_2)
	v_cmp_ne_u32_e32 vcc_lo, 0, v5
	v_sub_nc_u32_e32 v11, 0x3f1, v9
	v_add_nc_u32_e32 v9, 0xfffffc10, v9
	v_cndmask_b32_e64 v5, 0, 1, vcc_lo
	s_delay_alu instid0(VALU_DEP_1) | instskip(NEXT) | instid1(VALU_DEP_4)
	v_and_or_b32 v5, 0xffe, v7, v5
	v_med3_i32 v7, v11, 0, 13
	s_delay_alu instid0(VALU_DEP_2) | instskip(NEXT) | instid1(VALU_DEP_1)
	v_or_b32_e32 v11, 0x1000, v5
	v_lshrrev_b32_e32 v13, v7, v11
	s_delay_alu instid0(VALU_DEP_1) | instskip(NEXT) | instid1(VALU_DEP_1)
	v_lshlrev_b32_e32 v7, v7, v13
	v_cmp_ne_u32_e32 vcc_lo, v7, v11
	v_lshl_or_b32 v11, v9, 12, v5
	v_cndmask_b32_e64 v7, 0, 1, vcc_lo
	v_cmp_gt_i32_e32 vcc_lo, 1, v9
	s_delay_alu instid0(VALU_DEP_2) | instskip(NEXT) | instid1(VALU_DEP_1)
	v_or_b32_e32 v7, v13, v7
	v_cndmask_b32_e32 v7, v11, v7, vcc_lo
	s_delay_alu instid0(VALU_DEP_1) | instskip(NEXT) | instid1(VALU_DEP_1)
	v_dual_lshrrev_b32 v7, 2, v7 :: v_dual_bitop2_b32 v11, 7, v7 bitop3:0x40
	v_cmp_lt_i32_e32 vcc_lo, 5, v11
	v_cndmask_b32_e64 v13, 0, 1, vcc_lo
	v_cmp_eq_u32_e32 vcc_lo, 3, v11
	v_cndmask_b32_e64 v11, 0, 1, vcc_lo
	v_cmp_ne_u32_e32 vcc_lo, 0, v5
	s_delay_alu instid0(VALU_DEP_2) | instskip(SKIP_1) | instid1(VALU_DEP_2)
	v_or_b32_e32 v11, v11, v13
	v_mov_b32_e32 v13, 0x7e00
	v_add_nc_u32_e32 v7, v7, v11
	s_delay_alu instid0(VALU_DEP_2) | instskip(SKIP_1) | instid1(VALU_DEP_3)
	v_cndmask_b32_e32 v5, 0x7c00, v13, vcc_lo
	v_cmp_gt_i32_e32 vcc_lo, 31, v9
	v_cndmask_b32_e32 v7, 0x7c00, v7, vcc_lo
	v_cmp_eq_u32_e32 vcc_lo, 0x40f, v9
	s_delay_alu instid0(VALU_DEP_2) | instskip(NEXT) | instid1(VALU_DEP_1)
	v_dual_cndmask_b32 v5, v7, v5, vcc_lo :: v_dual_lshrrev_b32 v7, 16, v19
	v_and_or_b32 v18, 0x8000, v7, v5
	s_branch .LBB56_2110
.LBB56_2106:
	s_mov_b32 s13, -1
                                        ; implicit-def: $vgpr18
	s_branch .LBB56_2128
.LBB56_2107:
	s_mov_b32 s13, -1
                                        ; implicit-def: $vgpr18
	s_branch .LBB56_2116
.LBB56_2108:
	s_mov_b32 s13, -1
                                        ; implicit-def: $vgpr18
	s_branch .LBB56_2113
.LBB56_2109:
	s_mov_b32 s13, -1
                                        ; implicit-def: $vgpr18
.LBB56_2110:
	s_delay_alu instid0(SALU_CYCLE_1)
	s_and_not1_b32 vcc_lo, exec_lo, s13
	s_cbranch_vccnz .LBB56_2112
; %bb.2111:
	global_load_b32 v5, v[16:17], off
	s_wait_loadcnt 0x0
	s_wait_xcnt 0x1
	v_cvt_f16_f32_e32 v18, v5
.LBB56_2112:
	s_mov_b32 s13, 0
.LBB56_2113:
	s_delay_alu instid0(SALU_CYCLE_1)
	s_and_not1_b32 vcc_lo, exec_lo, s13
	s_cbranch_vccnz .LBB56_2115
; %bb.2114:
	global_load_b32 v18, v[16:17], off
.LBB56_2115:
	s_mov_b32 s13, 0
.LBB56_2116:
	s_delay_alu instid0(SALU_CYCLE_1)
	s_and_not1_b32 vcc_lo, exec_lo, s13
	s_cbranch_vccnz .LBB56_2127
; %bb.2117:
	s_cmp_lt_i32 s12, 6
	s_cbranch_scc1 .LBB56_2120
; %bb.2118:
	s_cmp_gt_i32 s12, 6
	s_cbranch_scc0 .LBB56_2121
; %bb.2119:
	s_wait_loadcnt 0x0
	global_load_b64 v[18:19], v[16:17], off
	s_mov_b32 s13, 0
	s_wait_loadcnt 0x0
	v_and_or_b32 v5, 0x1ff, v19, v18
	v_lshrrev_b32_e32 v7, 8, v19
	v_bfe_u32 v9, v19, 20, 11
	s_delay_alu instid0(VALU_DEP_3) | instskip(NEXT) | instid1(VALU_DEP_2)
	v_cmp_ne_u32_e32 vcc_lo, 0, v5
	v_sub_nc_u32_e32 v11, 0x3f1, v9
	v_add_nc_u32_e32 v9, 0xfffffc10, v9
	v_cndmask_b32_e64 v5, 0, 1, vcc_lo
	s_delay_alu instid0(VALU_DEP_1) | instskip(NEXT) | instid1(VALU_DEP_4)
	v_and_or_b32 v5, 0xffe, v7, v5
	v_med3_i32 v7, v11, 0, 13
	s_delay_alu instid0(VALU_DEP_2) | instskip(NEXT) | instid1(VALU_DEP_1)
	v_or_b32_e32 v11, 0x1000, v5
	v_lshrrev_b32_e32 v13, v7, v11
	s_delay_alu instid0(VALU_DEP_1) | instskip(NEXT) | instid1(VALU_DEP_1)
	v_lshlrev_b32_e32 v7, v7, v13
	v_cmp_ne_u32_e32 vcc_lo, v7, v11
	v_lshl_or_b32 v11, v9, 12, v5
	v_cndmask_b32_e64 v7, 0, 1, vcc_lo
	v_cmp_gt_i32_e32 vcc_lo, 1, v9
	s_delay_alu instid0(VALU_DEP_2) | instskip(NEXT) | instid1(VALU_DEP_1)
	v_or_b32_e32 v7, v13, v7
	v_cndmask_b32_e32 v7, v11, v7, vcc_lo
	s_delay_alu instid0(VALU_DEP_1) | instskip(NEXT) | instid1(VALU_DEP_1)
	v_dual_lshrrev_b32 v7, 2, v7 :: v_dual_bitop2_b32 v11, 7, v7 bitop3:0x40
	v_cmp_lt_i32_e32 vcc_lo, 5, v11
	v_cndmask_b32_e64 v13, 0, 1, vcc_lo
	v_cmp_eq_u32_e32 vcc_lo, 3, v11
	v_cndmask_b32_e64 v11, 0, 1, vcc_lo
	v_cmp_ne_u32_e32 vcc_lo, 0, v5
	s_delay_alu instid0(VALU_DEP_2) | instskip(SKIP_1) | instid1(VALU_DEP_2)
	v_or_b32_e32 v11, v11, v13
	v_mov_b32_e32 v13, 0x7e00
	v_add_nc_u32_e32 v7, v7, v11
	s_delay_alu instid0(VALU_DEP_2) | instskip(SKIP_1) | instid1(VALU_DEP_3)
	v_cndmask_b32_e32 v5, 0x7c00, v13, vcc_lo
	v_cmp_gt_i32_e32 vcc_lo, 31, v9
	v_cndmask_b32_e32 v7, 0x7c00, v7, vcc_lo
	v_cmp_eq_u32_e32 vcc_lo, 0x40f, v9
	s_delay_alu instid0(VALU_DEP_2) | instskip(NEXT) | instid1(VALU_DEP_1)
	v_dual_cndmask_b32 v5, v7, v5, vcc_lo :: v_dual_lshrrev_b32 v7, 16, v19
	v_and_or_b32 v18, 0x8000, v7, v5
	s_branch .LBB56_2122
.LBB56_2120:
	s_mov_b32 s13, -1
                                        ; implicit-def: $vgpr18
	s_branch .LBB56_2125
.LBB56_2121:
	s_mov_b32 s13, -1
                                        ; implicit-def: $vgpr18
.LBB56_2122:
	s_delay_alu instid0(SALU_CYCLE_1)
	s_and_not1_b32 vcc_lo, exec_lo, s13
	s_cbranch_vccnz .LBB56_2124
; %bb.2123:
	global_load_b32 v5, v[16:17], off
	s_wait_loadcnt 0x0
	s_wait_xcnt 0x1
	v_cvt_f16_f32_e32 v18, v5
.LBB56_2124:
	s_mov_b32 s13, 0
.LBB56_2125:
	s_delay_alu instid0(SALU_CYCLE_1)
	s_and_not1_b32 vcc_lo, exec_lo, s13
	s_cbranch_vccnz .LBB56_2127
; %bb.2126:
	s_wait_loadcnt 0x0
	global_load_u16 v18, v[16:17], off
.LBB56_2127:
	s_mov_b32 s13, 0
.LBB56_2128:
	s_delay_alu instid0(SALU_CYCLE_1)
	s_and_not1_b32 vcc_lo, exec_lo, s13
	s_cbranch_vccnz .LBB56_2148
; %bb.2129:
	s_cmp_lt_i32 s12, 2
	s_cbranch_scc1 .LBB56_2133
; %bb.2130:
	s_cmp_lt_i32 s12, 3
	s_cbranch_scc1 .LBB56_2134
; %bb.2131:
	s_cmp_gt_i32 s12, 3
	s_cbranch_scc0 .LBB56_2135
; %bb.2132:
	s_wait_loadcnt 0x0
	global_load_b64 v[18:19], v[16:17], off
	s_mov_b32 s13, 0
	s_wait_loadcnt 0x0
	v_xor_b32_e32 v5, v18, v19
	v_cls_i32_e32 v7, v19
	s_delay_alu instid0(VALU_DEP_2) | instskip(NEXT) | instid1(VALU_DEP_1)
	v_ashrrev_i32_e32 v5, 31, v5
	v_add_nc_u32_e32 v5, 32, v5
	s_delay_alu instid0(VALU_DEP_1) | instskip(NEXT) | instid1(VALU_DEP_1)
	v_add_min_u32_e64 v5, v7, -1, v5
	v_lshlrev_b64_e32 v[18:19], v5, v[18:19]
	v_sub_nc_u32_e32 v5, 32, v5
	s_delay_alu instid0(VALU_DEP_2) | instskip(NEXT) | instid1(VALU_DEP_1)
	v_min_u32_e32 v7, 1, v18
	v_or_b32_e32 v7, v19, v7
	s_delay_alu instid0(VALU_DEP_1) | instskip(NEXT) | instid1(VALU_DEP_1)
	v_cvt_f32_i32_e32 v7, v7
	v_ldexp_f32 v5, v7, v5
	s_delay_alu instid0(VALU_DEP_1)
	v_cvt_f16_f32_e32 v18, v5
	s_branch .LBB56_2136
.LBB56_2133:
	s_mov_b32 s13, -1
                                        ; implicit-def: $vgpr18
	s_branch .LBB56_2142
.LBB56_2134:
	s_mov_b32 s13, -1
                                        ; implicit-def: $vgpr18
	s_branch .LBB56_2139
.LBB56_2135:
	s_mov_b32 s13, -1
                                        ; implicit-def: $vgpr18
.LBB56_2136:
	s_delay_alu instid0(SALU_CYCLE_1)
	s_and_not1_b32 vcc_lo, exec_lo, s13
	s_cbranch_vccnz .LBB56_2138
; %bb.2137:
	global_load_b32 v5, v[16:17], off
	s_wait_loadcnt 0x0
	v_cvt_f32_i32_e32 v5, v5
	s_wait_xcnt 0x1
	s_delay_alu instid0(VALU_DEP_1)
	v_cvt_f16_f32_e32 v18, v5
.LBB56_2138:
	s_mov_b32 s13, 0
.LBB56_2139:
	s_delay_alu instid0(SALU_CYCLE_1)
	s_and_not1_b32 vcc_lo, exec_lo, s13
	s_cbranch_vccnz .LBB56_2141
; %bb.2140:
	global_load_u16 v5, v[16:17], off
	s_wait_loadcnt 0x0
	s_wait_xcnt 0x1
	v_cvt_f16_i16_e32 v18, v5
.LBB56_2141:
	s_mov_b32 s13, 0
.LBB56_2142:
	s_delay_alu instid0(SALU_CYCLE_1)
	s_and_not1_b32 vcc_lo, exec_lo, s13
	s_cbranch_vccnz .LBB56_2148
; %bb.2143:
	s_cmp_gt_i32 s12, 0
	s_mov_b32 s13, 0
	s_cbranch_scc0 .LBB56_2145
; %bb.2144:
	global_load_i8 v5, v[16:17], off
	s_wait_loadcnt 0x0
	s_wait_xcnt 0x1
	v_cvt_f16_i16_e32 v18, v5
	s_branch .LBB56_2146
.LBB56_2145:
	s_mov_b32 s13, -1
                                        ; implicit-def: $vgpr18
.LBB56_2146:
	s_delay_alu instid0(SALU_CYCLE_1)
	s_and_not1_b32 vcc_lo, exec_lo, s13
	s_cbranch_vccnz .LBB56_2148
; %bb.2147:
	global_load_u8 v5, v[16:17], off
	s_wait_loadcnt 0x0
	s_wait_xcnt 0x1
	v_cvt_f16_u16_e32 v18, v5
.LBB56_2148:
	s_mov_b32 s15, -1
.LBB56_2149:
	s_delay_alu instid0(SALU_CYCLE_1)
	s_and_not1_b32 vcc_lo, exec_lo, s15
	s_cbranch_vccnz .LBB56_3106
; %bb.2150:
	v_mov_b32_e32 v15, 0
	s_cmp_lt_i32 s11, 11
	s_delay_alu instid0(VALU_DEP_1)
	v_add_nc_u64_e32 v[14:15], s[6:7], v[14:15]
	s_cbranch_scc1 .LBB56_2157
; %bb.2151:
	s_cmp_gt_i32 s11, 25
	s_mov_b32 s14, 0
	s_cbranch_scc0 .LBB56_2158
; %bb.2152:
	s_cmp_gt_i32 s11, 28
	s_cbranch_scc0 .LBB56_2159
; %bb.2153:
	s_cmp_gt_i32 s11, 43
	;; [unrolled: 3-line block ×3, first 2 shown]
	s_cbranch_scc0 .LBB56_2162
; %bb.2155:
	s_cmp_eq_u32 s11, 46
	s_mov_b32 s16, 0
	s_cbranch_scc0 .LBB56_2163
; %bb.2156:
	global_load_b32 v5, v[14:15], off
	s_mov_b32 s13, 0
	s_mov_b32 s15, -1
	s_wait_loadcnt 0x0
	v_lshlrev_b32_e32 v5, 16, v5
	s_wait_xcnt 0x1
	s_delay_alu instid0(VALU_DEP_1)
	v_cvt_f16_f32_e32 v16, v5
	s_branch .LBB56_2165
.LBB56_2157:
	s_mov_b32 s13, -1
	s_mov_b32 s15, 0
                                        ; implicit-def: $vgpr16
	s_branch .LBB56_2231
.LBB56_2158:
	s_mov_b32 s16, -1
	s_mov_b32 s15, 0
	s_mov_b32 s13, 0
                                        ; implicit-def: $vgpr16
	s_branch .LBB56_2194
.LBB56_2159:
	s_mov_b32 s16, -1
	s_mov_b32 s15, 0
	s_mov_b32 s13, 0
                                        ; implicit-def: $vgpr16
	s_branch .LBB56_2175
.LBB56_2160:
	s_mov_b32 s16, -1
	s_mov_b32 s15, 0
	s_mov_b32 s13, 0
                                        ; implicit-def: $vgpr16
	s_branch .LBB56_2170
.LBB56_2161:
	s_or_b32 s10, s10, exec_lo
	s_trap 2
	s_cbranch_execz .LBB56_2098
	s_branch .LBB56_2099
.LBB56_2162:
	s_mov_b32 s16, -1
	s_mov_b32 s15, 0
	s_mov_b32 s13, 0
	s_branch .LBB56_2164
.LBB56_2163:
	s_mov_b32 s13, -1
	s_mov_b32 s15, 0
.LBB56_2164:
                                        ; implicit-def: $vgpr16
.LBB56_2165:
	s_and_b32 vcc_lo, exec_lo, s16
	s_cbranch_vccz .LBB56_2169
; %bb.2166:
	s_cmp_eq_u32 s11, 44
	s_cbranch_scc0 .LBB56_2168
; %bb.2167:
	global_load_u8 v5, v[14:15], off
	s_mov_b32 s13, 0
	s_mov_b32 s15, -1
	s_wait_loadcnt 0x0
	v_lshlrev_b32_e32 v7, 23, v5
	v_cmp_ne_u32_e32 vcc_lo, 0xff, v5
	s_delay_alu instid0(VALU_DEP_2) | instskip(NEXT) | instid1(VALU_DEP_1)
	v_cvt_f16_f32_e32 v7, v7
	v_cndmask_b32_e32 v7, 0x7e00, v7, vcc_lo
	v_cmp_ne_u32_e32 vcc_lo, 0, v5
	s_wait_xcnt 0x1
	s_delay_alu instid0(VALU_DEP_2)
	v_cndmask_b32_e32 v16, 0, v7, vcc_lo
	s_branch .LBB56_2169
.LBB56_2168:
	s_mov_b32 s13, -1
                                        ; implicit-def: $vgpr16
.LBB56_2169:
	s_mov_b32 s16, 0
.LBB56_2170:
	s_delay_alu instid0(SALU_CYCLE_1)
	s_and_b32 vcc_lo, exec_lo, s16
	s_cbranch_vccz .LBB56_2174
; %bb.2171:
	s_cmp_eq_u32 s11, 29
	s_cbranch_scc0 .LBB56_2173
; %bb.2172:
	global_load_b64 v[16:17], v[14:15], off
	s_mov_b32 s13, 0
	s_mov_b32 s15, -1
	s_mov_b32 s16, 0
	s_wait_loadcnt 0x0
	v_clz_i32_u32_e32 v5, v17
	s_delay_alu instid0(VALU_DEP_1) | instskip(NEXT) | instid1(VALU_DEP_1)
	v_min_u32_e32 v5, 32, v5
	v_lshlrev_b64_e32 v[16:17], v5, v[16:17]
	v_sub_nc_u32_e32 v5, 32, v5
	s_delay_alu instid0(VALU_DEP_2) | instskip(NEXT) | instid1(VALU_DEP_1)
	v_min_u32_e32 v7, 1, v16
	v_or_b32_e32 v7, v17, v7
	s_delay_alu instid0(VALU_DEP_1) | instskip(NEXT) | instid1(VALU_DEP_1)
	v_cvt_f32_u32_e32 v7, v7
	v_ldexp_f32 v5, v7, v5
	s_delay_alu instid0(VALU_DEP_1)
	v_cvt_f16_f32_e32 v16, v5
	s_branch .LBB56_2175
.LBB56_2173:
	s_mov_b32 s13, -1
                                        ; implicit-def: $vgpr16
.LBB56_2174:
	s_mov_b32 s16, 0
.LBB56_2175:
	s_delay_alu instid0(SALU_CYCLE_1)
	s_and_b32 vcc_lo, exec_lo, s16
	s_cbranch_vccz .LBB56_2193
; %bb.2176:
	s_cmp_lt_i32 s11, 27
	s_cbranch_scc1 .LBB56_2179
; %bb.2177:
	s_cmp_gt_i32 s11, 27
	s_cbranch_scc0 .LBB56_2180
; %bb.2178:
	global_load_b32 v5, v[14:15], off
	s_mov_b32 s15, 0
	s_wait_loadcnt 0x0
	v_cvt_f32_u32_e32 v5, v5
	s_wait_xcnt 0x1
	s_delay_alu instid0(VALU_DEP_1)
	v_cvt_f16_f32_e32 v16, v5
	s_branch .LBB56_2181
.LBB56_2179:
	s_mov_b32 s15, -1
                                        ; implicit-def: $vgpr16
	s_branch .LBB56_2184
.LBB56_2180:
	s_mov_b32 s15, -1
                                        ; implicit-def: $vgpr16
.LBB56_2181:
	s_delay_alu instid0(SALU_CYCLE_1)
	s_and_not1_b32 vcc_lo, exec_lo, s15
	s_cbranch_vccnz .LBB56_2183
; %bb.2182:
	global_load_u16 v5, v[14:15], off
	s_wait_loadcnt 0x0
	s_wait_xcnt 0x1
	v_cvt_f16_u16_e32 v16, v5
.LBB56_2183:
	s_mov_b32 s15, 0
.LBB56_2184:
	s_delay_alu instid0(SALU_CYCLE_1)
	s_and_not1_b32 vcc_lo, exec_lo, s15
	s_cbranch_vccnz .LBB56_2192
; %bb.2185:
	global_load_u8 v5, v[14:15], off
	s_mov_b32 s15, 0
	s_mov_b32 s16, exec_lo
	s_wait_loadcnt 0x0
	v_cmpx_lt_i16_e32 0x7f, v5
	s_xor_b32 s16, exec_lo, s16
	s_cbranch_execz .LBB56_2206
; %bb.2186:
	s_mov_b32 s15, -1
	s_mov_b32 s17, exec_lo
	v_cmpx_eq_u16_e32 0x80, v5
; %bb.2187:
	s_xor_b32 s15, exec_lo, -1
; %bb.2188:
	s_or_b32 exec_lo, exec_lo, s17
	s_delay_alu instid0(SALU_CYCLE_1)
	s_and_b32 s15, s15, exec_lo
	s_or_saveexec_b32 s16, s16
	v_mov_b32_e32 v16, 0x7e00
	s_xor_b32 exec_lo, exec_lo, s16
	s_cbranch_execnz .LBB56_2207
.LBB56_2189:
	s_or_b32 exec_lo, exec_lo, s16
	s_and_saveexec_b32 s16, s15
	s_cbranch_execz .LBB56_2191
.LBB56_2190:
	v_and_b32_e32 v7, 0xffff, v5
	s_delay_alu instid0(VALU_DEP_1) | instskip(SKIP_1) | instid1(VALU_DEP_2)
	v_dual_lshlrev_b32 v5, 24, v5 :: v_dual_bitop2_b32 v9, 7, v7 bitop3:0x40
	v_bfe_u32 v16, v7, 3, 4
	v_and_b32_e32 v5, 0x80000000, v5
	s_delay_alu instid0(VALU_DEP_3) | instskip(NEXT) | instid1(VALU_DEP_3)
	v_clz_i32_u32_e32 v11, v9
	v_cmp_eq_u32_e32 vcc_lo, 0, v16
	s_delay_alu instid0(VALU_DEP_2) | instskip(NEXT) | instid1(VALU_DEP_1)
	v_min_u32_e32 v11, 32, v11
	v_subrev_nc_u32_e32 v13, 28, v11
	v_sub_nc_u32_e32 v11, 29, v11
	s_delay_alu instid0(VALU_DEP_2) | instskip(NEXT) | instid1(VALU_DEP_2)
	v_lshlrev_b32_e32 v7, v13, v7
	v_cndmask_b32_e32 v11, v16, v11, vcc_lo
	s_delay_alu instid0(VALU_DEP_2) | instskip(NEXT) | instid1(VALU_DEP_1)
	v_and_b32_e32 v7, 7, v7
	v_cndmask_b32_e32 v7, v9, v7, vcc_lo
	s_delay_alu instid0(VALU_DEP_3) | instskip(NEXT) | instid1(VALU_DEP_2)
	v_lshl_add_u32 v9, v11, 23, 0x3b800000
	v_lshlrev_b32_e32 v7, 20, v7
	s_delay_alu instid0(VALU_DEP_1) | instskip(NEXT) | instid1(VALU_DEP_1)
	v_or3_b32 v5, v5, v9, v7
	v_cvt_f16_f32_e32 v16, v5
.LBB56_2191:
	s_or_b32 exec_lo, exec_lo, s16
.LBB56_2192:
	s_mov_b32 s15, -1
.LBB56_2193:
	s_mov_b32 s16, 0
.LBB56_2194:
	s_delay_alu instid0(SALU_CYCLE_1)
	s_and_b32 vcc_lo, exec_lo, s16
	s_cbranch_vccz .LBB56_2227
; %bb.2195:
	s_cmp_gt_i32 s11, 22
	s_cbranch_scc0 .LBB56_2205
; %bb.2196:
	s_cmp_lt_i32 s11, 24
	s_cbranch_scc1 .LBB56_2208
; %bb.2197:
	s_cmp_gt_i32 s11, 24
	s_cbranch_scc0 .LBB56_2209
; %bb.2198:
	global_load_u8 v5, v[14:15], off
	s_mov_b32 s15, exec_lo
	s_wait_loadcnt 0x0
	v_cmpx_lt_i16_e32 0x7f, v5
	s_xor_b32 s15, exec_lo, s15
	s_cbranch_execz .LBB56_2221
; %bb.2199:
	s_mov_b32 s14, -1
	s_mov_b32 s16, exec_lo
	v_cmpx_eq_u16_e32 0x80, v5
; %bb.2200:
	s_xor_b32 s14, exec_lo, -1
; %bb.2201:
	s_or_b32 exec_lo, exec_lo, s16
	s_delay_alu instid0(SALU_CYCLE_1)
	s_and_b32 s14, s14, exec_lo
	s_or_saveexec_b32 s15, s15
	v_mov_b32_e32 v16, 0x7e00
	s_xor_b32 exec_lo, exec_lo, s15
	s_cbranch_execnz .LBB56_2222
.LBB56_2202:
	s_or_b32 exec_lo, exec_lo, s15
	s_and_saveexec_b32 s15, s14
	s_cbranch_execz .LBB56_2204
.LBB56_2203:
	v_and_b32_e32 v7, 0xffff, v5
	s_delay_alu instid0(VALU_DEP_1) | instskip(SKIP_1) | instid1(VALU_DEP_2)
	v_dual_lshlrev_b32 v5, 24, v5 :: v_dual_bitop2_b32 v9, 3, v7 bitop3:0x40
	v_bfe_u32 v16, v7, 2, 5
	v_and_b32_e32 v5, 0x80000000, v5
	s_delay_alu instid0(VALU_DEP_3) | instskip(NEXT) | instid1(VALU_DEP_3)
	v_clz_i32_u32_e32 v11, v9
	v_cmp_eq_u32_e32 vcc_lo, 0, v16
	s_delay_alu instid0(VALU_DEP_2) | instskip(NEXT) | instid1(VALU_DEP_1)
	v_min_u32_e32 v11, 32, v11
	v_subrev_nc_u32_e32 v13, 29, v11
	v_sub_nc_u32_e32 v11, 30, v11
	s_delay_alu instid0(VALU_DEP_2) | instskip(NEXT) | instid1(VALU_DEP_2)
	v_lshlrev_b32_e32 v7, v13, v7
	v_cndmask_b32_e32 v11, v16, v11, vcc_lo
	s_delay_alu instid0(VALU_DEP_2) | instskip(NEXT) | instid1(VALU_DEP_1)
	v_and_b32_e32 v7, 3, v7
	v_cndmask_b32_e32 v7, v9, v7, vcc_lo
	s_delay_alu instid0(VALU_DEP_3) | instskip(NEXT) | instid1(VALU_DEP_2)
	v_lshl_add_u32 v9, v11, 23, 0x37800000
	v_lshlrev_b32_e32 v7, 21, v7
	s_delay_alu instid0(VALU_DEP_1) | instskip(NEXT) | instid1(VALU_DEP_1)
	v_or3_b32 v5, v5, v9, v7
	v_cvt_f16_f32_e32 v16, v5
.LBB56_2204:
	s_or_b32 exec_lo, exec_lo, s15
	s_mov_b32 s14, 0
	s_branch .LBB56_2210
.LBB56_2205:
	s_mov_b32 s14, -1
                                        ; implicit-def: $vgpr16
	s_branch .LBB56_2216
.LBB56_2206:
	s_or_saveexec_b32 s16, s16
	v_mov_b32_e32 v16, 0x7e00
	s_xor_b32 exec_lo, exec_lo, s16
	s_cbranch_execz .LBB56_2189
.LBB56_2207:
	v_cmp_ne_u16_e32 vcc_lo, 0, v5
	v_mov_b32_e32 v16, v5
	s_and_not1_b32 s15, s15, exec_lo
	s_and_b32 s17, vcc_lo, exec_lo
	s_delay_alu instid0(SALU_CYCLE_1)
	s_or_b32 s15, s15, s17
	s_or_b32 exec_lo, exec_lo, s16
	s_and_saveexec_b32 s16, s15
	s_cbranch_execnz .LBB56_2190
	s_branch .LBB56_2191
.LBB56_2208:
	s_mov_b32 s14, -1
                                        ; implicit-def: $vgpr16
	s_branch .LBB56_2213
.LBB56_2209:
	s_mov_b32 s14, -1
                                        ; implicit-def: $vgpr16
.LBB56_2210:
	s_delay_alu instid0(SALU_CYCLE_1)
	s_and_b32 vcc_lo, exec_lo, s14
	s_cbranch_vccz .LBB56_2212
; %bb.2211:
	global_load_u8 v5, v[14:15], off
	s_wait_loadcnt 0x0
	v_lshlrev_b32_e32 v5, 24, v5
	s_delay_alu instid0(VALU_DEP_1) | instskip(NEXT) | instid1(VALU_DEP_1)
	v_and_b32_e32 v7, 0x7f000000, v5
	v_clz_i32_u32_e32 v9, v7
	v_add_nc_u32_e32 v13, 0x1000000, v7
	v_cmp_ne_u32_e32 vcc_lo, 0, v7
	s_delay_alu instid0(VALU_DEP_3) | instskip(NEXT) | instid1(VALU_DEP_1)
	v_min_u32_e32 v9, 32, v9
	v_sub_nc_u32_e64 v9, v9, 4 clamp
	s_delay_alu instid0(VALU_DEP_1) | instskip(NEXT) | instid1(VALU_DEP_1)
	v_dual_lshlrev_b32 v11, v9, v7 :: v_dual_lshlrev_b32 v9, 23, v9
	v_lshrrev_b32_e32 v11, 4, v11
	s_delay_alu instid0(VALU_DEP_1) | instskip(SKIP_1) | instid1(VALU_DEP_2)
	v_sub_nc_u32_e32 v9, v11, v9
	v_ashrrev_i32_e32 v11, 8, v13
	v_add_nc_u32_e32 v9, 0x3c000000, v9
	s_delay_alu instid0(VALU_DEP_1) | instskip(NEXT) | instid1(VALU_DEP_1)
	v_and_or_b32 v9, 0x7f800000, v11, v9
	v_cndmask_b32_e32 v7, 0, v9, vcc_lo
	s_delay_alu instid0(VALU_DEP_1) | instskip(SKIP_1) | instid1(VALU_DEP_1)
	v_and_or_b32 v5, 0x80000000, v5, v7
	s_wait_xcnt 0x1
	v_cvt_f16_f32_e32 v16, v5
.LBB56_2212:
	s_mov_b32 s14, 0
.LBB56_2213:
	s_delay_alu instid0(SALU_CYCLE_1)
	s_and_not1_b32 vcc_lo, exec_lo, s14
	s_cbranch_vccnz .LBB56_2215
; %bb.2214:
	global_load_u8 v5, v[14:15], off
	s_wait_loadcnt 0x0
	v_lshlrev_b32_e32 v7, 25, v5
	v_lshlrev_b16 v5, 8, v5
	s_delay_alu instid0(VALU_DEP_1) | instskip(SKIP_1) | instid1(VALU_DEP_2)
	v_and_or_b32 v11, 0x7f00, v5, 0.5
	v_bfe_i32 v5, v5, 0, 16
	v_add_f32_e32 v11, -0.5, v11
	v_lshrrev_b32_e32 v9, 4, v7
	v_cmp_gt_u32_e32 vcc_lo, 0x8000000, v7
	s_delay_alu instid0(VALU_DEP_2) | instskip(NEXT) | instid1(VALU_DEP_1)
	v_or_b32_e32 v9, 0x70000000, v9
	v_mul_f32_e32 v9, 0x7800000, v9
	s_delay_alu instid0(VALU_DEP_1) | instskip(NEXT) | instid1(VALU_DEP_1)
	v_cndmask_b32_e32 v7, v9, v11, vcc_lo
	v_and_or_b32 v5, 0x80000000, v5, v7
	s_wait_xcnt 0x1
	s_delay_alu instid0(VALU_DEP_1)
	v_cvt_f16_f32_e32 v16, v5
.LBB56_2215:
	s_mov_b32 s14, 0
	s_mov_b32 s15, -1
.LBB56_2216:
	s_and_not1_b32 vcc_lo, exec_lo, s14
	s_mov_b32 s14, 0
	s_cbranch_vccnz .LBB56_2227
; %bb.2217:
	s_cmp_gt_i32 s11, 14
	s_cbranch_scc0 .LBB56_2220
; %bb.2218:
	s_cmp_eq_u32 s11, 15
	s_cbranch_scc0 .LBB56_2223
; %bb.2219:
	global_load_u16 v5, v[14:15], off
	s_mov_b32 s13, 0
	s_mov_b32 s15, -1
	s_wait_loadcnt 0x0
	v_lshlrev_b32_e32 v5, 16, v5
	s_wait_xcnt 0x1
	s_delay_alu instid0(VALU_DEP_1)
	v_cvt_f16_f32_e32 v16, v5
	s_branch .LBB56_2225
.LBB56_2220:
	s_mov_b32 s14, -1
	s_branch .LBB56_2224
.LBB56_2221:
	s_or_saveexec_b32 s15, s15
	v_mov_b32_e32 v16, 0x7e00
	s_xor_b32 exec_lo, exec_lo, s15
	s_cbranch_execz .LBB56_2202
.LBB56_2222:
	v_cmp_ne_u16_e32 vcc_lo, 0, v5
	v_mov_b32_e32 v16, v5
	s_and_not1_b32 s14, s14, exec_lo
	s_and_b32 s16, vcc_lo, exec_lo
	s_delay_alu instid0(SALU_CYCLE_1)
	s_or_b32 s14, s14, s16
	s_or_b32 exec_lo, exec_lo, s15
	s_and_saveexec_b32 s15, s14
	s_cbranch_execnz .LBB56_2203
	s_branch .LBB56_2204
.LBB56_2223:
	s_mov_b32 s13, -1
.LBB56_2224:
                                        ; implicit-def: $vgpr16
.LBB56_2225:
	s_and_b32 vcc_lo, exec_lo, s14
	s_mov_b32 s14, 0
	s_cbranch_vccz .LBB56_2227
; %bb.2226:
	s_cmp_lg_u32 s11, 11
	s_mov_b32 s14, -1
	s_cselect_b32 s13, -1, 0
.LBB56_2227:
	s_delay_alu instid0(SALU_CYCLE_1)
	s_and_b32 vcc_lo, exec_lo, s13
	s_cbranch_vccnz .LBB56_2292
; %bb.2228:
	s_and_not1_b32 vcc_lo, exec_lo, s14
	s_cbranch_vccnz .LBB56_2230
.LBB56_2229:
	global_load_u8 v5, v[14:15], off
	s_mov_b32 s15, -1
	s_wait_loadcnt 0x0
	v_cmp_ne_u16_e32 vcc_lo, 0, v5
	s_wait_xcnt 0x1
	v_cndmask_b32_e64 v16, 0, 0x3c00, vcc_lo
.LBB56_2230:
	s_mov_b32 s13, 0
.LBB56_2231:
	s_delay_alu instid0(SALU_CYCLE_1)
	s_and_b32 vcc_lo, exec_lo, s13
	s_cbranch_vccz .LBB56_2280
; %bb.2232:
	s_cmp_lt_i32 s11, 5
	s_cbranch_scc1 .LBB56_2237
; %bb.2233:
	s_cmp_lt_i32 s11, 8
	s_cbranch_scc1 .LBB56_2238
	;; [unrolled: 3-line block ×3, first 2 shown]
; %bb.2235:
	s_cmp_gt_i32 s11, 9
	s_cbranch_scc0 .LBB56_2240
; %bb.2236:
	global_load_b64 v[16:17], v[14:15], off
	s_mov_b32 s13, 0
	s_wait_loadcnt 0x0
	v_and_or_b32 v5, 0x1ff, v17, v16
	v_lshrrev_b32_e32 v7, 8, v17
	v_bfe_u32 v9, v17, 20, 11
	s_delay_alu instid0(VALU_DEP_3) | instskip(NEXT) | instid1(VALU_DEP_2)
	v_cmp_ne_u32_e32 vcc_lo, 0, v5
	v_sub_nc_u32_e32 v11, 0x3f1, v9
	v_add_nc_u32_e32 v9, 0xfffffc10, v9
	v_cndmask_b32_e64 v5, 0, 1, vcc_lo
	s_delay_alu instid0(VALU_DEP_1) | instskip(NEXT) | instid1(VALU_DEP_4)
	v_and_or_b32 v5, 0xffe, v7, v5
	v_med3_i32 v7, v11, 0, 13
	s_delay_alu instid0(VALU_DEP_2) | instskip(NEXT) | instid1(VALU_DEP_1)
	v_or_b32_e32 v11, 0x1000, v5
	v_lshrrev_b32_e32 v13, v7, v11
	s_delay_alu instid0(VALU_DEP_1) | instskip(NEXT) | instid1(VALU_DEP_1)
	v_lshlrev_b32_e32 v7, v7, v13
	v_cmp_ne_u32_e32 vcc_lo, v7, v11
	v_lshl_or_b32 v11, v9, 12, v5
	v_cndmask_b32_e64 v7, 0, 1, vcc_lo
	v_cmp_gt_i32_e32 vcc_lo, 1, v9
	s_delay_alu instid0(VALU_DEP_2) | instskip(NEXT) | instid1(VALU_DEP_1)
	v_or_b32_e32 v7, v13, v7
	v_cndmask_b32_e32 v7, v11, v7, vcc_lo
	s_delay_alu instid0(VALU_DEP_1) | instskip(NEXT) | instid1(VALU_DEP_1)
	v_and_b32_e32 v11, 7, v7
	v_cmp_lt_i32_e32 vcc_lo, 5, v11
	v_cndmask_b32_e64 v13, 0, 1, vcc_lo
	v_cmp_eq_u32_e32 vcc_lo, 3, v11
	v_cndmask_b32_e64 v11, 0, 1, vcc_lo
	v_cmp_ne_u32_e32 vcc_lo, 0, v5
	s_delay_alu instid0(VALU_DEP_2) | instskip(SKIP_1) | instid1(VALU_DEP_2)
	v_dual_lshrrev_b32 v7, 2, v7 :: v_dual_bitop2_b32 v11, v11, v13 bitop3:0x54
	v_mov_b32_e32 v13, 0x7e00
	v_add_nc_u32_e32 v7, v7, v11
	s_delay_alu instid0(VALU_DEP_2) | instskip(SKIP_1) | instid1(VALU_DEP_3)
	v_cndmask_b32_e32 v5, 0x7c00, v13, vcc_lo
	v_cmp_gt_i32_e32 vcc_lo, 31, v9
	v_cndmask_b32_e32 v7, 0x7c00, v7, vcc_lo
	v_cmp_eq_u32_e32 vcc_lo, 0x40f, v9
	s_delay_alu instid0(VALU_DEP_2) | instskip(SKIP_1) | instid1(VALU_DEP_1)
	v_cndmask_b32_e32 v5, v7, v5, vcc_lo
	v_lshrrev_b32_e32 v7, 16, v17
	v_and_or_b32 v16, 0x8000, v7, v5
	s_branch .LBB56_2241
.LBB56_2237:
	s_mov_b32 s13, -1
                                        ; implicit-def: $vgpr16
	s_branch .LBB56_2259
.LBB56_2238:
	s_mov_b32 s13, -1
                                        ; implicit-def: $vgpr16
	s_branch .LBB56_2247
.LBB56_2239:
	s_mov_b32 s13, -1
                                        ; implicit-def: $vgpr16
	s_branch .LBB56_2244
.LBB56_2240:
	s_mov_b32 s13, -1
                                        ; implicit-def: $vgpr16
.LBB56_2241:
	s_delay_alu instid0(SALU_CYCLE_1)
	s_and_not1_b32 vcc_lo, exec_lo, s13
	s_cbranch_vccnz .LBB56_2243
; %bb.2242:
	global_load_b32 v5, v[14:15], off
	s_wait_loadcnt 0x0
	s_wait_xcnt 0x1
	v_cvt_f16_f32_e32 v16, v5
.LBB56_2243:
	s_mov_b32 s13, 0
.LBB56_2244:
	s_delay_alu instid0(SALU_CYCLE_1)
	s_and_not1_b32 vcc_lo, exec_lo, s13
	s_cbranch_vccnz .LBB56_2246
; %bb.2245:
	global_load_b32 v16, v[14:15], off
.LBB56_2246:
	s_mov_b32 s13, 0
.LBB56_2247:
	s_delay_alu instid0(SALU_CYCLE_1)
	s_and_not1_b32 vcc_lo, exec_lo, s13
	s_cbranch_vccnz .LBB56_2258
; %bb.2248:
	s_cmp_lt_i32 s11, 6
	s_cbranch_scc1 .LBB56_2251
; %bb.2249:
	s_cmp_gt_i32 s11, 6
	s_cbranch_scc0 .LBB56_2252
; %bb.2250:
	s_wait_loadcnt 0x0
	global_load_b64 v[16:17], v[14:15], off
	s_mov_b32 s13, 0
	s_wait_loadcnt 0x0
	v_and_or_b32 v5, 0x1ff, v17, v16
	v_lshrrev_b32_e32 v7, 8, v17
	v_bfe_u32 v9, v17, 20, 11
	s_delay_alu instid0(VALU_DEP_3) | instskip(NEXT) | instid1(VALU_DEP_2)
	v_cmp_ne_u32_e32 vcc_lo, 0, v5
	v_sub_nc_u32_e32 v11, 0x3f1, v9
	v_add_nc_u32_e32 v9, 0xfffffc10, v9
	v_cndmask_b32_e64 v5, 0, 1, vcc_lo
	s_delay_alu instid0(VALU_DEP_1) | instskip(NEXT) | instid1(VALU_DEP_4)
	v_and_or_b32 v5, 0xffe, v7, v5
	v_med3_i32 v7, v11, 0, 13
	s_delay_alu instid0(VALU_DEP_2) | instskip(NEXT) | instid1(VALU_DEP_1)
	v_or_b32_e32 v11, 0x1000, v5
	v_lshrrev_b32_e32 v13, v7, v11
	s_delay_alu instid0(VALU_DEP_1) | instskip(NEXT) | instid1(VALU_DEP_1)
	v_lshlrev_b32_e32 v7, v7, v13
	v_cmp_ne_u32_e32 vcc_lo, v7, v11
	v_lshl_or_b32 v11, v9, 12, v5
	v_cndmask_b32_e64 v7, 0, 1, vcc_lo
	v_cmp_gt_i32_e32 vcc_lo, 1, v9
	s_delay_alu instid0(VALU_DEP_2) | instskip(NEXT) | instid1(VALU_DEP_1)
	v_or_b32_e32 v7, v13, v7
	v_cndmask_b32_e32 v7, v11, v7, vcc_lo
	s_delay_alu instid0(VALU_DEP_1) | instskip(NEXT) | instid1(VALU_DEP_1)
	v_and_b32_e32 v11, 7, v7
	v_cmp_lt_i32_e32 vcc_lo, 5, v11
	v_cndmask_b32_e64 v13, 0, 1, vcc_lo
	v_cmp_eq_u32_e32 vcc_lo, 3, v11
	v_cndmask_b32_e64 v11, 0, 1, vcc_lo
	v_cmp_ne_u32_e32 vcc_lo, 0, v5
	s_delay_alu instid0(VALU_DEP_2) | instskip(SKIP_1) | instid1(VALU_DEP_2)
	v_dual_lshrrev_b32 v7, 2, v7 :: v_dual_bitop2_b32 v11, v11, v13 bitop3:0x54
	v_mov_b32_e32 v13, 0x7e00
	v_add_nc_u32_e32 v7, v7, v11
	s_delay_alu instid0(VALU_DEP_2) | instskip(SKIP_1) | instid1(VALU_DEP_3)
	v_cndmask_b32_e32 v5, 0x7c00, v13, vcc_lo
	v_cmp_gt_i32_e32 vcc_lo, 31, v9
	v_cndmask_b32_e32 v7, 0x7c00, v7, vcc_lo
	v_cmp_eq_u32_e32 vcc_lo, 0x40f, v9
	s_delay_alu instid0(VALU_DEP_2) | instskip(SKIP_1) | instid1(VALU_DEP_1)
	v_cndmask_b32_e32 v5, v7, v5, vcc_lo
	v_lshrrev_b32_e32 v7, 16, v17
	v_and_or_b32 v16, 0x8000, v7, v5
	s_branch .LBB56_2253
.LBB56_2251:
	s_mov_b32 s13, -1
                                        ; implicit-def: $vgpr16
	s_branch .LBB56_2256
.LBB56_2252:
	s_mov_b32 s13, -1
                                        ; implicit-def: $vgpr16
.LBB56_2253:
	s_delay_alu instid0(SALU_CYCLE_1)
	s_and_not1_b32 vcc_lo, exec_lo, s13
	s_cbranch_vccnz .LBB56_2255
; %bb.2254:
	global_load_b32 v5, v[14:15], off
	s_wait_loadcnt 0x0
	s_wait_xcnt 0x1
	v_cvt_f16_f32_e32 v16, v5
.LBB56_2255:
	s_mov_b32 s13, 0
.LBB56_2256:
	s_delay_alu instid0(SALU_CYCLE_1)
	s_and_not1_b32 vcc_lo, exec_lo, s13
	s_cbranch_vccnz .LBB56_2258
; %bb.2257:
	s_wait_loadcnt 0x0
	global_load_u16 v16, v[14:15], off
.LBB56_2258:
	s_mov_b32 s13, 0
.LBB56_2259:
	s_delay_alu instid0(SALU_CYCLE_1)
	s_and_not1_b32 vcc_lo, exec_lo, s13
	s_cbranch_vccnz .LBB56_2279
; %bb.2260:
	s_cmp_lt_i32 s11, 2
	s_cbranch_scc1 .LBB56_2264
; %bb.2261:
	s_cmp_lt_i32 s11, 3
	s_cbranch_scc1 .LBB56_2265
; %bb.2262:
	s_cmp_gt_i32 s11, 3
	s_cbranch_scc0 .LBB56_2266
; %bb.2263:
	s_wait_loadcnt 0x0
	global_load_b64 v[16:17], v[14:15], off
	s_mov_b32 s13, 0
	s_wait_loadcnt 0x0
	v_xor_b32_e32 v5, v16, v17
	v_cls_i32_e32 v7, v17
	s_delay_alu instid0(VALU_DEP_2) | instskip(NEXT) | instid1(VALU_DEP_1)
	v_ashrrev_i32_e32 v5, 31, v5
	v_add_nc_u32_e32 v5, 32, v5
	s_delay_alu instid0(VALU_DEP_1) | instskip(NEXT) | instid1(VALU_DEP_1)
	v_add_min_u32_e64 v5, v7, -1, v5
	v_lshlrev_b64_e32 v[16:17], v5, v[16:17]
	v_sub_nc_u32_e32 v5, 32, v5
	s_delay_alu instid0(VALU_DEP_2) | instskip(NEXT) | instid1(VALU_DEP_1)
	v_min_u32_e32 v7, 1, v16
	v_or_b32_e32 v7, v17, v7
	s_delay_alu instid0(VALU_DEP_1) | instskip(NEXT) | instid1(VALU_DEP_1)
	v_cvt_f32_i32_e32 v7, v7
	v_ldexp_f32 v5, v7, v5
	s_delay_alu instid0(VALU_DEP_1)
	v_cvt_f16_f32_e32 v16, v5
	s_branch .LBB56_2267
.LBB56_2264:
	s_mov_b32 s13, -1
                                        ; implicit-def: $vgpr16
	s_branch .LBB56_2273
.LBB56_2265:
	s_mov_b32 s13, -1
                                        ; implicit-def: $vgpr16
	s_branch .LBB56_2270
.LBB56_2266:
	s_mov_b32 s13, -1
                                        ; implicit-def: $vgpr16
.LBB56_2267:
	s_delay_alu instid0(SALU_CYCLE_1)
	s_and_not1_b32 vcc_lo, exec_lo, s13
	s_cbranch_vccnz .LBB56_2269
; %bb.2268:
	global_load_b32 v5, v[14:15], off
	s_wait_loadcnt 0x0
	v_cvt_f32_i32_e32 v5, v5
	s_wait_xcnt 0x1
	s_delay_alu instid0(VALU_DEP_1)
	v_cvt_f16_f32_e32 v16, v5
.LBB56_2269:
	s_mov_b32 s13, 0
.LBB56_2270:
	s_delay_alu instid0(SALU_CYCLE_1)
	s_and_not1_b32 vcc_lo, exec_lo, s13
	s_cbranch_vccnz .LBB56_2272
; %bb.2271:
	global_load_u16 v5, v[14:15], off
	s_wait_loadcnt 0x0
	s_wait_xcnt 0x1
	v_cvt_f16_i16_e32 v16, v5
.LBB56_2272:
	s_mov_b32 s13, 0
.LBB56_2273:
	s_delay_alu instid0(SALU_CYCLE_1)
	s_and_not1_b32 vcc_lo, exec_lo, s13
	s_cbranch_vccnz .LBB56_2279
; %bb.2274:
	s_cmp_gt_i32 s11, 0
	s_mov_b32 s13, 0
	s_cbranch_scc0 .LBB56_2276
; %bb.2275:
	global_load_i8 v5, v[14:15], off
	s_wait_loadcnt 0x0
	s_wait_xcnt 0x1
	v_cvt_f16_i16_e32 v16, v5
	s_branch .LBB56_2277
.LBB56_2276:
	s_mov_b32 s13, -1
                                        ; implicit-def: $vgpr16
.LBB56_2277:
	s_delay_alu instid0(SALU_CYCLE_1)
	s_and_not1_b32 vcc_lo, exec_lo, s13
	s_cbranch_vccnz .LBB56_2279
; %bb.2278:
	global_load_u8 v5, v[14:15], off
	s_wait_loadcnt 0x0
	s_wait_xcnt 0x1
	v_cvt_f16_u16_e32 v16, v5
.LBB56_2279:
	s_mov_b32 s15, -1
.LBB56_2280:
	s_delay_alu instid0(SALU_CYCLE_1)
	s_and_not1_b32 vcc_lo, exec_lo, s15
	s_cbranch_vccnz .LBB56_3106
; %bb.2281:
	v_mov_b32_e32 v13, 0
	s_cmp_lt_i32 s12, 11
	s_delay_alu instid0(VALU_DEP_1)
	v_add_nc_u64_e32 v[12:13], s[0:1], v[12:13]
	s_cbranch_scc1 .LBB56_2288
; %bb.2282:
	s_cmp_gt_i32 s12, 25
	s_mov_b32 s14, 0
	s_cbranch_scc0 .LBB56_2289
; %bb.2283:
	s_cmp_gt_i32 s12, 28
	s_cbranch_scc0 .LBB56_2290
; %bb.2284:
	s_cmp_gt_i32 s12, 43
	;; [unrolled: 3-line block ×3, first 2 shown]
	s_cbranch_scc0 .LBB56_2293
; %bb.2286:
	s_cmp_eq_u32 s12, 46
	s_mov_b32 s16, 0
	s_cbranch_scc0 .LBB56_2296
; %bb.2287:
	global_load_b32 v5, v[12:13], off
	s_mov_b32 s13, 0
	s_mov_b32 s15, -1
	s_wait_loadcnt 0x0
	v_lshlrev_b32_e32 v5, 16, v5
	s_wait_xcnt 0x1
	s_delay_alu instid0(VALU_DEP_1)
	v_cvt_f16_f32_e32 v14, v5
	s_branch .LBB56_2298
.LBB56_2288:
	s_mov_b32 s13, -1
	s_mov_b32 s15, 0
                                        ; implicit-def: $vgpr14
	s_branch .LBB56_2364
.LBB56_2289:
	s_mov_b32 s16, -1
	s_mov_b32 s15, 0
	s_mov_b32 s13, 0
                                        ; implicit-def: $vgpr14
	s_branch .LBB56_2327
.LBB56_2290:
	s_mov_b32 s16, -1
	s_mov_b32 s15, 0
	s_mov_b32 s13, 0
                                        ; implicit-def: $vgpr14
	s_branch .LBB56_2308
.LBB56_2291:
	s_mov_b32 s16, -1
	s_mov_b32 s15, 0
	s_mov_b32 s13, 0
                                        ; implicit-def: $vgpr14
	s_branch .LBB56_2303
.LBB56_2292:
	s_or_b32 s10, s10, exec_lo
	s_trap 2
	s_cbranch_execz .LBB56_2229
	s_branch .LBB56_2230
.LBB56_2293:
	s_mov_b32 s16, -1
	s_mov_b32 s15, 0
	s_mov_b32 s13, 0
	s_branch .LBB56_2297
.LBB56_2294:
	s_and_not1_saveexec_b32 s51, s51
	s_cbranch_execz .LBB56_1186
.LBB56_2295:
	v_add_f32_e64 v5, 0x42800000, |v4|
	s_and_not1_b32 s50, s50, exec_lo
	s_delay_alu instid0(VALU_DEP_1) | instskip(NEXT) | instid1(VALU_DEP_1)
	v_and_b32_e32 v5, 0xff, v5
	v_cmp_ne_u32_e32 vcc_lo, 0, v5
	s_and_b32 s52, vcc_lo, exec_lo
	s_delay_alu instid0(SALU_CYCLE_1)
	s_or_b32 s50, s50, s52
	s_or_b32 exec_lo, exec_lo, s51
	v_mov_b32_e32 v6, 0
	s_and_saveexec_b32 s51, s50
	s_cbranch_execnz .LBB56_1187
	s_branch .LBB56_1188
.LBB56_2296:
	s_mov_b32 s13, -1
	s_mov_b32 s15, 0
.LBB56_2297:
                                        ; implicit-def: $vgpr14
.LBB56_2298:
	s_and_b32 vcc_lo, exec_lo, s16
	s_cbranch_vccz .LBB56_2302
; %bb.2299:
	s_cmp_eq_u32 s12, 44
	s_cbranch_scc0 .LBB56_2301
; %bb.2300:
	global_load_u8 v5, v[12:13], off
	s_mov_b32 s13, 0
	s_mov_b32 s15, -1
	s_wait_loadcnt 0x0
	v_lshlrev_b32_e32 v7, 23, v5
	v_cmp_ne_u32_e32 vcc_lo, 0xff, v5
	s_delay_alu instid0(VALU_DEP_2) | instskip(NEXT) | instid1(VALU_DEP_1)
	v_cvt_f16_f32_e32 v7, v7
	v_cndmask_b32_e32 v7, 0x7e00, v7, vcc_lo
	v_cmp_ne_u32_e32 vcc_lo, 0, v5
	s_wait_xcnt 0x1
	s_delay_alu instid0(VALU_DEP_2)
	v_cndmask_b32_e32 v14, 0, v7, vcc_lo
	s_branch .LBB56_2302
.LBB56_2301:
	s_mov_b32 s13, -1
                                        ; implicit-def: $vgpr14
.LBB56_2302:
	s_mov_b32 s16, 0
.LBB56_2303:
	s_delay_alu instid0(SALU_CYCLE_1)
	s_and_b32 vcc_lo, exec_lo, s16
	s_cbranch_vccz .LBB56_2307
; %bb.2304:
	s_cmp_eq_u32 s12, 29
	s_cbranch_scc0 .LBB56_2306
; %bb.2305:
	global_load_b64 v[14:15], v[12:13], off
	s_mov_b32 s13, 0
	s_mov_b32 s15, -1
	s_mov_b32 s16, 0
	s_wait_loadcnt 0x0
	v_clz_i32_u32_e32 v5, v15
	s_delay_alu instid0(VALU_DEP_1) | instskip(NEXT) | instid1(VALU_DEP_1)
	v_min_u32_e32 v5, 32, v5
	v_lshlrev_b64_e32 v[14:15], v5, v[14:15]
	v_sub_nc_u32_e32 v5, 32, v5
	s_delay_alu instid0(VALU_DEP_2) | instskip(NEXT) | instid1(VALU_DEP_1)
	v_min_u32_e32 v7, 1, v14
	v_or_b32_e32 v7, v15, v7
	s_delay_alu instid0(VALU_DEP_1) | instskip(NEXT) | instid1(VALU_DEP_1)
	v_cvt_f32_u32_e32 v7, v7
	v_ldexp_f32 v5, v7, v5
	s_delay_alu instid0(VALU_DEP_1)
	v_cvt_f16_f32_e32 v14, v5
	s_branch .LBB56_2308
.LBB56_2306:
	s_mov_b32 s13, -1
                                        ; implicit-def: $vgpr14
.LBB56_2307:
	s_mov_b32 s16, 0
.LBB56_2308:
	s_delay_alu instid0(SALU_CYCLE_1)
	s_and_b32 vcc_lo, exec_lo, s16
	s_cbranch_vccz .LBB56_2326
; %bb.2309:
	s_cmp_lt_i32 s12, 27
	s_cbranch_scc1 .LBB56_2312
; %bb.2310:
	s_cmp_gt_i32 s12, 27
	s_cbranch_scc0 .LBB56_2313
; %bb.2311:
	global_load_b32 v5, v[12:13], off
	s_mov_b32 s15, 0
	s_wait_loadcnt 0x0
	v_cvt_f32_u32_e32 v5, v5
	s_wait_xcnt 0x1
	s_delay_alu instid0(VALU_DEP_1)
	v_cvt_f16_f32_e32 v14, v5
	s_branch .LBB56_2314
.LBB56_2312:
	s_mov_b32 s15, -1
                                        ; implicit-def: $vgpr14
	s_branch .LBB56_2317
.LBB56_2313:
	s_mov_b32 s15, -1
                                        ; implicit-def: $vgpr14
.LBB56_2314:
	s_delay_alu instid0(SALU_CYCLE_1)
	s_and_not1_b32 vcc_lo, exec_lo, s15
	s_cbranch_vccnz .LBB56_2316
; %bb.2315:
	global_load_u16 v5, v[12:13], off
	s_wait_loadcnt 0x0
	s_wait_xcnt 0x1
	v_cvt_f16_u16_e32 v14, v5
.LBB56_2316:
	s_mov_b32 s15, 0
.LBB56_2317:
	s_delay_alu instid0(SALU_CYCLE_1)
	s_and_not1_b32 vcc_lo, exec_lo, s15
	s_cbranch_vccnz .LBB56_2325
; %bb.2318:
	global_load_u8 v5, v[12:13], off
	s_mov_b32 s15, 0
	s_mov_b32 s16, exec_lo
	s_wait_loadcnt 0x0
	v_cmpx_lt_i16_e32 0x7f, v5
	s_xor_b32 s16, exec_lo, s16
	s_cbranch_execz .LBB56_2339
; %bb.2319:
	s_mov_b32 s15, -1
	s_mov_b32 s17, exec_lo
	v_cmpx_eq_u16_e32 0x80, v5
; %bb.2320:
	s_xor_b32 s15, exec_lo, -1
; %bb.2321:
	s_or_b32 exec_lo, exec_lo, s17
	s_delay_alu instid0(SALU_CYCLE_1)
	s_and_b32 s15, s15, exec_lo
	s_or_saveexec_b32 s16, s16
	v_mov_b32_e32 v14, 0x7e00
	s_xor_b32 exec_lo, exec_lo, s16
	s_cbranch_execnz .LBB56_2340
.LBB56_2322:
	s_or_b32 exec_lo, exec_lo, s16
	s_and_saveexec_b32 s16, s15
	s_cbranch_execz .LBB56_2324
.LBB56_2323:
	v_and_b32_e32 v7, 0xffff, v5
	s_delay_alu instid0(VALU_DEP_1) | instskip(SKIP_1) | instid1(VALU_DEP_2)
	v_dual_lshlrev_b32 v5, 24, v5 :: v_dual_bitop2_b32 v9, 7, v7 bitop3:0x40
	v_bfe_u32 v15, v7, 3, 4
	v_and_b32_e32 v5, 0x80000000, v5
	s_delay_alu instid0(VALU_DEP_3) | instskip(NEXT) | instid1(VALU_DEP_3)
	v_clz_i32_u32_e32 v11, v9
	v_cmp_eq_u32_e32 vcc_lo, 0, v15
	s_delay_alu instid0(VALU_DEP_2) | instskip(NEXT) | instid1(VALU_DEP_1)
	v_min_u32_e32 v11, 32, v11
	v_subrev_nc_u32_e32 v14, 28, v11
	v_sub_nc_u32_e32 v11, 29, v11
	s_delay_alu instid0(VALU_DEP_2) | instskip(NEXT) | instid1(VALU_DEP_2)
	v_lshlrev_b32_e32 v7, v14, v7
	v_cndmask_b32_e32 v11, v15, v11, vcc_lo
	s_delay_alu instid0(VALU_DEP_2) | instskip(NEXT) | instid1(VALU_DEP_1)
	v_and_b32_e32 v7, 7, v7
	v_cndmask_b32_e32 v7, v9, v7, vcc_lo
	s_delay_alu instid0(VALU_DEP_3) | instskip(NEXT) | instid1(VALU_DEP_2)
	v_lshl_add_u32 v9, v11, 23, 0x3b800000
	v_lshlrev_b32_e32 v7, 20, v7
	s_delay_alu instid0(VALU_DEP_1) | instskip(NEXT) | instid1(VALU_DEP_1)
	v_or3_b32 v5, v5, v9, v7
	v_cvt_f16_f32_e32 v14, v5
.LBB56_2324:
	s_or_b32 exec_lo, exec_lo, s16
.LBB56_2325:
	s_mov_b32 s15, -1
.LBB56_2326:
	s_mov_b32 s16, 0
.LBB56_2327:
	s_delay_alu instid0(SALU_CYCLE_1)
	s_and_b32 vcc_lo, exec_lo, s16
	s_cbranch_vccz .LBB56_2360
; %bb.2328:
	s_cmp_gt_i32 s12, 22
	s_cbranch_scc0 .LBB56_2338
; %bb.2329:
	s_cmp_lt_i32 s12, 24
	s_cbranch_scc1 .LBB56_2341
; %bb.2330:
	s_cmp_gt_i32 s12, 24
	s_cbranch_scc0 .LBB56_2342
; %bb.2331:
	global_load_u8 v5, v[12:13], off
	s_mov_b32 s15, exec_lo
	s_wait_loadcnt 0x0
	v_cmpx_lt_i16_e32 0x7f, v5
	s_xor_b32 s15, exec_lo, s15
	s_cbranch_execz .LBB56_2354
; %bb.2332:
	s_mov_b32 s14, -1
	s_mov_b32 s16, exec_lo
	v_cmpx_eq_u16_e32 0x80, v5
; %bb.2333:
	s_xor_b32 s14, exec_lo, -1
; %bb.2334:
	s_or_b32 exec_lo, exec_lo, s16
	s_delay_alu instid0(SALU_CYCLE_1)
	s_and_b32 s14, s14, exec_lo
	s_or_saveexec_b32 s15, s15
	v_mov_b32_e32 v14, 0x7e00
	s_xor_b32 exec_lo, exec_lo, s15
	s_cbranch_execnz .LBB56_2355
.LBB56_2335:
	s_or_b32 exec_lo, exec_lo, s15
	s_and_saveexec_b32 s15, s14
	s_cbranch_execz .LBB56_2337
.LBB56_2336:
	v_and_b32_e32 v7, 0xffff, v5
	s_delay_alu instid0(VALU_DEP_1) | instskip(SKIP_1) | instid1(VALU_DEP_2)
	v_dual_lshlrev_b32 v5, 24, v5 :: v_dual_bitop2_b32 v9, 3, v7 bitop3:0x40
	v_bfe_u32 v15, v7, 2, 5
	v_and_b32_e32 v5, 0x80000000, v5
	s_delay_alu instid0(VALU_DEP_3) | instskip(NEXT) | instid1(VALU_DEP_3)
	v_clz_i32_u32_e32 v11, v9
	v_cmp_eq_u32_e32 vcc_lo, 0, v15
	s_delay_alu instid0(VALU_DEP_2) | instskip(NEXT) | instid1(VALU_DEP_1)
	v_min_u32_e32 v11, 32, v11
	v_subrev_nc_u32_e32 v14, 29, v11
	v_sub_nc_u32_e32 v11, 30, v11
	s_delay_alu instid0(VALU_DEP_2) | instskip(NEXT) | instid1(VALU_DEP_2)
	v_lshlrev_b32_e32 v7, v14, v7
	v_cndmask_b32_e32 v11, v15, v11, vcc_lo
	s_delay_alu instid0(VALU_DEP_2) | instskip(NEXT) | instid1(VALU_DEP_1)
	v_and_b32_e32 v7, 3, v7
	v_cndmask_b32_e32 v7, v9, v7, vcc_lo
	s_delay_alu instid0(VALU_DEP_3) | instskip(NEXT) | instid1(VALU_DEP_2)
	v_lshl_add_u32 v9, v11, 23, 0x37800000
	v_lshlrev_b32_e32 v7, 21, v7
	s_delay_alu instid0(VALU_DEP_1) | instskip(NEXT) | instid1(VALU_DEP_1)
	v_or3_b32 v5, v5, v9, v7
	v_cvt_f16_f32_e32 v14, v5
.LBB56_2337:
	s_or_b32 exec_lo, exec_lo, s15
	s_mov_b32 s14, 0
	s_branch .LBB56_2343
.LBB56_2338:
	s_mov_b32 s14, -1
                                        ; implicit-def: $vgpr14
	s_branch .LBB56_2349
.LBB56_2339:
	s_or_saveexec_b32 s16, s16
	v_mov_b32_e32 v14, 0x7e00
	s_xor_b32 exec_lo, exec_lo, s16
	s_cbranch_execz .LBB56_2322
.LBB56_2340:
	v_cmp_ne_u16_e32 vcc_lo, 0, v5
	v_mov_b32_e32 v14, v5
	s_and_not1_b32 s15, s15, exec_lo
	s_and_b32 s17, vcc_lo, exec_lo
	s_delay_alu instid0(SALU_CYCLE_1)
	s_or_b32 s15, s15, s17
	s_or_b32 exec_lo, exec_lo, s16
	s_and_saveexec_b32 s16, s15
	s_cbranch_execnz .LBB56_2323
	s_branch .LBB56_2324
.LBB56_2341:
	s_mov_b32 s14, -1
                                        ; implicit-def: $vgpr14
	s_branch .LBB56_2346
.LBB56_2342:
	s_mov_b32 s14, -1
                                        ; implicit-def: $vgpr14
.LBB56_2343:
	s_delay_alu instid0(SALU_CYCLE_1)
	s_and_b32 vcc_lo, exec_lo, s14
	s_cbranch_vccz .LBB56_2345
; %bb.2344:
	global_load_u8 v5, v[12:13], off
	s_wait_loadcnt 0x0
	v_lshlrev_b32_e32 v5, 24, v5
	s_delay_alu instid0(VALU_DEP_1) | instskip(NEXT) | instid1(VALU_DEP_1)
	v_and_b32_e32 v7, 0x7f000000, v5
	v_clz_i32_u32_e32 v9, v7
	v_cmp_ne_u32_e32 vcc_lo, 0, v7
	s_wait_xcnt 0x1
	v_add_nc_u32_e32 v14, 0x1000000, v7
	s_delay_alu instid0(VALU_DEP_3) | instskip(NEXT) | instid1(VALU_DEP_1)
	v_min_u32_e32 v9, 32, v9
	v_sub_nc_u32_e64 v9, v9, 4 clamp
	s_delay_alu instid0(VALU_DEP_1) | instskip(NEXT) | instid1(VALU_DEP_1)
	v_dual_lshlrev_b32 v11, v9, v7 :: v_dual_lshlrev_b32 v9, 23, v9
	v_lshrrev_b32_e32 v11, 4, v11
	s_delay_alu instid0(VALU_DEP_1) | instskip(NEXT) | instid1(VALU_DEP_1)
	v_dual_sub_nc_u32 v9, v11, v9 :: v_dual_ashrrev_i32 v11, 8, v14
	v_add_nc_u32_e32 v9, 0x3c000000, v9
	s_delay_alu instid0(VALU_DEP_1) | instskip(NEXT) | instid1(VALU_DEP_1)
	v_and_or_b32 v9, 0x7f800000, v11, v9
	v_cndmask_b32_e32 v7, 0, v9, vcc_lo
	s_delay_alu instid0(VALU_DEP_1) | instskip(NEXT) | instid1(VALU_DEP_1)
	v_and_or_b32 v5, 0x80000000, v5, v7
	v_cvt_f16_f32_e32 v14, v5
.LBB56_2345:
	s_mov_b32 s14, 0
.LBB56_2346:
	s_delay_alu instid0(SALU_CYCLE_1)
	s_and_not1_b32 vcc_lo, exec_lo, s14
	s_cbranch_vccnz .LBB56_2348
; %bb.2347:
	global_load_u8 v5, v[12:13], off
	s_wait_loadcnt 0x0
	v_lshlrev_b32_e32 v7, 25, v5
	v_lshlrev_b16 v5, 8, v5
	s_delay_alu instid0(VALU_DEP_1) | instskip(SKIP_1) | instid1(VALU_DEP_2)
	v_and_or_b32 v11, 0x7f00, v5, 0.5
	v_bfe_i32 v5, v5, 0, 16
	v_add_f32_e32 v11, -0.5, v11
	v_lshrrev_b32_e32 v9, 4, v7
	v_cmp_gt_u32_e32 vcc_lo, 0x8000000, v7
	s_delay_alu instid0(VALU_DEP_2) | instskip(NEXT) | instid1(VALU_DEP_1)
	v_or_b32_e32 v9, 0x70000000, v9
	v_mul_f32_e32 v9, 0x7800000, v9
	s_delay_alu instid0(VALU_DEP_1) | instskip(NEXT) | instid1(VALU_DEP_1)
	v_cndmask_b32_e32 v7, v9, v11, vcc_lo
	v_and_or_b32 v5, 0x80000000, v5, v7
	s_wait_xcnt 0x1
	s_delay_alu instid0(VALU_DEP_1)
	v_cvt_f16_f32_e32 v14, v5
.LBB56_2348:
	s_mov_b32 s14, 0
	s_mov_b32 s15, -1
.LBB56_2349:
	s_and_not1_b32 vcc_lo, exec_lo, s14
	s_mov_b32 s14, 0
	s_cbranch_vccnz .LBB56_2360
; %bb.2350:
	s_cmp_gt_i32 s12, 14
	s_cbranch_scc0 .LBB56_2353
; %bb.2351:
	s_cmp_eq_u32 s12, 15
	s_cbranch_scc0 .LBB56_2356
; %bb.2352:
	global_load_u16 v5, v[12:13], off
	s_mov_b32 s13, 0
	s_mov_b32 s15, -1
	s_wait_loadcnt 0x0
	v_lshlrev_b32_e32 v5, 16, v5
	s_wait_xcnt 0x1
	s_delay_alu instid0(VALU_DEP_1)
	v_cvt_f16_f32_e32 v14, v5
	s_branch .LBB56_2358
.LBB56_2353:
	s_mov_b32 s14, -1
	s_branch .LBB56_2357
.LBB56_2354:
	s_or_saveexec_b32 s15, s15
	v_mov_b32_e32 v14, 0x7e00
	s_xor_b32 exec_lo, exec_lo, s15
	s_cbranch_execz .LBB56_2335
.LBB56_2355:
	v_cmp_ne_u16_e32 vcc_lo, 0, v5
	v_mov_b32_e32 v14, v5
	s_and_not1_b32 s14, s14, exec_lo
	s_and_b32 s16, vcc_lo, exec_lo
	s_delay_alu instid0(SALU_CYCLE_1)
	s_or_b32 s14, s14, s16
	s_or_b32 exec_lo, exec_lo, s15
	s_and_saveexec_b32 s15, s14
	s_cbranch_execnz .LBB56_2336
	s_branch .LBB56_2337
.LBB56_2356:
	s_mov_b32 s13, -1
.LBB56_2357:
                                        ; implicit-def: $vgpr14
.LBB56_2358:
	s_and_b32 vcc_lo, exec_lo, s14
	s_mov_b32 s14, 0
	s_cbranch_vccz .LBB56_2360
; %bb.2359:
	s_cmp_lg_u32 s12, 11
	s_mov_b32 s14, -1
	s_cselect_b32 s13, -1, 0
.LBB56_2360:
	s_delay_alu instid0(SALU_CYCLE_1)
	s_and_b32 vcc_lo, exec_lo, s13
	s_cbranch_vccnz .LBB56_2425
; %bb.2361:
	s_and_not1_b32 vcc_lo, exec_lo, s14
	s_cbranch_vccnz .LBB56_2363
.LBB56_2362:
	global_load_u8 v5, v[12:13], off
	s_mov_b32 s15, -1
	s_wait_loadcnt 0x0
	v_cmp_ne_u16_e32 vcc_lo, 0, v5
	s_wait_xcnt 0x1
	v_cndmask_b32_e64 v14, 0, 0x3c00, vcc_lo
.LBB56_2363:
	s_mov_b32 s13, 0
.LBB56_2364:
	s_delay_alu instid0(SALU_CYCLE_1)
	s_and_b32 vcc_lo, exec_lo, s13
	s_cbranch_vccz .LBB56_2413
; %bb.2365:
	s_cmp_lt_i32 s12, 5
	s_cbranch_scc1 .LBB56_2370
; %bb.2366:
	s_cmp_lt_i32 s12, 8
	s_cbranch_scc1 .LBB56_2371
	;; [unrolled: 3-line block ×3, first 2 shown]
; %bb.2368:
	s_cmp_gt_i32 s12, 9
	s_cbranch_scc0 .LBB56_2373
; %bb.2369:
	global_load_b64 v[14:15], v[12:13], off
	s_mov_b32 s13, 0
	s_wait_loadcnt 0x0
	v_and_or_b32 v5, 0x1ff, v15, v14
	v_lshrrev_b32_e32 v7, 8, v15
	v_bfe_u32 v9, v15, 20, 11
	s_delay_alu instid0(VALU_DEP_3) | instskip(NEXT) | instid1(VALU_DEP_2)
	v_cmp_ne_u32_e32 vcc_lo, 0, v5
	v_sub_nc_u32_e32 v11, 0x3f1, v9
	v_add_nc_u32_e32 v9, 0xfffffc10, v9
	v_cndmask_b32_e64 v5, 0, 1, vcc_lo
	s_delay_alu instid0(VALU_DEP_1) | instskip(NEXT) | instid1(VALU_DEP_4)
	v_and_or_b32 v5, 0xffe, v7, v5
	v_med3_i32 v7, v11, 0, 13
	s_delay_alu instid0(VALU_DEP_2) | instskip(NEXT) | instid1(VALU_DEP_1)
	v_or_b32_e32 v11, 0x1000, v5
	v_lshrrev_b32_e32 v14, v7, v11
	s_delay_alu instid0(VALU_DEP_1) | instskip(NEXT) | instid1(VALU_DEP_1)
	v_lshlrev_b32_e32 v7, v7, v14
	v_cmp_ne_u32_e32 vcc_lo, v7, v11
	v_lshl_or_b32 v11, v9, 12, v5
	v_cndmask_b32_e64 v7, 0, 1, vcc_lo
	v_cmp_gt_i32_e32 vcc_lo, 1, v9
	s_delay_alu instid0(VALU_DEP_2) | instskip(NEXT) | instid1(VALU_DEP_1)
	v_or_b32_e32 v7, v14, v7
	v_cndmask_b32_e32 v7, v11, v7, vcc_lo
	s_delay_alu instid0(VALU_DEP_1) | instskip(NEXT) | instid1(VALU_DEP_1)
	v_dual_lshrrev_b32 v7, 2, v7 :: v_dual_bitop2_b32 v11, 7, v7 bitop3:0x40
	v_cmp_lt_i32_e32 vcc_lo, 5, v11
	v_cndmask_b32_e64 v14, 0, 1, vcc_lo
	v_cmp_eq_u32_e32 vcc_lo, 3, v11
	v_cndmask_b32_e64 v11, 0, 1, vcc_lo
	v_cmp_ne_u32_e32 vcc_lo, 0, v5
	s_delay_alu instid0(VALU_DEP_2) | instskip(NEXT) | instid1(VALU_DEP_1)
	v_or_b32_e32 v11, v11, v14
	v_dual_mov_b32 v14, 0x7e00 :: v_dual_add_nc_u32 v7, v7, v11
	s_delay_alu instid0(VALU_DEP_1) | instskip(SKIP_1) | instid1(VALU_DEP_3)
	v_cndmask_b32_e32 v5, 0x7c00, v14, vcc_lo
	v_cmp_gt_i32_e32 vcc_lo, 31, v9
	v_cndmask_b32_e32 v7, 0x7c00, v7, vcc_lo
	v_cmp_eq_u32_e32 vcc_lo, 0x40f, v9
	s_delay_alu instid0(VALU_DEP_2) | instskip(NEXT) | instid1(VALU_DEP_1)
	v_dual_cndmask_b32 v5, v7, v5, vcc_lo :: v_dual_lshrrev_b32 v7, 16, v15
	v_and_or_b32 v14, 0x8000, v7, v5
	s_branch .LBB56_2374
.LBB56_2370:
	s_mov_b32 s13, -1
                                        ; implicit-def: $vgpr14
	s_branch .LBB56_2392
.LBB56_2371:
	s_mov_b32 s13, -1
                                        ; implicit-def: $vgpr14
	s_branch .LBB56_2380
.LBB56_2372:
	s_mov_b32 s13, -1
                                        ; implicit-def: $vgpr14
	s_branch .LBB56_2377
.LBB56_2373:
	s_mov_b32 s13, -1
                                        ; implicit-def: $vgpr14
.LBB56_2374:
	s_delay_alu instid0(SALU_CYCLE_1)
	s_and_not1_b32 vcc_lo, exec_lo, s13
	s_cbranch_vccnz .LBB56_2376
; %bb.2375:
	global_load_b32 v5, v[12:13], off
	s_wait_loadcnt 0x0
	s_wait_xcnt 0x1
	v_cvt_f16_f32_e32 v14, v5
.LBB56_2376:
	s_mov_b32 s13, 0
.LBB56_2377:
	s_delay_alu instid0(SALU_CYCLE_1)
	s_and_not1_b32 vcc_lo, exec_lo, s13
	s_cbranch_vccnz .LBB56_2379
; %bb.2378:
	global_load_b32 v14, v[12:13], off
.LBB56_2379:
	s_mov_b32 s13, 0
.LBB56_2380:
	s_delay_alu instid0(SALU_CYCLE_1)
	s_and_not1_b32 vcc_lo, exec_lo, s13
	s_cbranch_vccnz .LBB56_2391
; %bb.2381:
	s_cmp_lt_i32 s12, 6
	s_cbranch_scc1 .LBB56_2384
; %bb.2382:
	s_cmp_gt_i32 s12, 6
	s_cbranch_scc0 .LBB56_2385
; %bb.2383:
	s_wait_loadcnt 0x0
	global_load_b64 v[14:15], v[12:13], off
	s_mov_b32 s13, 0
	s_wait_loadcnt 0x0
	v_and_or_b32 v5, 0x1ff, v15, v14
	v_lshrrev_b32_e32 v7, 8, v15
	v_bfe_u32 v9, v15, 20, 11
	s_delay_alu instid0(VALU_DEP_3) | instskip(NEXT) | instid1(VALU_DEP_2)
	v_cmp_ne_u32_e32 vcc_lo, 0, v5
	v_sub_nc_u32_e32 v11, 0x3f1, v9
	v_add_nc_u32_e32 v9, 0xfffffc10, v9
	v_cndmask_b32_e64 v5, 0, 1, vcc_lo
	s_delay_alu instid0(VALU_DEP_1) | instskip(NEXT) | instid1(VALU_DEP_4)
	v_and_or_b32 v5, 0xffe, v7, v5
	v_med3_i32 v7, v11, 0, 13
	s_delay_alu instid0(VALU_DEP_2) | instskip(NEXT) | instid1(VALU_DEP_1)
	v_or_b32_e32 v11, 0x1000, v5
	v_lshrrev_b32_e32 v14, v7, v11
	s_delay_alu instid0(VALU_DEP_1) | instskip(NEXT) | instid1(VALU_DEP_1)
	v_lshlrev_b32_e32 v7, v7, v14
	v_cmp_ne_u32_e32 vcc_lo, v7, v11
	v_lshl_or_b32 v11, v9, 12, v5
	v_cndmask_b32_e64 v7, 0, 1, vcc_lo
	v_cmp_gt_i32_e32 vcc_lo, 1, v9
	s_delay_alu instid0(VALU_DEP_2) | instskip(NEXT) | instid1(VALU_DEP_1)
	v_or_b32_e32 v7, v14, v7
	v_cndmask_b32_e32 v7, v11, v7, vcc_lo
	s_delay_alu instid0(VALU_DEP_1) | instskip(NEXT) | instid1(VALU_DEP_1)
	v_dual_lshrrev_b32 v7, 2, v7 :: v_dual_bitop2_b32 v11, 7, v7 bitop3:0x40
	v_cmp_lt_i32_e32 vcc_lo, 5, v11
	v_cndmask_b32_e64 v14, 0, 1, vcc_lo
	v_cmp_eq_u32_e32 vcc_lo, 3, v11
	v_cndmask_b32_e64 v11, 0, 1, vcc_lo
	v_cmp_ne_u32_e32 vcc_lo, 0, v5
	s_delay_alu instid0(VALU_DEP_2) | instskip(NEXT) | instid1(VALU_DEP_1)
	v_or_b32_e32 v11, v11, v14
	v_dual_mov_b32 v14, 0x7e00 :: v_dual_add_nc_u32 v7, v7, v11
	s_delay_alu instid0(VALU_DEP_1) | instskip(SKIP_1) | instid1(VALU_DEP_3)
	v_cndmask_b32_e32 v5, 0x7c00, v14, vcc_lo
	v_cmp_gt_i32_e32 vcc_lo, 31, v9
	v_cndmask_b32_e32 v7, 0x7c00, v7, vcc_lo
	v_cmp_eq_u32_e32 vcc_lo, 0x40f, v9
	s_delay_alu instid0(VALU_DEP_2) | instskip(NEXT) | instid1(VALU_DEP_1)
	v_dual_cndmask_b32 v5, v7, v5, vcc_lo :: v_dual_lshrrev_b32 v7, 16, v15
	v_and_or_b32 v14, 0x8000, v7, v5
	s_branch .LBB56_2386
.LBB56_2384:
	s_mov_b32 s13, -1
                                        ; implicit-def: $vgpr14
	s_branch .LBB56_2389
.LBB56_2385:
	s_mov_b32 s13, -1
                                        ; implicit-def: $vgpr14
.LBB56_2386:
	s_delay_alu instid0(SALU_CYCLE_1)
	s_and_not1_b32 vcc_lo, exec_lo, s13
	s_cbranch_vccnz .LBB56_2388
; %bb.2387:
	global_load_b32 v5, v[12:13], off
	s_wait_loadcnt 0x0
	s_wait_xcnt 0x1
	v_cvt_f16_f32_e32 v14, v5
.LBB56_2388:
	s_mov_b32 s13, 0
.LBB56_2389:
	s_delay_alu instid0(SALU_CYCLE_1)
	s_and_not1_b32 vcc_lo, exec_lo, s13
	s_cbranch_vccnz .LBB56_2391
; %bb.2390:
	s_wait_loadcnt 0x0
	global_load_u16 v14, v[12:13], off
.LBB56_2391:
	s_mov_b32 s13, 0
.LBB56_2392:
	s_delay_alu instid0(SALU_CYCLE_1)
	s_and_not1_b32 vcc_lo, exec_lo, s13
	s_cbranch_vccnz .LBB56_2412
; %bb.2393:
	s_cmp_lt_i32 s12, 2
	s_cbranch_scc1 .LBB56_2397
; %bb.2394:
	s_cmp_lt_i32 s12, 3
	s_cbranch_scc1 .LBB56_2398
; %bb.2395:
	s_cmp_gt_i32 s12, 3
	s_cbranch_scc0 .LBB56_2399
; %bb.2396:
	s_wait_loadcnt 0x0
	global_load_b64 v[14:15], v[12:13], off
	s_mov_b32 s13, 0
	s_wait_loadcnt 0x0
	v_xor_b32_e32 v5, v14, v15
	v_cls_i32_e32 v7, v15
	s_delay_alu instid0(VALU_DEP_2) | instskip(NEXT) | instid1(VALU_DEP_1)
	v_ashrrev_i32_e32 v5, 31, v5
	v_add_nc_u32_e32 v5, 32, v5
	s_delay_alu instid0(VALU_DEP_1) | instskip(NEXT) | instid1(VALU_DEP_1)
	v_add_min_u32_e64 v5, v7, -1, v5
	v_lshlrev_b64_e32 v[14:15], v5, v[14:15]
	v_sub_nc_u32_e32 v5, 32, v5
	s_delay_alu instid0(VALU_DEP_2) | instskip(NEXT) | instid1(VALU_DEP_1)
	v_min_u32_e32 v7, 1, v14
	v_or_b32_e32 v7, v15, v7
	s_delay_alu instid0(VALU_DEP_1) | instskip(NEXT) | instid1(VALU_DEP_1)
	v_cvt_f32_i32_e32 v7, v7
	v_ldexp_f32 v5, v7, v5
	s_delay_alu instid0(VALU_DEP_1)
	v_cvt_f16_f32_e32 v14, v5
	s_branch .LBB56_2400
.LBB56_2397:
	s_mov_b32 s13, -1
                                        ; implicit-def: $vgpr14
	s_branch .LBB56_2406
.LBB56_2398:
	s_mov_b32 s13, -1
                                        ; implicit-def: $vgpr14
	s_branch .LBB56_2403
.LBB56_2399:
	s_mov_b32 s13, -1
                                        ; implicit-def: $vgpr14
.LBB56_2400:
	s_delay_alu instid0(SALU_CYCLE_1)
	s_and_not1_b32 vcc_lo, exec_lo, s13
	s_cbranch_vccnz .LBB56_2402
; %bb.2401:
	global_load_b32 v5, v[12:13], off
	s_wait_loadcnt 0x0
	v_cvt_f32_i32_e32 v5, v5
	s_wait_xcnt 0x1
	s_delay_alu instid0(VALU_DEP_1)
	v_cvt_f16_f32_e32 v14, v5
.LBB56_2402:
	s_mov_b32 s13, 0
.LBB56_2403:
	s_delay_alu instid0(SALU_CYCLE_1)
	s_and_not1_b32 vcc_lo, exec_lo, s13
	s_cbranch_vccnz .LBB56_2405
; %bb.2404:
	global_load_u16 v5, v[12:13], off
	s_wait_loadcnt 0x0
	s_wait_xcnt 0x1
	v_cvt_f16_i16_e32 v14, v5
.LBB56_2405:
	s_mov_b32 s13, 0
.LBB56_2406:
	s_delay_alu instid0(SALU_CYCLE_1)
	s_and_not1_b32 vcc_lo, exec_lo, s13
	s_cbranch_vccnz .LBB56_2412
; %bb.2407:
	s_cmp_gt_i32 s12, 0
	s_mov_b32 s13, 0
	s_cbranch_scc0 .LBB56_2409
; %bb.2408:
	global_load_i8 v5, v[12:13], off
	s_wait_loadcnt 0x0
	s_wait_xcnt 0x1
	v_cvt_f16_i16_e32 v14, v5
	s_branch .LBB56_2410
.LBB56_2409:
	s_mov_b32 s13, -1
                                        ; implicit-def: $vgpr14
.LBB56_2410:
	s_delay_alu instid0(SALU_CYCLE_1)
	s_and_not1_b32 vcc_lo, exec_lo, s13
	s_cbranch_vccnz .LBB56_2412
; %bb.2411:
	global_load_u8 v5, v[12:13], off
	s_wait_loadcnt 0x0
	s_wait_xcnt 0x1
	v_cvt_f16_u16_e32 v14, v5
.LBB56_2412:
	s_mov_b32 s15, -1
.LBB56_2413:
	s_delay_alu instid0(SALU_CYCLE_1)
	s_and_not1_b32 vcc_lo, exec_lo, s15
	s_cbranch_vccnz .LBB56_3106
; %bb.2414:
	v_mov_b32_e32 v11, 0
	s_cmp_lt_i32 s11, 11
	s_delay_alu instid0(VALU_DEP_1)
	v_add_nc_u64_e32 v[10:11], s[6:7], v[10:11]
	s_cbranch_scc1 .LBB56_2421
; %bb.2415:
	s_cmp_gt_i32 s11, 25
	s_mov_b32 s7, 0
	s_cbranch_scc0 .LBB56_2422
; %bb.2416:
	s_cmp_gt_i32 s11, 28
	s_cbranch_scc0 .LBB56_2423
; %bb.2417:
	s_cmp_gt_i32 s11, 43
	;; [unrolled: 3-line block ×3, first 2 shown]
	s_cbranch_scc0 .LBB56_2426
; %bb.2419:
	s_cmp_eq_u32 s11, 46
	s_mov_b32 s14, 0
	s_cbranch_scc0 .LBB56_2427
; %bb.2420:
	global_load_b32 v5, v[10:11], off
	s_mov_b32 s6, 0
	s_mov_b32 s13, -1
	s_wait_loadcnt 0x0
	v_lshlrev_b32_e32 v5, 16, v5
	s_wait_xcnt 0x1
	s_delay_alu instid0(VALU_DEP_1)
	v_cvt_f16_f32_e32 v12, v5
	s_branch .LBB56_2429
.LBB56_2421:
	s_mov_b32 s6, -1
	s_mov_b32 s13, 0
                                        ; implicit-def: $vgpr12
	s_branch .LBB56_2495
.LBB56_2422:
	s_mov_b32 s14, -1
	s_mov_b32 s13, 0
	s_mov_b32 s6, 0
                                        ; implicit-def: $vgpr12
	s_branch .LBB56_2458
.LBB56_2423:
	s_mov_b32 s14, -1
	s_mov_b32 s13, 0
	s_mov_b32 s6, 0
                                        ; implicit-def: $vgpr12
	s_branch .LBB56_2439
.LBB56_2424:
	s_mov_b32 s14, -1
	s_mov_b32 s13, 0
	s_mov_b32 s6, 0
                                        ; implicit-def: $vgpr12
	s_branch .LBB56_2434
.LBB56_2425:
	s_or_b32 s10, s10, exec_lo
	s_trap 2
	s_cbranch_execz .LBB56_2362
	s_branch .LBB56_2363
.LBB56_2426:
	s_mov_b32 s14, -1
	s_mov_b32 s13, 0
	s_mov_b32 s6, 0
	s_branch .LBB56_2428
.LBB56_2427:
	s_mov_b32 s6, -1
	s_mov_b32 s13, 0
.LBB56_2428:
                                        ; implicit-def: $vgpr12
.LBB56_2429:
	s_and_b32 vcc_lo, exec_lo, s14
	s_cbranch_vccz .LBB56_2433
; %bb.2430:
	s_cmp_eq_u32 s11, 44
	s_cbranch_scc0 .LBB56_2432
; %bb.2431:
	global_load_u8 v5, v[10:11], off
	s_mov_b32 s6, 0
	s_mov_b32 s13, -1
	s_wait_loadcnt 0x0
	v_lshlrev_b32_e32 v7, 23, v5
	v_cmp_ne_u32_e32 vcc_lo, 0xff, v5
	s_delay_alu instid0(VALU_DEP_2) | instskip(NEXT) | instid1(VALU_DEP_1)
	v_cvt_f16_f32_e32 v7, v7
	v_cndmask_b32_e32 v7, 0x7e00, v7, vcc_lo
	v_cmp_ne_u32_e32 vcc_lo, 0, v5
	s_wait_xcnt 0x1
	s_delay_alu instid0(VALU_DEP_2)
	v_cndmask_b32_e32 v12, 0, v7, vcc_lo
	s_branch .LBB56_2433
.LBB56_2432:
	s_mov_b32 s6, -1
                                        ; implicit-def: $vgpr12
.LBB56_2433:
	s_mov_b32 s14, 0
.LBB56_2434:
	s_delay_alu instid0(SALU_CYCLE_1)
	s_and_b32 vcc_lo, exec_lo, s14
	s_cbranch_vccz .LBB56_2438
; %bb.2435:
	s_cmp_eq_u32 s11, 29
	s_cbranch_scc0 .LBB56_2437
; %bb.2436:
	global_load_b64 v[12:13], v[10:11], off
	s_mov_b32 s6, 0
	s_mov_b32 s13, -1
	s_mov_b32 s14, 0
	s_wait_loadcnt 0x0
	v_clz_i32_u32_e32 v5, v13
	s_delay_alu instid0(VALU_DEP_1) | instskip(NEXT) | instid1(VALU_DEP_1)
	v_min_u32_e32 v5, 32, v5
	v_lshlrev_b64_e32 v[12:13], v5, v[12:13]
	v_sub_nc_u32_e32 v5, 32, v5
	s_delay_alu instid0(VALU_DEP_2) | instskip(NEXT) | instid1(VALU_DEP_1)
	v_min_u32_e32 v7, 1, v12
	v_or_b32_e32 v7, v13, v7
	s_delay_alu instid0(VALU_DEP_1) | instskip(NEXT) | instid1(VALU_DEP_1)
	v_cvt_f32_u32_e32 v7, v7
	v_ldexp_f32 v5, v7, v5
	s_delay_alu instid0(VALU_DEP_1)
	v_cvt_f16_f32_e32 v12, v5
	s_branch .LBB56_2439
.LBB56_2437:
	s_mov_b32 s6, -1
                                        ; implicit-def: $vgpr12
.LBB56_2438:
	s_mov_b32 s14, 0
.LBB56_2439:
	s_delay_alu instid0(SALU_CYCLE_1)
	s_and_b32 vcc_lo, exec_lo, s14
	s_cbranch_vccz .LBB56_2457
; %bb.2440:
	s_cmp_lt_i32 s11, 27
	s_cbranch_scc1 .LBB56_2443
; %bb.2441:
	s_cmp_gt_i32 s11, 27
	s_cbranch_scc0 .LBB56_2444
; %bb.2442:
	global_load_b32 v5, v[10:11], off
	s_mov_b32 s13, 0
	s_wait_loadcnt 0x0
	v_cvt_f32_u32_e32 v5, v5
	s_wait_xcnt 0x1
	s_delay_alu instid0(VALU_DEP_1)
	v_cvt_f16_f32_e32 v12, v5
	s_branch .LBB56_2445
.LBB56_2443:
	s_mov_b32 s13, -1
                                        ; implicit-def: $vgpr12
	s_branch .LBB56_2448
.LBB56_2444:
	s_mov_b32 s13, -1
                                        ; implicit-def: $vgpr12
.LBB56_2445:
	s_delay_alu instid0(SALU_CYCLE_1)
	s_and_not1_b32 vcc_lo, exec_lo, s13
	s_cbranch_vccnz .LBB56_2447
; %bb.2446:
	global_load_u16 v5, v[10:11], off
	s_wait_loadcnt 0x0
	s_wait_xcnt 0x1
	v_cvt_f16_u16_e32 v12, v5
.LBB56_2447:
	s_mov_b32 s13, 0
.LBB56_2448:
	s_delay_alu instid0(SALU_CYCLE_1)
	s_and_not1_b32 vcc_lo, exec_lo, s13
	s_cbranch_vccnz .LBB56_2456
; %bb.2449:
	global_load_u8 v5, v[10:11], off
	s_mov_b32 s13, 0
	s_mov_b32 s14, exec_lo
	s_wait_loadcnt 0x0
	v_cmpx_lt_i16_e32 0x7f, v5
	s_xor_b32 s14, exec_lo, s14
	s_cbranch_execz .LBB56_2470
; %bb.2450:
	s_mov_b32 s13, -1
	s_mov_b32 s15, exec_lo
	v_cmpx_eq_u16_e32 0x80, v5
; %bb.2451:
	s_xor_b32 s13, exec_lo, -1
; %bb.2452:
	s_or_b32 exec_lo, exec_lo, s15
	s_delay_alu instid0(SALU_CYCLE_1)
	s_and_b32 s13, s13, exec_lo
	s_or_saveexec_b32 s14, s14
	v_mov_b32_e32 v12, 0x7e00
	s_xor_b32 exec_lo, exec_lo, s14
	s_cbranch_execnz .LBB56_2471
.LBB56_2453:
	s_or_b32 exec_lo, exec_lo, s14
	s_and_saveexec_b32 s14, s13
	s_cbranch_execz .LBB56_2455
.LBB56_2454:
	v_and_b32_e32 v7, 0xffff, v5
	s_delay_alu instid0(VALU_DEP_1) | instskip(SKIP_1) | instid1(VALU_DEP_2)
	v_and_b32_e32 v9, 7, v7
	v_bfe_u32 v15, v7, 3, 4
	v_clz_i32_u32_e32 v12, v9
	s_delay_alu instid0(VALU_DEP_2) | instskip(NEXT) | instid1(VALU_DEP_2)
	v_cmp_eq_u32_e32 vcc_lo, 0, v15
	v_min_u32_e32 v12, 32, v12
	s_delay_alu instid0(VALU_DEP_1) | instskip(NEXT) | instid1(VALU_DEP_1)
	v_subrev_nc_u32_e32 v13, 28, v12
	v_dual_lshlrev_b32 v7, v13, v7 :: v_dual_sub_nc_u32 v12, 29, v12
	s_delay_alu instid0(VALU_DEP_1) | instskip(NEXT) | instid1(VALU_DEP_1)
	v_dual_lshlrev_b32 v5, 24, v5 :: v_dual_bitop2_b32 v7, 7, v7 bitop3:0x40
	v_dual_cndmask_b32 v12, v15, v12 :: v_dual_cndmask_b32 v7, v9, v7
	s_delay_alu instid0(VALU_DEP_2) | instskip(NEXT) | instid1(VALU_DEP_2)
	v_and_b32_e32 v5, 0x80000000, v5
	v_lshl_add_u32 v9, v12, 23, 0x3b800000
	s_delay_alu instid0(VALU_DEP_3) | instskip(NEXT) | instid1(VALU_DEP_1)
	v_lshlrev_b32_e32 v7, 20, v7
	v_or3_b32 v5, v5, v9, v7
	s_delay_alu instid0(VALU_DEP_1)
	v_cvt_f16_f32_e32 v12, v5
.LBB56_2455:
	s_or_b32 exec_lo, exec_lo, s14
.LBB56_2456:
	s_mov_b32 s13, -1
.LBB56_2457:
	s_mov_b32 s14, 0
.LBB56_2458:
	s_delay_alu instid0(SALU_CYCLE_1)
	s_and_b32 vcc_lo, exec_lo, s14
	s_cbranch_vccz .LBB56_2491
; %bb.2459:
	s_cmp_gt_i32 s11, 22
	s_cbranch_scc0 .LBB56_2469
; %bb.2460:
	s_cmp_lt_i32 s11, 24
	s_cbranch_scc1 .LBB56_2472
; %bb.2461:
	s_cmp_gt_i32 s11, 24
	s_cbranch_scc0 .LBB56_2473
; %bb.2462:
	global_load_u8 v5, v[10:11], off
	s_mov_b32 s13, exec_lo
	s_wait_loadcnt 0x0
	v_cmpx_lt_i16_e32 0x7f, v5
	s_xor_b32 s13, exec_lo, s13
	s_cbranch_execz .LBB56_2485
; %bb.2463:
	s_mov_b32 s7, -1
	s_mov_b32 s14, exec_lo
	v_cmpx_eq_u16_e32 0x80, v5
; %bb.2464:
	s_xor_b32 s7, exec_lo, -1
; %bb.2465:
	s_or_b32 exec_lo, exec_lo, s14
	s_delay_alu instid0(SALU_CYCLE_1)
	s_and_b32 s7, s7, exec_lo
	s_or_saveexec_b32 s13, s13
	v_mov_b32_e32 v12, 0x7e00
	s_xor_b32 exec_lo, exec_lo, s13
	s_cbranch_execnz .LBB56_2486
.LBB56_2466:
	s_or_b32 exec_lo, exec_lo, s13
	s_and_saveexec_b32 s13, s7
	s_cbranch_execz .LBB56_2468
.LBB56_2467:
	v_and_b32_e32 v7, 0xffff, v5
	s_delay_alu instid0(VALU_DEP_1) | instskip(SKIP_1) | instid1(VALU_DEP_2)
	v_and_b32_e32 v9, 3, v7
	v_bfe_u32 v15, v7, 2, 5
	v_clz_i32_u32_e32 v12, v9
	s_delay_alu instid0(VALU_DEP_2) | instskip(NEXT) | instid1(VALU_DEP_2)
	v_cmp_eq_u32_e32 vcc_lo, 0, v15
	v_min_u32_e32 v12, 32, v12
	s_delay_alu instid0(VALU_DEP_1) | instskip(NEXT) | instid1(VALU_DEP_1)
	v_subrev_nc_u32_e32 v13, 29, v12
	v_dual_lshlrev_b32 v7, v13, v7 :: v_dual_sub_nc_u32 v12, 30, v12
	s_delay_alu instid0(VALU_DEP_1) | instskip(NEXT) | instid1(VALU_DEP_1)
	v_dual_lshlrev_b32 v5, 24, v5 :: v_dual_bitop2_b32 v7, 3, v7 bitop3:0x40
	v_dual_cndmask_b32 v12, v15, v12 :: v_dual_cndmask_b32 v7, v9, v7
	s_delay_alu instid0(VALU_DEP_2) | instskip(NEXT) | instid1(VALU_DEP_2)
	v_and_b32_e32 v5, 0x80000000, v5
	v_lshl_add_u32 v9, v12, 23, 0x37800000
	s_delay_alu instid0(VALU_DEP_3) | instskip(NEXT) | instid1(VALU_DEP_1)
	v_lshlrev_b32_e32 v7, 21, v7
	v_or3_b32 v5, v5, v9, v7
	s_delay_alu instid0(VALU_DEP_1)
	v_cvt_f16_f32_e32 v12, v5
.LBB56_2468:
	s_or_b32 exec_lo, exec_lo, s13
	s_mov_b32 s7, 0
	s_branch .LBB56_2474
.LBB56_2469:
	s_mov_b32 s7, -1
                                        ; implicit-def: $vgpr12
	s_branch .LBB56_2480
.LBB56_2470:
	s_or_saveexec_b32 s14, s14
	v_mov_b32_e32 v12, 0x7e00
	s_xor_b32 exec_lo, exec_lo, s14
	s_cbranch_execz .LBB56_2453
.LBB56_2471:
	v_cmp_ne_u16_e32 vcc_lo, 0, v5
	v_mov_b32_e32 v12, v5
	s_and_not1_b32 s13, s13, exec_lo
	s_and_b32 s15, vcc_lo, exec_lo
	s_delay_alu instid0(SALU_CYCLE_1)
	s_or_b32 s13, s13, s15
	s_or_b32 exec_lo, exec_lo, s14
	s_and_saveexec_b32 s14, s13
	s_cbranch_execnz .LBB56_2454
	s_branch .LBB56_2455
.LBB56_2472:
	s_mov_b32 s7, -1
                                        ; implicit-def: $vgpr12
	s_branch .LBB56_2477
.LBB56_2473:
	s_mov_b32 s7, -1
                                        ; implicit-def: $vgpr12
.LBB56_2474:
	s_delay_alu instid0(SALU_CYCLE_1)
	s_and_b32 vcc_lo, exec_lo, s7
	s_cbranch_vccz .LBB56_2476
; %bb.2475:
	global_load_u8 v5, v[10:11], off
	s_wait_loadcnt 0x0
	v_lshlrev_b32_e32 v5, 24, v5
	s_delay_alu instid0(VALU_DEP_1) | instskip(NEXT) | instid1(VALU_DEP_1)
	v_and_b32_e32 v7, 0x7f000000, v5
	v_clz_i32_u32_e32 v9, v7
	s_wait_xcnt 0x1
	v_add_nc_u32_e32 v13, 0x1000000, v7
	v_cmp_ne_u32_e32 vcc_lo, 0, v7
	s_delay_alu instid0(VALU_DEP_3) | instskip(NEXT) | instid1(VALU_DEP_1)
	v_min_u32_e32 v9, 32, v9
	v_sub_nc_u32_e64 v9, v9, 4 clamp
	s_delay_alu instid0(VALU_DEP_1) | instskip(NEXT) | instid1(VALU_DEP_1)
	v_dual_lshlrev_b32 v12, v9, v7 :: v_dual_lshlrev_b32 v9, 23, v9
	v_lshrrev_b32_e32 v12, 4, v12
	s_delay_alu instid0(VALU_DEP_1) | instskip(SKIP_1) | instid1(VALU_DEP_2)
	v_sub_nc_u32_e32 v9, v12, v9
	v_ashrrev_i32_e32 v12, 8, v13
	v_add_nc_u32_e32 v9, 0x3c000000, v9
	s_delay_alu instid0(VALU_DEP_1) | instskip(NEXT) | instid1(VALU_DEP_1)
	v_and_or_b32 v9, 0x7f800000, v12, v9
	v_cndmask_b32_e32 v7, 0, v9, vcc_lo
	s_delay_alu instid0(VALU_DEP_1) | instskip(NEXT) | instid1(VALU_DEP_1)
	v_and_or_b32 v5, 0x80000000, v5, v7
	v_cvt_f16_f32_e32 v12, v5
.LBB56_2476:
	s_mov_b32 s7, 0
.LBB56_2477:
	s_delay_alu instid0(SALU_CYCLE_1)
	s_and_not1_b32 vcc_lo, exec_lo, s7
	s_cbranch_vccnz .LBB56_2479
; %bb.2478:
	global_load_u8 v5, v[10:11], off
	s_wait_loadcnt 0x0
	v_lshlrev_b32_e32 v7, 25, v5
	v_lshlrev_b16 v5, 8, v5
	s_wait_xcnt 0x1
	s_delay_alu instid0(VALU_DEP_1) | instskip(SKIP_1) | instid1(VALU_DEP_2)
	v_and_or_b32 v12, 0x7f00, v5, 0.5
	v_bfe_i32 v5, v5, 0, 16
	v_dual_add_f32 v12, -0.5, v12 :: v_dual_lshrrev_b32 v9, 4, v7
	v_cmp_gt_u32_e32 vcc_lo, 0x8000000, v7
	s_delay_alu instid0(VALU_DEP_2) | instskip(NEXT) | instid1(VALU_DEP_1)
	v_or_b32_e32 v9, 0x70000000, v9
	v_mul_f32_e32 v9, 0x7800000, v9
	s_delay_alu instid0(VALU_DEP_1) | instskip(NEXT) | instid1(VALU_DEP_1)
	v_cndmask_b32_e32 v7, v9, v12, vcc_lo
	v_and_or_b32 v5, 0x80000000, v5, v7
	s_delay_alu instid0(VALU_DEP_1)
	v_cvt_f16_f32_e32 v12, v5
.LBB56_2479:
	s_mov_b32 s7, 0
	s_mov_b32 s13, -1
.LBB56_2480:
	s_and_not1_b32 vcc_lo, exec_lo, s7
	s_mov_b32 s7, 0
	s_cbranch_vccnz .LBB56_2491
; %bb.2481:
	s_cmp_gt_i32 s11, 14
	s_cbranch_scc0 .LBB56_2484
; %bb.2482:
	s_cmp_eq_u32 s11, 15
	s_cbranch_scc0 .LBB56_2487
; %bb.2483:
	global_load_u16 v5, v[10:11], off
	s_mov_b32 s6, 0
	s_mov_b32 s13, -1
	s_wait_loadcnt 0x0
	v_lshlrev_b32_e32 v5, 16, v5
	s_wait_xcnt 0x1
	s_delay_alu instid0(VALU_DEP_1)
	v_cvt_f16_f32_e32 v12, v5
	s_branch .LBB56_2489
.LBB56_2484:
	s_mov_b32 s7, -1
	s_branch .LBB56_2488
.LBB56_2485:
	s_or_saveexec_b32 s13, s13
	v_mov_b32_e32 v12, 0x7e00
	s_xor_b32 exec_lo, exec_lo, s13
	s_cbranch_execz .LBB56_2466
.LBB56_2486:
	v_cmp_ne_u16_e32 vcc_lo, 0, v5
	v_mov_b32_e32 v12, v5
	s_and_not1_b32 s7, s7, exec_lo
	s_and_b32 s14, vcc_lo, exec_lo
	s_delay_alu instid0(SALU_CYCLE_1)
	s_or_b32 s7, s7, s14
	s_or_b32 exec_lo, exec_lo, s13
	s_and_saveexec_b32 s13, s7
	s_cbranch_execnz .LBB56_2467
	s_branch .LBB56_2468
.LBB56_2487:
	s_mov_b32 s6, -1
.LBB56_2488:
                                        ; implicit-def: $vgpr12
.LBB56_2489:
	s_and_b32 vcc_lo, exec_lo, s7
	s_mov_b32 s7, 0
	s_cbranch_vccz .LBB56_2491
; %bb.2490:
	s_cmp_lg_u32 s11, 11
	s_mov_b32 s7, -1
	s_cselect_b32 s6, -1, 0
.LBB56_2491:
	s_delay_alu instid0(SALU_CYCLE_1)
	s_and_b32 vcc_lo, exec_lo, s6
	s_cbranch_vccnz .LBB56_2556
; %bb.2492:
	s_and_not1_b32 vcc_lo, exec_lo, s7
	s_cbranch_vccnz .LBB56_2494
.LBB56_2493:
	global_load_u8 v5, v[10:11], off
	s_mov_b32 s13, -1
	s_wait_loadcnt 0x0
	v_cmp_ne_u16_e32 vcc_lo, 0, v5
	s_wait_xcnt 0x1
	v_cndmask_b32_e64 v12, 0, 0x3c00, vcc_lo
.LBB56_2494:
	s_mov_b32 s6, 0
.LBB56_2495:
	s_delay_alu instid0(SALU_CYCLE_1)
	s_and_b32 vcc_lo, exec_lo, s6
	s_cbranch_vccz .LBB56_2544
; %bb.2496:
	s_cmp_lt_i32 s11, 5
	s_cbranch_scc1 .LBB56_2501
; %bb.2497:
	s_cmp_lt_i32 s11, 8
	s_cbranch_scc1 .LBB56_2502
	;; [unrolled: 3-line block ×3, first 2 shown]
; %bb.2499:
	s_cmp_gt_i32 s11, 9
	s_cbranch_scc0 .LBB56_2504
; %bb.2500:
	global_load_b64 v[12:13], v[10:11], off
	s_mov_b32 s6, 0
	s_wait_loadcnt 0x0
	v_and_or_b32 v5, 0x1ff, v13, v12
	v_lshrrev_b32_e32 v7, 8, v13
	v_bfe_u32 v9, v13, 20, 11
	s_delay_alu instid0(VALU_DEP_3) | instskip(NEXT) | instid1(VALU_DEP_2)
	v_cmp_ne_u32_e32 vcc_lo, 0, v5
	v_sub_nc_u32_e32 v12, 0x3f1, v9
	v_add_nc_u32_e32 v9, 0xfffffc10, v9
	v_cndmask_b32_e64 v5, 0, 1, vcc_lo
	s_delay_alu instid0(VALU_DEP_1) | instskip(NEXT) | instid1(VALU_DEP_4)
	v_and_or_b32 v5, 0xffe, v7, v5
	v_med3_i32 v7, v12, 0, 13
	s_delay_alu instid0(VALU_DEP_2) | instskip(NEXT) | instid1(VALU_DEP_1)
	v_or_b32_e32 v12, 0x1000, v5
	v_lshrrev_b32_e32 v15, v7, v12
	s_delay_alu instid0(VALU_DEP_1) | instskip(NEXT) | instid1(VALU_DEP_1)
	v_lshlrev_b32_e32 v7, v7, v15
	v_cmp_ne_u32_e32 vcc_lo, v7, v12
	v_lshl_or_b32 v12, v9, 12, v5
	v_cndmask_b32_e64 v7, 0, 1, vcc_lo
	v_cmp_gt_i32_e32 vcc_lo, 1, v9
	s_delay_alu instid0(VALU_DEP_2) | instskip(NEXT) | instid1(VALU_DEP_1)
	v_or_b32_e32 v7, v15, v7
	v_cndmask_b32_e32 v7, v12, v7, vcc_lo
	s_delay_alu instid0(VALU_DEP_1) | instskip(NEXT) | instid1(VALU_DEP_1)
	v_dual_lshrrev_b32 v7, 2, v7 :: v_dual_bitop2_b32 v12, 7, v7 bitop3:0x40
	v_cmp_lt_i32_e32 vcc_lo, 5, v12
	v_cndmask_b32_e64 v15, 0, 1, vcc_lo
	v_cmp_eq_u32_e32 vcc_lo, 3, v12
	v_cndmask_b32_e64 v12, 0, 1, vcc_lo
	v_cmp_ne_u32_e32 vcc_lo, 0, v5
	s_delay_alu instid0(VALU_DEP_2) | instskip(SKIP_1) | instid1(VALU_DEP_2)
	v_or_b32_e32 v12, v12, v15
	v_mov_b32_e32 v15, 0x7e00
	v_add_nc_u32_e32 v7, v7, v12
	s_delay_alu instid0(VALU_DEP_2) | instskip(SKIP_1) | instid1(VALU_DEP_3)
	v_cndmask_b32_e32 v5, 0x7c00, v15, vcc_lo
	v_cmp_gt_i32_e32 vcc_lo, 31, v9
	v_cndmask_b32_e32 v7, 0x7c00, v7, vcc_lo
	v_cmp_eq_u32_e32 vcc_lo, 0x40f, v9
	s_delay_alu instid0(VALU_DEP_2) | instskip(SKIP_1) | instid1(VALU_DEP_1)
	v_cndmask_b32_e32 v5, v7, v5, vcc_lo
	v_lshrrev_b32_e32 v7, 16, v13
	v_and_or_b32 v12, 0x8000, v7, v5
	s_branch .LBB56_2505
.LBB56_2501:
	s_mov_b32 s6, -1
                                        ; implicit-def: $vgpr12
	s_branch .LBB56_2523
.LBB56_2502:
	s_mov_b32 s6, -1
                                        ; implicit-def: $vgpr12
	s_branch .LBB56_2511
.LBB56_2503:
	s_mov_b32 s6, -1
                                        ; implicit-def: $vgpr12
	s_branch .LBB56_2508
.LBB56_2504:
	s_mov_b32 s6, -1
                                        ; implicit-def: $vgpr12
.LBB56_2505:
	s_delay_alu instid0(SALU_CYCLE_1)
	s_and_not1_b32 vcc_lo, exec_lo, s6
	s_cbranch_vccnz .LBB56_2507
; %bb.2506:
	global_load_b32 v5, v[10:11], off
	s_wait_loadcnt 0x0
	s_wait_xcnt 0x1
	v_cvt_f16_f32_e32 v12, v5
.LBB56_2507:
	s_mov_b32 s6, 0
.LBB56_2508:
	s_delay_alu instid0(SALU_CYCLE_1)
	s_and_not1_b32 vcc_lo, exec_lo, s6
	s_cbranch_vccnz .LBB56_2510
; %bb.2509:
	global_load_b32 v12, v[10:11], off
.LBB56_2510:
	s_mov_b32 s6, 0
.LBB56_2511:
	s_delay_alu instid0(SALU_CYCLE_1)
	s_and_not1_b32 vcc_lo, exec_lo, s6
	s_cbranch_vccnz .LBB56_2522
; %bb.2512:
	s_cmp_lt_i32 s11, 6
	s_cbranch_scc1 .LBB56_2515
; %bb.2513:
	s_cmp_gt_i32 s11, 6
	s_cbranch_scc0 .LBB56_2516
; %bb.2514:
	s_wait_loadcnt 0x0
	global_load_b64 v[12:13], v[10:11], off
	s_mov_b32 s6, 0
	s_wait_loadcnt 0x0
	v_and_or_b32 v5, 0x1ff, v13, v12
	v_lshrrev_b32_e32 v7, 8, v13
	v_bfe_u32 v9, v13, 20, 11
	s_delay_alu instid0(VALU_DEP_3) | instskip(NEXT) | instid1(VALU_DEP_2)
	v_cmp_ne_u32_e32 vcc_lo, 0, v5
	v_sub_nc_u32_e32 v12, 0x3f1, v9
	v_add_nc_u32_e32 v9, 0xfffffc10, v9
	v_cndmask_b32_e64 v5, 0, 1, vcc_lo
	s_delay_alu instid0(VALU_DEP_1) | instskip(NEXT) | instid1(VALU_DEP_4)
	v_and_or_b32 v5, 0xffe, v7, v5
	v_med3_i32 v7, v12, 0, 13
	s_delay_alu instid0(VALU_DEP_2) | instskip(NEXT) | instid1(VALU_DEP_1)
	v_or_b32_e32 v12, 0x1000, v5
	v_lshrrev_b32_e32 v15, v7, v12
	s_delay_alu instid0(VALU_DEP_1) | instskip(NEXT) | instid1(VALU_DEP_1)
	v_lshlrev_b32_e32 v7, v7, v15
	v_cmp_ne_u32_e32 vcc_lo, v7, v12
	v_lshl_or_b32 v12, v9, 12, v5
	v_cndmask_b32_e64 v7, 0, 1, vcc_lo
	v_cmp_gt_i32_e32 vcc_lo, 1, v9
	s_delay_alu instid0(VALU_DEP_2) | instskip(NEXT) | instid1(VALU_DEP_1)
	v_or_b32_e32 v7, v15, v7
	v_cndmask_b32_e32 v7, v12, v7, vcc_lo
	s_delay_alu instid0(VALU_DEP_1) | instskip(NEXT) | instid1(VALU_DEP_1)
	v_dual_lshrrev_b32 v7, 2, v7 :: v_dual_bitop2_b32 v12, 7, v7 bitop3:0x40
	v_cmp_lt_i32_e32 vcc_lo, 5, v12
	v_cndmask_b32_e64 v15, 0, 1, vcc_lo
	v_cmp_eq_u32_e32 vcc_lo, 3, v12
	v_cndmask_b32_e64 v12, 0, 1, vcc_lo
	v_cmp_ne_u32_e32 vcc_lo, 0, v5
	s_delay_alu instid0(VALU_DEP_2) | instskip(SKIP_1) | instid1(VALU_DEP_2)
	v_or_b32_e32 v12, v12, v15
	v_mov_b32_e32 v15, 0x7e00
	v_add_nc_u32_e32 v7, v7, v12
	s_delay_alu instid0(VALU_DEP_2) | instskip(SKIP_1) | instid1(VALU_DEP_3)
	v_cndmask_b32_e32 v5, 0x7c00, v15, vcc_lo
	v_cmp_gt_i32_e32 vcc_lo, 31, v9
	v_cndmask_b32_e32 v7, 0x7c00, v7, vcc_lo
	v_cmp_eq_u32_e32 vcc_lo, 0x40f, v9
	s_delay_alu instid0(VALU_DEP_2) | instskip(SKIP_1) | instid1(VALU_DEP_1)
	v_cndmask_b32_e32 v5, v7, v5, vcc_lo
	v_lshrrev_b32_e32 v7, 16, v13
	v_and_or_b32 v12, 0x8000, v7, v5
	s_branch .LBB56_2517
.LBB56_2515:
	s_mov_b32 s6, -1
                                        ; implicit-def: $vgpr12
	s_branch .LBB56_2520
.LBB56_2516:
	s_mov_b32 s6, -1
                                        ; implicit-def: $vgpr12
.LBB56_2517:
	s_delay_alu instid0(SALU_CYCLE_1)
	s_and_not1_b32 vcc_lo, exec_lo, s6
	s_cbranch_vccnz .LBB56_2519
; %bb.2518:
	global_load_b32 v5, v[10:11], off
	s_wait_loadcnt 0x0
	s_wait_xcnt 0x1
	v_cvt_f16_f32_e32 v12, v5
.LBB56_2519:
	s_mov_b32 s6, 0
.LBB56_2520:
	s_delay_alu instid0(SALU_CYCLE_1)
	s_and_not1_b32 vcc_lo, exec_lo, s6
	s_cbranch_vccnz .LBB56_2522
; %bb.2521:
	s_wait_loadcnt 0x0
	global_load_u16 v12, v[10:11], off
.LBB56_2522:
	s_mov_b32 s6, 0
.LBB56_2523:
	s_delay_alu instid0(SALU_CYCLE_1)
	s_and_not1_b32 vcc_lo, exec_lo, s6
	s_cbranch_vccnz .LBB56_2543
; %bb.2524:
	s_cmp_lt_i32 s11, 2
	s_cbranch_scc1 .LBB56_2528
; %bb.2525:
	s_cmp_lt_i32 s11, 3
	s_cbranch_scc1 .LBB56_2529
; %bb.2526:
	s_cmp_gt_i32 s11, 3
	s_cbranch_scc0 .LBB56_2530
; %bb.2527:
	s_wait_loadcnt 0x0
	global_load_b64 v[12:13], v[10:11], off
	s_mov_b32 s6, 0
	s_wait_loadcnt 0x0
	v_xor_b32_e32 v5, v12, v13
	v_cls_i32_e32 v7, v13
	s_delay_alu instid0(VALU_DEP_2) | instskip(NEXT) | instid1(VALU_DEP_1)
	v_ashrrev_i32_e32 v5, 31, v5
	v_add_nc_u32_e32 v5, 32, v5
	s_delay_alu instid0(VALU_DEP_1) | instskip(NEXT) | instid1(VALU_DEP_1)
	v_add_min_u32_e64 v5, v7, -1, v5
	v_lshlrev_b64_e32 v[12:13], v5, v[12:13]
	v_sub_nc_u32_e32 v5, 32, v5
	s_delay_alu instid0(VALU_DEP_2) | instskip(NEXT) | instid1(VALU_DEP_1)
	v_min_u32_e32 v7, 1, v12
	v_or_b32_e32 v7, v13, v7
	s_delay_alu instid0(VALU_DEP_1) | instskip(NEXT) | instid1(VALU_DEP_1)
	v_cvt_f32_i32_e32 v7, v7
	v_ldexp_f32 v5, v7, v5
	s_delay_alu instid0(VALU_DEP_1)
	v_cvt_f16_f32_e32 v12, v5
	s_branch .LBB56_2531
.LBB56_2528:
	s_mov_b32 s6, -1
                                        ; implicit-def: $vgpr12
	s_branch .LBB56_2537
.LBB56_2529:
	s_mov_b32 s6, -1
                                        ; implicit-def: $vgpr12
	s_branch .LBB56_2534
.LBB56_2530:
	s_mov_b32 s6, -1
                                        ; implicit-def: $vgpr12
.LBB56_2531:
	s_delay_alu instid0(SALU_CYCLE_1)
	s_and_not1_b32 vcc_lo, exec_lo, s6
	s_cbranch_vccnz .LBB56_2533
; %bb.2532:
	global_load_b32 v5, v[10:11], off
	s_wait_loadcnt 0x0
	v_cvt_f32_i32_e32 v5, v5
	s_wait_xcnt 0x1
	s_delay_alu instid0(VALU_DEP_1)
	v_cvt_f16_f32_e32 v12, v5
.LBB56_2533:
	s_mov_b32 s6, 0
.LBB56_2534:
	s_delay_alu instid0(SALU_CYCLE_1)
	s_and_not1_b32 vcc_lo, exec_lo, s6
	s_cbranch_vccnz .LBB56_2536
; %bb.2535:
	global_load_u16 v5, v[10:11], off
	s_wait_loadcnt 0x0
	s_wait_xcnt 0x1
	v_cvt_f16_i16_e32 v12, v5
.LBB56_2536:
	s_mov_b32 s6, 0
.LBB56_2537:
	s_delay_alu instid0(SALU_CYCLE_1)
	s_and_not1_b32 vcc_lo, exec_lo, s6
	s_cbranch_vccnz .LBB56_2543
; %bb.2538:
	s_cmp_gt_i32 s11, 0
	s_mov_b32 s6, 0
	s_cbranch_scc0 .LBB56_2540
; %bb.2539:
	global_load_i8 v5, v[10:11], off
	s_wait_loadcnt 0x0
	s_wait_xcnt 0x1
	v_cvt_f16_i16_e32 v12, v5
	s_branch .LBB56_2541
.LBB56_2540:
	s_mov_b32 s6, -1
                                        ; implicit-def: $vgpr12
.LBB56_2541:
	s_delay_alu instid0(SALU_CYCLE_1)
	s_and_not1_b32 vcc_lo, exec_lo, s6
	s_cbranch_vccnz .LBB56_2543
; %bb.2542:
	global_load_u8 v5, v[10:11], off
	s_wait_loadcnt 0x0
	s_wait_xcnt 0x1
	v_cvt_f16_u16_e32 v12, v5
.LBB56_2543:
	s_mov_b32 s13, -1
.LBB56_2544:
	s_delay_alu instid0(SALU_CYCLE_1)
	s_and_not1_b32 vcc_lo, exec_lo, s13
	s_cbranch_vccnz .LBB56_3106
; %bb.2545:
	v_mov_b32_e32 v9, 0
	s_cmp_lt_i32 s12, 11
	s_delay_alu instid0(VALU_DEP_1)
	v_add_nc_u64_e32 v[8:9], s[0:1], v[8:9]
	s_cbranch_scc1 .LBB56_2552
; %bb.2546:
	s_cmp_gt_i32 s12, 25
	s_mov_b32 s1, 0
	s_cbranch_scc0 .LBB56_2553
; %bb.2547:
	s_cmp_gt_i32 s12, 28
	s_cbranch_scc0 .LBB56_2554
; %bb.2548:
	s_cmp_gt_i32 s12, 43
	;; [unrolled: 3-line block ×3, first 2 shown]
	s_cbranch_scc0 .LBB56_2557
; %bb.2550:
	s_cmp_eq_u32 s12, 46
	s_mov_b32 s7, 0
	s_cbranch_scc0 .LBB56_2558
; %bb.2551:
	global_load_b32 v5, v[8:9], off
	s_mov_b32 s0, 0
	s_mov_b32 s6, -1
	s_wait_loadcnt 0x0
	v_lshlrev_b32_e32 v5, 16, v5
	s_wait_xcnt 0x1
	s_delay_alu instid0(VALU_DEP_1)
	v_cvt_f16_f32_e32 v10, v5
	s_branch .LBB56_2560
.LBB56_2552:
	s_mov_b32 s0, -1
	s_mov_b32 s6, 0
                                        ; implicit-def: $vgpr10
	s_branch .LBB56_2626
.LBB56_2553:
	s_mov_b32 s7, -1
	s_mov_b32 s6, 0
	s_mov_b32 s0, 0
                                        ; implicit-def: $vgpr10
	s_branch .LBB56_2589
.LBB56_2554:
	s_mov_b32 s7, -1
	s_mov_b32 s6, 0
	s_mov_b32 s0, 0
                                        ; implicit-def: $vgpr10
	s_branch .LBB56_2570
.LBB56_2555:
	s_mov_b32 s7, -1
	s_mov_b32 s6, 0
	s_mov_b32 s0, 0
                                        ; implicit-def: $vgpr10
	s_branch .LBB56_2565
.LBB56_2556:
	s_or_b32 s10, s10, exec_lo
	s_trap 2
	s_cbranch_execz .LBB56_2493
	s_branch .LBB56_2494
.LBB56_2557:
	s_mov_b32 s7, -1
	s_mov_b32 s6, 0
	s_mov_b32 s0, 0
	s_branch .LBB56_2559
.LBB56_2558:
	s_mov_b32 s0, -1
	s_mov_b32 s6, 0
.LBB56_2559:
                                        ; implicit-def: $vgpr10
.LBB56_2560:
	s_and_b32 vcc_lo, exec_lo, s7
	s_cbranch_vccz .LBB56_2564
; %bb.2561:
	s_cmp_eq_u32 s12, 44
	s_cbranch_scc0 .LBB56_2563
; %bb.2562:
	global_load_u8 v5, v[8:9], off
	s_mov_b32 s0, 0
	s_mov_b32 s6, -1
	s_wait_loadcnt 0x0
	v_lshlrev_b32_e32 v7, 23, v5
	v_cmp_ne_u32_e32 vcc_lo, 0xff, v5
	s_delay_alu instid0(VALU_DEP_2) | instskip(NEXT) | instid1(VALU_DEP_1)
	v_cvt_f16_f32_e32 v7, v7
	v_cndmask_b32_e32 v7, 0x7e00, v7, vcc_lo
	v_cmp_ne_u32_e32 vcc_lo, 0, v5
	s_wait_xcnt 0x1
	s_delay_alu instid0(VALU_DEP_2)
	v_cndmask_b32_e32 v10, 0, v7, vcc_lo
	s_branch .LBB56_2564
.LBB56_2563:
	s_mov_b32 s0, -1
                                        ; implicit-def: $vgpr10
.LBB56_2564:
	s_mov_b32 s7, 0
.LBB56_2565:
	s_delay_alu instid0(SALU_CYCLE_1)
	s_and_b32 vcc_lo, exec_lo, s7
	s_cbranch_vccz .LBB56_2569
; %bb.2566:
	s_cmp_eq_u32 s12, 29
	s_cbranch_scc0 .LBB56_2568
; %bb.2567:
	global_load_b64 v[10:11], v[8:9], off
	s_mov_b32 s0, 0
	s_mov_b32 s6, -1
	s_mov_b32 s7, 0
	s_wait_loadcnt 0x0
	v_clz_i32_u32_e32 v5, v11
	s_delay_alu instid0(VALU_DEP_1) | instskip(NEXT) | instid1(VALU_DEP_1)
	v_min_u32_e32 v5, 32, v5
	v_lshlrev_b64_e32 v[10:11], v5, v[10:11]
	v_sub_nc_u32_e32 v5, 32, v5
	s_delay_alu instid0(VALU_DEP_2) | instskip(NEXT) | instid1(VALU_DEP_1)
	v_min_u32_e32 v7, 1, v10
	v_or_b32_e32 v7, v11, v7
	s_delay_alu instid0(VALU_DEP_1) | instskip(NEXT) | instid1(VALU_DEP_1)
	v_cvt_f32_u32_e32 v7, v7
	v_ldexp_f32 v5, v7, v5
	s_delay_alu instid0(VALU_DEP_1)
	v_cvt_f16_f32_e32 v10, v5
	s_branch .LBB56_2570
.LBB56_2568:
	s_mov_b32 s0, -1
                                        ; implicit-def: $vgpr10
.LBB56_2569:
	s_mov_b32 s7, 0
.LBB56_2570:
	s_delay_alu instid0(SALU_CYCLE_1)
	s_and_b32 vcc_lo, exec_lo, s7
	s_cbranch_vccz .LBB56_2588
; %bb.2571:
	s_cmp_lt_i32 s12, 27
	s_cbranch_scc1 .LBB56_2574
; %bb.2572:
	s_cmp_gt_i32 s12, 27
	s_cbranch_scc0 .LBB56_2575
; %bb.2573:
	global_load_b32 v5, v[8:9], off
	s_mov_b32 s6, 0
	s_wait_loadcnt 0x0
	v_cvt_f32_u32_e32 v5, v5
	s_wait_xcnt 0x1
	s_delay_alu instid0(VALU_DEP_1)
	v_cvt_f16_f32_e32 v10, v5
	s_branch .LBB56_2576
.LBB56_2574:
	s_mov_b32 s6, -1
                                        ; implicit-def: $vgpr10
	s_branch .LBB56_2579
.LBB56_2575:
	s_mov_b32 s6, -1
                                        ; implicit-def: $vgpr10
.LBB56_2576:
	s_delay_alu instid0(SALU_CYCLE_1)
	s_and_not1_b32 vcc_lo, exec_lo, s6
	s_cbranch_vccnz .LBB56_2578
; %bb.2577:
	global_load_u16 v5, v[8:9], off
	s_wait_loadcnt 0x0
	s_wait_xcnt 0x1
	v_cvt_f16_u16_e32 v10, v5
.LBB56_2578:
	s_mov_b32 s6, 0
.LBB56_2579:
	s_delay_alu instid0(SALU_CYCLE_1)
	s_and_not1_b32 vcc_lo, exec_lo, s6
	s_cbranch_vccnz .LBB56_2587
; %bb.2580:
	global_load_u8 v5, v[8:9], off
	s_mov_b32 s6, 0
	s_mov_b32 s7, exec_lo
	s_wait_loadcnt 0x0
	v_cmpx_lt_i16_e32 0x7f, v5
	s_xor_b32 s7, exec_lo, s7
	s_cbranch_execz .LBB56_2601
; %bb.2581:
	s_mov_b32 s6, -1
	s_mov_b32 s11, exec_lo
	v_cmpx_eq_u16_e32 0x80, v5
; %bb.2582:
	s_xor_b32 s6, exec_lo, -1
; %bb.2583:
	s_or_b32 exec_lo, exec_lo, s11
	s_delay_alu instid0(SALU_CYCLE_1)
	s_and_b32 s6, s6, exec_lo
	s_or_saveexec_b32 s7, s7
	v_mov_b32_e32 v10, 0x7e00
	s_xor_b32 exec_lo, exec_lo, s7
	s_cbranch_execnz .LBB56_2602
.LBB56_2584:
	s_or_b32 exec_lo, exec_lo, s7
	s_and_saveexec_b32 s7, s6
	s_cbranch_execz .LBB56_2586
.LBB56_2585:
	v_and_b32_e32 v7, 0xffff, v5
	s_delay_alu instid0(VALU_DEP_1) | instskip(SKIP_1) | instid1(VALU_DEP_2)
	v_dual_lshlrev_b32 v5, 24, v5 :: v_dual_bitop2_b32 v10, 7, v7 bitop3:0x40
	v_bfe_u32 v15, v7, 3, 4
	v_and_b32_e32 v5, 0x80000000, v5
	s_delay_alu instid0(VALU_DEP_3) | instskip(NEXT) | instid1(VALU_DEP_3)
	v_clz_i32_u32_e32 v11, v10
	v_cmp_eq_u32_e32 vcc_lo, 0, v15
	s_delay_alu instid0(VALU_DEP_2) | instskip(NEXT) | instid1(VALU_DEP_1)
	v_min_u32_e32 v11, 32, v11
	v_subrev_nc_u32_e32 v13, 28, v11
	v_sub_nc_u32_e32 v11, 29, v11
	s_delay_alu instid0(VALU_DEP_2) | instskip(NEXT) | instid1(VALU_DEP_2)
	v_lshlrev_b32_e32 v7, v13, v7
	v_cndmask_b32_e32 v11, v15, v11, vcc_lo
	s_delay_alu instid0(VALU_DEP_2) | instskip(NEXT) | instid1(VALU_DEP_1)
	v_and_b32_e32 v7, 7, v7
	v_cndmask_b32_e32 v7, v10, v7, vcc_lo
	s_delay_alu instid0(VALU_DEP_3) | instskip(NEXT) | instid1(VALU_DEP_2)
	v_lshl_add_u32 v10, v11, 23, 0x3b800000
	v_lshlrev_b32_e32 v7, 20, v7
	s_delay_alu instid0(VALU_DEP_1) | instskip(NEXT) | instid1(VALU_DEP_1)
	v_or3_b32 v5, v5, v10, v7
	v_cvt_f16_f32_e32 v10, v5
.LBB56_2586:
	s_or_b32 exec_lo, exec_lo, s7
.LBB56_2587:
	s_mov_b32 s6, -1
.LBB56_2588:
	s_mov_b32 s7, 0
.LBB56_2589:
	s_delay_alu instid0(SALU_CYCLE_1)
	s_and_b32 vcc_lo, exec_lo, s7
	s_cbranch_vccz .LBB56_2622
; %bb.2590:
	s_cmp_gt_i32 s12, 22
	s_cbranch_scc0 .LBB56_2600
; %bb.2591:
	s_cmp_lt_i32 s12, 24
	s_cbranch_scc1 .LBB56_2603
; %bb.2592:
	s_cmp_gt_i32 s12, 24
	s_cbranch_scc0 .LBB56_2604
; %bb.2593:
	global_load_u8 v5, v[8:9], off
	s_mov_b32 s6, exec_lo
	s_wait_loadcnt 0x0
	v_cmpx_lt_i16_e32 0x7f, v5
	s_xor_b32 s6, exec_lo, s6
	s_cbranch_execz .LBB56_2616
; %bb.2594:
	s_mov_b32 s1, -1
	s_mov_b32 s7, exec_lo
	v_cmpx_eq_u16_e32 0x80, v5
; %bb.2595:
	s_xor_b32 s1, exec_lo, -1
; %bb.2596:
	s_or_b32 exec_lo, exec_lo, s7
	s_delay_alu instid0(SALU_CYCLE_1)
	s_and_b32 s1, s1, exec_lo
	s_or_saveexec_b32 s6, s6
	v_mov_b32_e32 v10, 0x7e00
	s_xor_b32 exec_lo, exec_lo, s6
	s_cbranch_execnz .LBB56_2617
.LBB56_2597:
	s_or_b32 exec_lo, exec_lo, s6
	s_and_saveexec_b32 s6, s1
	s_cbranch_execz .LBB56_2599
.LBB56_2598:
	v_and_b32_e32 v7, 0xffff, v5
	s_delay_alu instid0(VALU_DEP_1) | instskip(SKIP_1) | instid1(VALU_DEP_2)
	v_dual_lshlrev_b32 v5, 24, v5 :: v_dual_bitop2_b32 v10, 3, v7 bitop3:0x40
	v_bfe_u32 v15, v7, 2, 5
	v_and_b32_e32 v5, 0x80000000, v5
	s_delay_alu instid0(VALU_DEP_3) | instskip(NEXT) | instid1(VALU_DEP_3)
	v_clz_i32_u32_e32 v11, v10
	v_cmp_eq_u32_e32 vcc_lo, 0, v15
	s_delay_alu instid0(VALU_DEP_2) | instskip(NEXT) | instid1(VALU_DEP_1)
	v_min_u32_e32 v11, 32, v11
	v_subrev_nc_u32_e32 v13, 29, v11
	v_sub_nc_u32_e32 v11, 30, v11
	s_delay_alu instid0(VALU_DEP_2) | instskip(NEXT) | instid1(VALU_DEP_2)
	v_lshlrev_b32_e32 v7, v13, v7
	v_cndmask_b32_e32 v11, v15, v11, vcc_lo
	s_delay_alu instid0(VALU_DEP_2) | instskip(NEXT) | instid1(VALU_DEP_1)
	v_and_b32_e32 v7, 3, v7
	v_cndmask_b32_e32 v7, v10, v7, vcc_lo
	s_delay_alu instid0(VALU_DEP_3) | instskip(NEXT) | instid1(VALU_DEP_2)
	v_lshl_add_u32 v10, v11, 23, 0x37800000
	v_lshlrev_b32_e32 v7, 21, v7
	s_delay_alu instid0(VALU_DEP_1) | instskip(NEXT) | instid1(VALU_DEP_1)
	v_or3_b32 v5, v5, v10, v7
	v_cvt_f16_f32_e32 v10, v5
.LBB56_2599:
	s_or_b32 exec_lo, exec_lo, s6
	s_mov_b32 s1, 0
	s_branch .LBB56_2605
.LBB56_2600:
	s_mov_b32 s1, -1
                                        ; implicit-def: $vgpr10
	s_branch .LBB56_2611
.LBB56_2601:
	s_or_saveexec_b32 s7, s7
	v_mov_b32_e32 v10, 0x7e00
	s_xor_b32 exec_lo, exec_lo, s7
	s_cbranch_execz .LBB56_2584
.LBB56_2602:
	v_cmp_ne_u16_e32 vcc_lo, 0, v5
	v_mov_b32_e32 v10, v5
	s_and_not1_b32 s6, s6, exec_lo
	s_and_b32 s11, vcc_lo, exec_lo
	s_delay_alu instid0(SALU_CYCLE_1)
	s_or_b32 s6, s6, s11
	s_or_b32 exec_lo, exec_lo, s7
	s_and_saveexec_b32 s7, s6
	s_cbranch_execnz .LBB56_2585
	s_branch .LBB56_2586
.LBB56_2603:
	s_mov_b32 s1, -1
                                        ; implicit-def: $vgpr10
	s_branch .LBB56_2608
.LBB56_2604:
	s_mov_b32 s1, -1
                                        ; implicit-def: $vgpr10
.LBB56_2605:
	s_delay_alu instid0(SALU_CYCLE_1)
	s_and_b32 vcc_lo, exec_lo, s1
	s_cbranch_vccz .LBB56_2607
; %bb.2606:
	global_load_u8 v5, v[8:9], off
	s_wait_loadcnt 0x0
	v_lshlrev_b32_e32 v5, 24, v5
	s_delay_alu instid0(VALU_DEP_1) | instskip(SKIP_1) | instid1(VALU_DEP_1)
	v_and_b32_e32 v7, 0x7f000000, v5
	s_wait_xcnt 0x1
	v_clz_i32_u32_e32 v10, v7
	v_add_nc_u32_e32 v13, 0x1000000, v7
	v_cmp_ne_u32_e32 vcc_lo, 0, v7
	s_delay_alu instid0(VALU_DEP_3) | instskip(NEXT) | instid1(VALU_DEP_1)
	v_min_u32_e32 v10, 32, v10
	v_sub_nc_u32_e64 v10, v10, 4 clamp
	s_delay_alu instid0(VALU_DEP_1) | instskip(NEXT) | instid1(VALU_DEP_1)
	v_dual_lshlrev_b32 v11, v10, v7 :: v_dual_lshlrev_b32 v10, 23, v10
	v_lshrrev_b32_e32 v11, 4, v11
	s_delay_alu instid0(VALU_DEP_1) | instskip(NEXT) | instid1(VALU_DEP_1)
	v_dual_sub_nc_u32 v10, v11, v10 :: v_dual_ashrrev_i32 v11, 8, v13
	v_add_nc_u32_e32 v10, 0x3c000000, v10
	s_delay_alu instid0(VALU_DEP_1) | instskip(NEXT) | instid1(VALU_DEP_1)
	v_and_or_b32 v10, 0x7f800000, v11, v10
	v_cndmask_b32_e32 v7, 0, v10, vcc_lo
	s_delay_alu instid0(VALU_DEP_1) | instskip(NEXT) | instid1(VALU_DEP_1)
	v_and_or_b32 v5, 0x80000000, v5, v7
	v_cvt_f16_f32_e32 v10, v5
.LBB56_2607:
	s_mov_b32 s1, 0
.LBB56_2608:
	s_delay_alu instid0(SALU_CYCLE_1)
	s_and_not1_b32 vcc_lo, exec_lo, s1
	s_cbranch_vccnz .LBB56_2610
; %bb.2609:
	global_load_u8 v5, v[8:9], off
	s_wait_loadcnt 0x0
	v_lshlrev_b32_e32 v7, 25, v5
	v_lshlrev_b16 v5, 8, v5
	s_wait_xcnt 0x1
	s_delay_alu instid0(VALU_DEP_1) | instskip(SKIP_1) | instid1(VALU_DEP_2)
	v_and_or_b32 v11, 0x7f00, v5, 0.5
	v_bfe_i32 v5, v5, 0, 16
	v_add_f32_e32 v11, -0.5, v11
	v_lshrrev_b32_e32 v10, 4, v7
	v_cmp_gt_u32_e32 vcc_lo, 0x8000000, v7
	s_delay_alu instid0(VALU_DEP_2) | instskip(NEXT) | instid1(VALU_DEP_1)
	v_or_b32_e32 v10, 0x70000000, v10
	v_mul_f32_e32 v10, 0x7800000, v10
	s_delay_alu instid0(VALU_DEP_1) | instskip(NEXT) | instid1(VALU_DEP_1)
	v_cndmask_b32_e32 v7, v10, v11, vcc_lo
	v_and_or_b32 v5, 0x80000000, v5, v7
	s_delay_alu instid0(VALU_DEP_1)
	v_cvt_f16_f32_e32 v10, v5
.LBB56_2610:
	s_mov_b32 s1, 0
	s_mov_b32 s6, -1
.LBB56_2611:
	s_and_not1_b32 vcc_lo, exec_lo, s1
	s_mov_b32 s1, 0
	s_cbranch_vccnz .LBB56_2622
; %bb.2612:
	s_cmp_gt_i32 s12, 14
	s_cbranch_scc0 .LBB56_2615
; %bb.2613:
	s_cmp_eq_u32 s12, 15
	s_cbranch_scc0 .LBB56_2618
; %bb.2614:
	global_load_u16 v5, v[8:9], off
	s_mov_b32 s0, 0
	s_mov_b32 s6, -1
	s_wait_loadcnt 0x0
	v_lshlrev_b32_e32 v5, 16, v5
	s_wait_xcnt 0x1
	s_delay_alu instid0(VALU_DEP_1)
	v_cvt_f16_f32_e32 v10, v5
	s_branch .LBB56_2620
.LBB56_2615:
	s_mov_b32 s1, -1
	s_branch .LBB56_2619
.LBB56_2616:
	s_or_saveexec_b32 s6, s6
	v_mov_b32_e32 v10, 0x7e00
	s_xor_b32 exec_lo, exec_lo, s6
	s_cbranch_execz .LBB56_2597
.LBB56_2617:
	v_cmp_ne_u16_e32 vcc_lo, 0, v5
	v_mov_b32_e32 v10, v5
	s_and_not1_b32 s1, s1, exec_lo
	s_and_b32 s7, vcc_lo, exec_lo
	s_delay_alu instid0(SALU_CYCLE_1)
	s_or_b32 s1, s1, s7
	s_or_b32 exec_lo, exec_lo, s6
	s_and_saveexec_b32 s6, s1
	s_cbranch_execnz .LBB56_2598
	s_branch .LBB56_2599
.LBB56_2618:
	s_mov_b32 s0, -1
.LBB56_2619:
                                        ; implicit-def: $vgpr10
.LBB56_2620:
	s_and_b32 vcc_lo, exec_lo, s1
	s_mov_b32 s1, 0
	s_cbranch_vccz .LBB56_2622
; %bb.2621:
	s_cmp_lg_u32 s12, 11
	s_mov_b32 s1, -1
	s_cselect_b32 s0, -1, 0
.LBB56_2622:
	s_delay_alu instid0(SALU_CYCLE_1)
	s_and_b32 vcc_lo, exec_lo, s0
	s_cbranch_vccnz .LBB56_3151
; %bb.2623:
	s_and_not1_b32 vcc_lo, exec_lo, s1
	s_cbranch_vccnz .LBB56_2625
.LBB56_2624:
	global_load_u8 v5, v[8:9], off
	s_mov_b32 s6, -1
	s_wait_loadcnt 0x0
	v_cmp_ne_u16_e32 vcc_lo, 0, v5
	s_wait_xcnt 0x1
	v_cndmask_b32_e64 v10, 0, 0x3c00, vcc_lo
.LBB56_2625:
	s_mov_b32 s0, 0
.LBB56_2626:
	s_delay_alu instid0(SALU_CYCLE_1)
	s_and_b32 vcc_lo, exec_lo, s0
	s_cbranch_vccz .LBB56_2675
; %bb.2627:
	s_cmp_lt_i32 s12, 5
	s_cbranch_scc1 .LBB56_2632
; %bb.2628:
	s_cmp_lt_i32 s12, 8
	s_cbranch_scc1 .LBB56_2633
; %bb.2629:
	s_cmp_lt_i32 s12, 9
	s_cbranch_scc1 .LBB56_2634
; %bb.2630:
	s_cmp_gt_i32 s12, 9
	s_cbranch_scc0 .LBB56_2635
; %bb.2631:
	global_load_b64 v[10:11], v[8:9], off
	s_mov_b32 s0, 0
	s_wait_loadcnt 0x0
	v_and_or_b32 v5, 0x1ff, v11, v10
	v_lshrrev_b32_e32 v7, 8, v11
	v_bfe_u32 v10, v11, 20, 11
	s_delay_alu instid0(VALU_DEP_3) | instskip(NEXT) | instid1(VALU_DEP_2)
	v_cmp_ne_u32_e32 vcc_lo, 0, v5
	v_sub_nc_u32_e32 v13, 0x3f1, v10
	v_add_nc_u32_e32 v10, 0xfffffc10, v10
	v_cndmask_b32_e64 v5, 0, 1, vcc_lo
	s_delay_alu instid0(VALU_DEP_1) | instskip(NEXT) | instid1(VALU_DEP_4)
	v_and_or_b32 v5, 0xffe, v7, v5
	v_med3_i32 v7, v13, 0, 13
	s_delay_alu instid0(VALU_DEP_2) | instskip(NEXT) | instid1(VALU_DEP_1)
	v_or_b32_e32 v13, 0x1000, v5
	v_lshrrev_b32_e32 v15, v7, v13
	s_delay_alu instid0(VALU_DEP_1) | instskip(NEXT) | instid1(VALU_DEP_1)
	v_lshlrev_b32_e32 v7, v7, v15
	v_cmp_ne_u32_e32 vcc_lo, v7, v13
	v_lshl_or_b32 v13, v10, 12, v5
	v_cndmask_b32_e64 v7, 0, 1, vcc_lo
	v_cmp_gt_i32_e32 vcc_lo, 1, v10
	s_delay_alu instid0(VALU_DEP_2) | instskip(NEXT) | instid1(VALU_DEP_1)
	v_or_b32_e32 v7, v15, v7
	v_cndmask_b32_e32 v7, v13, v7, vcc_lo
	s_delay_alu instid0(VALU_DEP_1) | instskip(NEXT) | instid1(VALU_DEP_1)
	v_dual_lshrrev_b32 v7, 2, v7 :: v_dual_bitop2_b32 v13, 7, v7 bitop3:0x40
	v_cmp_lt_i32_e32 vcc_lo, 5, v13
	v_cndmask_b32_e64 v15, 0, 1, vcc_lo
	v_cmp_eq_u32_e32 vcc_lo, 3, v13
	v_cndmask_b32_e64 v13, 0, 1, vcc_lo
	v_cmp_ne_u32_e32 vcc_lo, 0, v5
	s_delay_alu instid0(VALU_DEP_2) | instskip(SKIP_1) | instid1(VALU_DEP_2)
	v_or_b32_e32 v13, v13, v15
	v_mov_b32_e32 v15, 0x7e00
	v_add_nc_u32_e32 v7, v7, v13
	s_delay_alu instid0(VALU_DEP_2) | instskip(SKIP_1) | instid1(VALU_DEP_3)
	v_cndmask_b32_e32 v5, 0x7c00, v15, vcc_lo
	v_cmp_gt_i32_e32 vcc_lo, 31, v10
	v_cndmask_b32_e32 v7, 0x7c00, v7, vcc_lo
	v_cmp_eq_u32_e32 vcc_lo, 0x40f, v10
	s_delay_alu instid0(VALU_DEP_2) | instskip(NEXT) | instid1(VALU_DEP_1)
	v_dual_cndmask_b32 v5, v7, v5, vcc_lo :: v_dual_lshrrev_b32 v7, 16, v11
	v_and_or_b32 v10, 0x8000, v7, v5
	s_branch .LBB56_2636
.LBB56_2632:
	s_mov_b32 s0, -1
                                        ; implicit-def: $vgpr10
	s_branch .LBB56_2654
.LBB56_2633:
	s_mov_b32 s0, -1
                                        ; implicit-def: $vgpr10
	s_branch .LBB56_2642
.LBB56_2634:
	s_mov_b32 s0, -1
                                        ; implicit-def: $vgpr10
	s_branch .LBB56_2639
.LBB56_2635:
	s_mov_b32 s0, -1
                                        ; implicit-def: $vgpr10
.LBB56_2636:
	s_delay_alu instid0(SALU_CYCLE_1)
	s_and_not1_b32 vcc_lo, exec_lo, s0
	s_cbranch_vccnz .LBB56_2638
; %bb.2637:
	global_load_b32 v5, v[8:9], off
	s_wait_loadcnt 0x0
	s_wait_xcnt 0x1
	v_cvt_f16_f32_e32 v10, v5
.LBB56_2638:
	s_mov_b32 s0, 0
.LBB56_2639:
	s_delay_alu instid0(SALU_CYCLE_1)
	s_and_not1_b32 vcc_lo, exec_lo, s0
	s_cbranch_vccnz .LBB56_2641
; %bb.2640:
	global_load_b32 v10, v[8:9], off
.LBB56_2641:
	s_mov_b32 s0, 0
.LBB56_2642:
	s_delay_alu instid0(SALU_CYCLE_1)
	s_and_not1_b32 vcc_lo, exec_lo, s0
	s_cbranch_vccnz .LBB56_2653
; %bb.2643:
	s_cmp_lt_i32 s12, 6
	s_cbranch_scc1 .LBB56_2646
; %bb.2644:
	s_cmp_gt_i32 s12, 6
	s_cbranch_scc0 .LBB56_2647
; %bb.2645:
	s_wait_loadcnt 0x0
	global_load_b64 v[10:11], v[8:9], off
	s_mov_b32 s0, 0
	s_wait_loadcnt 0x0
	v_and_or_b32 v5, 0x1ff, v11, v10
	v_lshrrev_b32_e32 v7, 8, v11
	v_bfe_u32 v10, v11, 20, 11
	s_delay_alu instid0(VALU_DEP_3) | instskip(NEXT) | instid1(VALU_DEP_2)
	v_cmp_ne_u32_e32 vcc_lo, 0, v5
	v_sub_nc_u32_e32 v13, 0x3f1, v10
	v_add_nc_u32_e32 v10, 0xfffffc10, v10
	v_cndmask_b32_e64 v5, 0, 1, vcc_lo
	s_delay_alu instid0(VALU_DEP_1) | instskip(NEXT) | instid1(VALU_DEP_4)
	v_and_or_b32 v5, 0xffe, v7, v5
	v_med3_i32 v7, v13, 0, 13
	s_delay_alu instid0(VALU_DEP_2) | instskip(NEXT) | instid1(VALU_DEP_1)
	v_or_b32_e32 v13, 0x1000, v5
	v_lshrrev_b32_e32 v15, v7, v13
	s_delay_alu instid0(VALU_DEP_1) | instskip(NEXT) | instid1(VALU_DEP_1)
	v_lshlrev_b32_e32 v7, v7, v15
	v_cmp_ne_u32_e32 vcc_lo, v7, v13
	v_lshl_or_b32 v13, v10, 12, v5
	v_cndmask_b32_e64 v7, 0, 1, vcc_lo
	v_cmp_gt_i32_e32 vcc_lo, 1, v10
	s_delay_alu instid0(VALU_DEP_2) | instskip(NEXT) | instid1(VALU_DEP_1)
	v_or_b32_e32 v7, v15, v7
	v_cndmask_b32_e32 v7, v13, v7, vcc_lo
	s_delay_alu instid0(VALU_DEP_1) | instskip(NEXT) | instid1(VALU_DEP_1)
	v_dual_lshrrev_b32 v7, 2, v7 :: v_dual_bitop2_b32 v13, 7, v7 bitop3:0x40
	v_cmp_lt_i32_e32 vcc_lo, 5, v13
	v_cndmask_b32_e64 v15, 0, 1, vcc_lo
	v_cmp_eq_u32_e32 vcc_lo, 3, v13
	v_cndmask_b32_e64 v13, 0, 1, vcc_lo
	v_cmp_ne_u32_e32 vcc_lo, 0, v5
	s_delay_alu instid0(VALU_DEP_2) | instskip(SKIP_1) | instid1(VALU_DEP_2)
	v_or_b32_e32 v13, v13, v15
	v_mov_b32_e32 v15, 0x7e00
	v_add_nc_u32_e32 v7, v7, v13
	s_delay_alu instid0(VALU_DEP_2) | instskip(SKIP_1) | instid1(VALU_DEP_3)
	v_cndmask_b32_e32 v5, 0x7c00, v15, vcc_lo
	v_cmp_gt_i32_e32 vcc_lo, 31, v10
	v_cndmask_b32_e32 v7, 0x7c00, v7, vcc_lo
	v_cmp_eq_u32_e32 vcc_lo, 0x40f, v10
	s_delay_alu instid0(VALU_DEP_2) | instskip(NEXT) | instid1(VALU_DEP_1)
	v_dual_cndmask_b32 v5, v7, v5, vcc_lo :: v_dual_lshrrev_b32 v7, 16, v11
	v_and_or_b32 v10, 0x8000, v7, v5
	s_branch .LBB56_2648
.LBB56_2646:
	s_mov_b32 s0, -1
                                        ; implicit-def: $vgpr10
	s_branch .LBB56_2651
.LBB56_2647:
	s_mov_b32 s0, -1
                                        ; implicit-def: $vgpr10
.LBB56_2648:
	s_delay_alu instid0(SALU_CYCLE_1)
	s_and_not1_b32 vcc_lo, exec_lo, s0
	s_cbranch_vccnz .LBB56_2650
; %bb.2649:
	global_load_b32 v5, v[8:9], off
	s_wait_loadcnt 0x0
	s_wait_xcnt 0x1
	v_cvt_f16_f32_e32 v10, v5
.LBB56_2650:
	s_mov_b32 s0, 0
.LBB56_2651:
	s_delay_alu instid0(SALU_CYCLE_1)
	s_and_not1_b32 vcc_lo, exec_lo, s0
	s_cbranch_vccnz .LBB56_2653
; %bb.2652:
	s_wait_loadcnt 0x0
	global_load_u16 v10, v[8:9], off
.LBB56_2653:
	s_mov_b32 s0, 0
.LBB56_2654:
	s_delay_alu instid0(SALU_CYCLE_1)
	s_and_not1_b32 vcc_lo, exec_lo, s0
	s_cbranch_vccnz .LBB56_2674
; %bb.2655:
	s_cmp_lt_i32 s12, 2
	s_cbranch_scc1 .LBB56_2659
; %bb.2656:
	s_cmp_lt_i32 s12, 3
	s_cbranch_scc1 .LBB56_2660
; %bb.2657:
	s_cmp_gt_i32 s12, 3
	s_cbranch_scc0 .LBB56_2661
; %bb.2658:
	s_wait_loadcnt 0x0
	global_load_b64 v[10:11], v[8:9], off
	s_mov_b32 s0, 0
	s_wait_loadcnt 0x0
	v_xor_b32_e32 v5, v10, v11
	v_cls_i32_e32 v7, v11
	s_delay_alu instid0(VALU_DEP_2) | instskip(NEXT) | instid1(VALU_DEP_1)
	v_ashrrev_i32_e32 v5, 31, v5
	v_add_nc_u32_e32 v5, 32, v5
	s_delay_alu instid0(VALU_DEP_1) | instskip(NEXT) | instid1(VALU_DEP_1)
	v_add_min_u32_e64 v5, v7, -1, v5
	v_lshlrev_b64_e32 v[10:11], v5, v[10:11]
	v_sub_nc_u32_e32 v5, 32, v5
	s_delay_alu instid0(VALU_DEP_2) | instskip(NEXT) | instid1(VALU_DEP_1)
	v_min_u32_e32 v7, 1, v10
	v_or_b32_e32 v7, v11, v7
	s_delay_alu instid0(VALU_DEP_1) | instskip(NEXT) | instid1(VALU_DEP_1)
	v_cvt_f32_i32_e32 v7, v7
	v_ldexp_f32 v5, v7, v5
	s_delay_alu instid0(VALU_DEP_1)
	v_cvt_f16_f32_e32 v10, v5
	s_branch .LBB56_2662
.LBB56_2659:
	s_mov_b32 s0, -1
                                        ; implicit-def: $vgpr10
	s_branch .LBB56_2668
.LBB56_2660:
	s_mov_b32 s0, -1
                                        ; implicit-def: $vgpr10
	s_branch .LBB56_2665
.LBB56_2661:
	s_mov_b32 s0, -1
                                        ; implicit-def: $vgpr10
.LBB56_2662:
	s_delay_alu instid0(SALU_CYCLE_1)
	s_and_not1_b32 vcc_lo, exec_lo, s0
	s_cbranch_vccnz .LBB56_2664
; %bb.2663:
	global_load_b32 v5, v[8:9], off
	s_wait_loadcnt 0x0
	v_cvt_f32_i32_e32 v5, v5
	s_wait_xcnt 0x1
	s_delay_alu instid0(VALU_DEP_1)
	v_cvt_f16_f32_e32 v10, v5
.LBB56_2664:
	s_mov_b32 s0, 0
.LBB56_2665:
	s_delay_alu instid0(SALU_CYCLE_1)
	s_and_not1_b32 vcc_lo, exec_lo, s0
	s_cbranch_vccnz .LBB56_2667
; %bb.2666:
	global_load_u16 v5, v[8:9], off
	s_wait_loadcnt 0x0
	s_wait_xcnt 0x1
	v_cvt_f16_i16_e32 v10, v5
.LBB56_2667:
	s_mov_b32 s0, 0
.LBB56_2668:
	s_delay_alu instid0(SALU_CYCLE_1)
	s_and_not1_b32 vcc_lo, exec_lo, s0
	s_cbranch_vccnz .LBB56_2674
; %bb.2669:
	s_cmp_gt_i32 s12, 0
	s_mov_b32 s0, 0
	s_cbranch_scc0 .LBB56_2671
; %bb.2670:
	global_load_i8 v5, v[8:9], off
	s_wait_loadcnt 0x0
	s_wait_xcnt 0x1
	v_cvt_f16_i16_e32 v10, v5
	s_branch .LBB56_2672
.LBB56_2671:
	s_mov_b32 s0, -1
                                        ; implicit-def: $vgpr10
.LBB56_2672:
	s_delay_alu instid0(SALU_CYCLE_1)
	s_and_not1_b32 vcc_lo, exec_lo, s0
	s_cbranch_vccnz .LBB56_2674
; %bb.2673:
	global_load_u8 v5, v[8:9], off
	s_wait_loadcnt 0x0
	s_wait_xcnt 0x1
	v_cvt_f16_u16_e32 v10, v5
.LBB56_2674:
	s_mov_b32 s6, -1
.LBB56_2675:
	s_delay_alu instid0(SALU_CYCLE_1)
	s_and_not1_b32 vcc_lo, exec_lo, s6
	s_cbranch_vccnz .LBB56_3106
; %bb.2676:
	s_wait_loadcnt 0x0
	v_mul_f16_e32 v3, v1, v3
	v_cmp_lt_f16_e64 s0, 0, v1
	v_mov_b32_e32 v7, 0
	s_mov_b32 s6, 0
	v_cndmask_b32_e64 v1, v3, v1, s0
	global_load_u8 v5, v7, s[2:3] offset:417
	s_wait_xcnt 0x0
	v_add_nc_u64_e32 v[6:7], s[4:5], v[6:7]
	s_mov_b32 s0, -1
	s_wait_loadcnt 0x0
	v_and_b32_e32 v8, 0xffff, v5
	v_readfirstlane_b32 s1, v5
	s_delay_alu instid0(VALU_DEP_2)
	v_cmp_gt_i32_e32 vcc_lo, 11, v8
	s_cbranch_vccnz .LBB56_2755
; %bb.2677:
	s_and_b32 s2, 0xffff, s1
	s_mov_b32 s7, -1
	s_mov_b32 s3, 0
	s_cmp_gt_i32 s2, 25
	s_mov_b32 s0, 0
	s_cbranch_scc0 .LBB56_2710
; %bb.2678:
	s_cmp_gt_i32 s2, 28
	s_cbranch_scc0 .LBB56_2693
; %bb.2679:
	s_cmp_gt_i32 s2, 43
	;; [unrolled: 3-line block ×3, first 2 shown]
	s_cbranch_scc0 .LBB56_2683
; %bb.2681:
	s_mov_b32 s0, -1
	s_mov_b32 s7, 0
	s_cmp_eq_u32 s2, 46
	s_cbranch_scc0 .LBB56_2683
; %bb.2682:
	v_cvt_f32_f16_e32 v3, v1
	v_cmp_o_f16_e32 vcc_lo, v1, v1
	s_mov_b32 s0, 0
	s_mov_b32 s6, -1
	s_delay_alu instid0(VALU_DEP_2) | instskip(NEXT) | instid1(VALU_DEP_1)
	v_bfe_u32 v5, v3, 16, 1
	v_add3_u32 v3, v3, v5, 0x7fff
	s_delay_alu instid0(VALU_DEP_1) | instskip(NEXT) | instid1(VALU_DEP_1)
	v_lshrrev_b32_e32 v3, 16, v3
	v_cndmask_b32_e32 v3, 0x7fc0, v3, vcc_lo
	global_store_b32 v[6:7], v3, off
.LBB56_2683:
	s_and_b32 vcc_lo, exec_lo, s7
	s_cbranch_vccz .LBB56_2688
; %bb.2684:
	s_cmp_eq_u32 s2, 44
	s_mov_b32 s0, -1
	s_cbranch_scc0 .LBB56_2688
; %bb.2685:
	s_wait_xcnt 0x0
	v_cvt_f32_f16_e32 v3, v1
	v_mov_b32_e32 v5, 0xff
	s_mov_b32 s6, exec_lo
	s_delay_alu instid0(VALU_DEP_2) | instskip(NEXT) | instid1(VALU_DEP_1)
	v_bfe_u32 v8, v3, 23, 8
	v_cmpx_ne_u32_e32 0xff, v8
	s_cbranch_execz .LBB56_2687
; %bb.2686:
	v_and_b32_e32 v5, 0x400000, v3
	v_and_or_b32 v8, 0x3fffff, v3, v8
	v_lshrrev_b32_e32 v3, 23, v3
	s_delay_alu instid0(VALU_DEP_3) | instskip(NEXT) | instid1(VALU_DEP_3)
	v_cmp_ne_u32_e32 vcc_lo, 0, v5
	v_cmp_ne_u32_e64 s0, 0, v8
	s_and_b32 s0, vcc_lo, s0
	s_delay_alu instid0(SALU_CYCLE_1) | instskip(NEXT) | instid1(VALU_DEP_1)
	v_cndmask_b32_e64 v5, 0, 1, s0
	v_add_nc_u32_e32 v5, v3, v5
.LBB56_2687:
	s_or_b32 exec_lo, exec_lo, s6
	s_mov_b32 s0, 0
	s_mov_b32 s6, -1
	global_store_b8 v[6:7], v5, off
.LBB56_2688:
	s_mov_b32 s7, 0
.LBB56_2689:
	s_delay_alu instid0(SALU_CYCLE_1)
	s_and_b32 vcc_lo, exec_lo, s7
	s_cbranch_vccz .LBB56_2692
; %bb.2690:
	s_cmp_eq_u32 s2, 29
	s_mov_b32 s0, -1
	s_cbranch_scc0 .LBB56_2692
; %bb.2691:
	s_wait_xcnt 0x0
	v_cvt_f32_f16_e32 v3, v1
	v_mov_b32_e32 v9, 0
	s_mov_b32 s0, 0
	s_mov_b32 s6, -1
	s_delay_alu instid0(VALU_DEP_2)
	v_cvt_u32_f32_e32 v8, v3
	global_store_b64 v[6:7], v[8:9], off
.LBB56_2692:
	s_mov_b32 s7, 0
.LBB56_2693:
	s_delay_alu instid0(SALU_CYCLE_1)
	s_and_b32 vcc_lo, exec_lo, s7
	s_cbranch_vccz .LBB56_2709
; %bb.2694:
	s_cmp_lt_i32 s2, 27
	s_mov_b32 s6, -1
	s_cbranch_scc1 .LBB56_2700
; %bb.2695:
	s_cmp_gt_i32 s2, 27
	s_cbranch_scc0 .LBB56_2697
; %bb.2696:
	s_wait_xcnt 0x0
	v_cvt_f32_f16_e32 v3, v1
	s_mov_b32 s6, 0
	s_delay_alu instid0(VALU_DEP_1)
	v_cvt_u32_f32_e32 v3, v3
	global_store_b32 v[6:7], v3, off
.LBB56_2697:
	s_and_not1_b32 vcc_lo, exec_lo, s6
	s_cbranch_vccnz .LBB56_2699
; %bb.2698:
	s_wait_xcnt 0x0
	v_cvt_u16_f16_e32 v3, v1
	global_store_b16 v[6:7], v3, off
.LBB56_2699:
	s_mov_b32 s6, 0
.LBB56_2700:
	s_delay_alu instid0(SALU_CYCLE_1)
	s_and_not1_b32 vcc_lo, exec_lo, s6
	s_cbranch_vccnz .LBB56_2708
; %bb.2701:
	s_wait_xcnt 0x0
	v_cvt_f32_f16_e32 v3, v1
	v_mov_b32_e32 v8, 0x80
	s_mov_b32 s6, exec_lo
	s_delay_alu instid0(VALU_DEP_2) | instskip(NEXT) | instid1(VALU_DEP_1)
	v_and_b32_e32 v5, 0x7fffffff, v3
	v_cmpx_gt_u32_e32 0x43800000, v5
	s_cbranch_execz .LBB56_2707
; %bb.2702:
	v_cmp_lt_u32_e32 vcc_lo, 0x3bffffff, v5
	s_mov_b32 s7, 0
                                        ; implicit-def: $vgpr5
	s_and_saveexec_b32 s11, vcc_lo
	s_delay_alu instid0(SALU_CYCLE_1)
	s_xor_b32 s11, exec_lo, s11
	s_cbranch_execz .LBB56_3152
; %bb.2703:
	v_bfe_u32 v5, v3, 20, 1
	s_mov_b32 s7, exec_lo
	s_delay_alu instid0(VALU_DEP_1) | instskip(NEXT) | instid1(VALU_DEP_1)
	v_add3_u32 v5, v3, v5, 0x487ffff
	v_lshrrev_b32_e32 v5, 20, v5
	s_and_not1_saveexec_b32 s11, s11
	s_cbranch_execnz .LBB56_3153
.LBB56_2704:
	s_or_b32 exec_lo, exec_lo, s11
	v_mov_b32_e32 v8, 0
	s_and_saveexec_b32 s11, s7
.LBB56_2705:
	v_lshrrev_b32_e32 v3, 24, v3
	s_delay_alu instid0(VALU_DEP_1)
	v_and_or_b32 v8, 0x80, v3, v5
.LBB56_2706:
	s_or_b32 exec_lo, exec_lo, s11
.LBB56_2707:
	s_delay_alu instid0(SALU_CYCLE_1)
	s_or_b32 exec_lo, exec_lo, s6
	global_store_b8 v[6:7], v8, off
.LBB56_2708:
	s_mov_b32 s6, -1
.LBB56_2709:
	s_mov_b32 s7, 0
.LBB56_2710:
	s_delay_alu instid0(SALU_CYCLE_1)
	s_and_b32 vcc_lo, exec_lo, s7
	s_cbranch_vccz .LBB56_2750
; %bb.2711:
	s_cmp_gt_i32 s2, 22
	s_mov_b32 s3, -1
	s_cbranch_scc0 .LBB56_2743
; %bb.2712:
	s_cmp_lt_i32 s2, 24
	s_cbranch_scc1 .LBB56_2732
; %bb.2713:
	s_cmp_gt_i32 s2, 24
	s_cbranch_scc0 .LBB56_2721
; %bb.2714:
	s_wait_xcnt 0x0
	v_cvt_f32_f16_e32 v3, v1
	v_mov_b32_e32 v8, 0x80
	s_mov_b32 s3, exec_lo
	s_delay_alu instid0(VALU_DEP_2) | instskip(NEXT) | instid1(VALU_DEP_1)
	v_and_b32_e32 v5, 0x7fffffff, v3
	v_cmpx_gt_u32_e32 0x47800000, v5
	s_cbranch_execz .LBB56_2720
; %bb.2715:
	v_cmp_lt_u32_e32 vcc_lo, 0x37ffffff, v5
	s_mov_b32 s6, 0
                                        ; implicit-def: $vgpr5
	s_and_saveexec_b32 s7, vcc_lo
	s_delay_alu instid0(SALU_CYCLE_1)
	s_xor_b32 s7, exec_lo, s7
	s_cbranch_execz .LBB56_3155
; %bb.2716:
	v_bfe_u32 v5, v3, 21, 1
	s_mov_b32 s6, exec_lo
	s_delay_alu instid0(VALU_DEP_1) | instskip(NEXT) | instid1(VALU_DEP_1)
	v_add3_u32 v5, v3, v5, 0x88fffff
	v_lshrrev_b32_e32 v5, 21, v5
	s_and_not1_saveexec_b32 s7, s7
	s_cbranch_execnz .LBB56_3156
.LBB56_2717:
	s_or_b32 exec_lo, exec_lo, s7
	v_mov_b32_e32 v8, 0
	s_and_saveexec_b32 s7, s6
.LBB56_2718:
	v_lshrrev_b32_e32 v3, 24, v3
	s_delay_alu instid0(VALU_DEP_1)
	v_and_or_b32 v8, 0x80, v3, v5
.LBB56_2719:
	s_or_b32 exec_lo, exec_lo, s7
.LBB56_2720:
	s_delay_alu instid0(SALU_CYCLE_1)
	s_or_b32 exec_lo, exec_lo, s3
	s_mov_b32 s3, 0
	global_store_b8 v[6:7], v8, off
.LBB56_2721:
	s_and_b32 vcc_lo, exec_lo, s3
	s_cbranch_vccz .LBB56_2731
; %bb.2722:
	s_wait_xcnt 0x0
	v_cvt_f32_f16_e32 v3, v1
	s_mov_b32 s3, exec_lo
                                        ; implicit-def: $vgpr5
	s_delay_alu instid0(VALU_DEP_1) | instskip(NEXT) | instid1(VALU_DEP_1)
	v_and_b32_e32 v8, 0x7fffffff, v3
	v_cmpx_gt_u32_e32 0x43f00000, v8
	s_xor_b32 s3, exec_lo, s3
	s_cbranch_execz .LBB56_2728
; %bb.2723:
	s_mov_b32 s6, exec_lo
                                        ; implicit-def: $vgpr5
	v_cmpx_lt_u32_e32 0x3c7fffff, v8
	s_xor_b32 s6, exec_lo, s6
; %bb.2724:
	v_bfe_u32 v5, v3, 20, 1
	s_delay_alu instid0(VALU_DEP_1) | instskip(NEXT) | instid1(VALU_DEP_1)
	v_add3_u32 v5, v3, v5, 0x407ffff
	v_and_b32_e32 v8, 0xff00000, v5
	v_lshrrev_b32_e32 v5, 20, v5
	s_delay_alu instid0(VALU_DEP_2) | instskip(NEXT) | instid1(VALU_DEP_2)
	v_cmp_ne_u32_e32 vcc_lo, 0x7f00000, v8
	v_cndmask_b32_e32 v5, 0x7e, v5, vcc_lo
; %bb.2725:
	s_and_not1_saveexec_b32 s6, s6
; %bb.2726:
	v_add_f32_e64 v5, 0x46800000, |v3|
; %bb.2727:
	s_or_b32 exec_lo, exec_lo, s6
                                        ; implicit-def: $vgpr8
.LBB56_2728:
	s_and_not1_saveexec_b32 s3, s3
; %bb.2729:
	v_mov_b32_e32 v5, 0x7f
	v_cmp_lt_u32_e32 vcc_lo, 0x7f800000, v8
	s_delay_alu instid0(VALU_DEP_2)
	v_cndmask_b32_e32 v5, 0x7e, v5, vcc_lo
; %bb.2730:
	s_or_b32 exec_lo, exec_lo, s3
	v_lshrrev_b32_e32 v3, 24, v3
	s_delay_alu instid0(VALU_DEP_1)
	v_and_or_b32 v3, 0x80, v3, v5
	global_store_b8 v[6:7], v3, off
.LBB56_2731:
	s_mov_b32 s3, 0
.LBB56_2732:
	s_delay_alu instid0(SALU_CYCLE_1)
	s_and_not1_b32 vcc_lo, exec_lo, s3
	s_cbranch_vccnz .LBB56_2742
; %bb.2733:
	s_wait_xcnt 0x0
	v_cvt_f32_f16_e32 v3, v1
	s_mov_b32 s3, exec_lo
                                        ; implicit-def: $vgpr5
	s_delay_alu instid0(VALU_DEP_1) | instskip(NEXT) | instid1(VALU_DEP_1)
	v_and_b32_e32 v8, 0x7fffffff, v3
	v_cmpx_gt_u32_e32 0x47800000, v8
	s_xor_b32 s3, exec_lo, s3
	s_cbranch_execz .LBB56_2739
; %bb.2734:
	s_mov_b32 s6, exec_lo
                                        ; implicit-def: $vgpr5
	v_cmpx_lt_u32_e32 0x387fffff, v8
	s_xor_b32 s6, exec_lo, s6
; %bb.2735:
	v_bfe_u32 v5, v3, 21, 1
	s_delay_alu instid0(VALU_DEP_1) | instskip(NEXT) | instid1(VALU_DEP_1)
	v_add3_u32 v5, v3, v5, 0x80fffff
	v_lshrrev_b32_e32 v5, 21, v5
; %bb.2736:
	s_and_not1_saveexec_b32 s6, s6
; %bb.2737:
	v_add_f32_e64 v5, 0x43000000, |v3|
; %bb.2738:
	s_or_b32 exec_lo, exec_lo, s6
                                        ; implicit-def: $vgpr8
.LBB56_2739:
	s_and_not1_saveexec_b32 s3, s3
; %bb.2740:
	v_mov_b32_e32 v5, 0x7f
	v_cmp_lt_u32_e32 vcc_lo, 0x7f800000, v8
	s_delay_alu instid0(VALU_DEP_2)
	v_cndmask_b32_e32 v5, 0x7c, v5, vcc_lo
; %bb.2741:
	s_or_b32 exec_lo, exec_lo, s3
	v_lshrrev_b32_e32 v3, 24, v3
	s_delay_alu instid0(VALU_DEP_1)
	v_and_or_b32 v3, 0x80, v3, v5
	global_store_b8 v[6:7], v3, off
.LBB56_2742:
	s_mov_b32 s3, 0
	s_mov_b32 s6, -1
.LBB56_2743:
	s_and_not1_b32 vcc_lo, exec_lo, s3
	s_mov_b32 s3, 0
	s_cbranch_vccnz .LBB56_2750
; %bb.2744:
	s_cmp_gt_i32 s2, 14
	s_mov_b32 s3, -1
	s_cbranch_scc0 .LBB56_2748
; %bb.2745:
	s_cmp_eq_u32 s2, 15
	s_mov_b32 s0, -1
	s_cbranch_scc0 .LBB56_2747
; %bb.2746:
	s_wait_xcnt 0x0
	v_cvt_f32_f16_e32 v3, v1
	v_cmp_o_f16_e32 vcc_lo, v1, v1
	s_mov_b32 s0, 0
	s_mov_b32 s6, -1
	s_delay_alu instid0(VALU_DEP_2) | instskip(NEXT) | instid1(VALU_DEP_1)
	v_bfe_u32 v5, v3, 16, 1
	v_add3_u32 v3, v3, v5, 0x7fff
	s_delay_alu instid0(VALU_DEP_1) | instskip(NEXT) | instid1(VALU_DEP_1)
	v_lshrrev_b32_e32 v3, 16, v3
	v_cndmask_b32_e32 v3, 0x7fc0, v3, vcc_lo
	global_store_b16 v[6:7], v3, off
.LBB56_2747:
	s_mov_b32 s3, 0
.LBB56_2748:
	s_delay_alu instid0(SALU_CYCLE_1)
	s_and_b32 vcc_lo, exec_lo, s3
	s_mov_b32 s3, 0
	s_cbranch_vccz .LBB56_2750
; %bb.2749:
	s_cmp_lg_u32 s2, 11
	s_mov_b32 s3, -1
	s_cselect_b32 s0, -1, 0
.LBB56_2750:
	s_delay_alu instid0(SALU_CYCLE_1)
	s_and_b32 vcc_lo, exec_lo, s0
	s_cbranch_vccnz .LBB56_3154
; %bb.2751:
	s_and_not1_b32 vcc_lo, exec_lo, s3
	s_cbranch_vccnz .LBB56_2753
.LBB56_2752:
	s_wait_xcnt 0x0
	v_and_b32_e32 v3, 0x7fff, v1
	s_mov_b32 s6, -1
	s_delay_alu instid0(VALU_DEP_1)
	v_cmp_ne_u16_e32 vcc_lo, 0, v3
	v_cndmask_b32_e64 v3, 0, 1, vcc_lo
	global_store_b8 v[6:7], v3, off
.LBB56_2753:
.LBB56_2754:
	s_and_not1_b32 vcc_lo, exec_lo, s6
	s_cbranch_vccz .LBB56_2794
	s_branch .LBB56_3106
.LBB56_2755:
	s_and_b32 vcc_lo, exec_lo, s0
	s_cbranch_vccz .LBB56_2754
; %bb.2756:
	s_and_b32 s0, 0xffff, s1
	s_mov_b32 s2, -1
	s_cmp_lt_i32 s0, 5
	s_cbranch_scc1 .LBB56_2777
; %bb.2757:
	s_cmp_lt_i32 s0, 8
	s_cbranch_scc1 .LBB56_2767
; %bb.2758:
	;; [unrolled: 3-line block ×3, first 2 shown]
	s_cmp_gt_i32 s0, 9
	s_cbranch_scc0 .LBB56_2761
; %bb.2760:
	s_wait_xcnt 0x0
	v_cvt_f32_f16_e32 v3, v1
	v_mov_b32_e32 v24, 0
	s_mov_b32 s2, 0
	s_delay_alu instid0(VALU_DEP_2) | instskip(NEXT) | instid1(VALU_DEP_2)
	v_cvt_f64_f32_e32 v[22:23], v3
	v_mov_b32_e32 v25, v24
	global_store_b128 v[6:7], v[22:25], off
.LBB56_2761:
	s_and_not1_b32 vcc_lo, exec_lo, s2
	s_cbranch_vccnz .LBB56_2763
; %bb.2762:
	s_wait_xcnt 0x0
	v_cvt_f32_f16_e32 v8, v1
	v_mov_b32_e32 v9, 0
	global_store_b64 v[6:7], v[8:9], off
.LBB56_2763:
	s_mov_b32 s2, 0
.LBB56_2764:
	s_delay_alu instid0(SALU_CYCLE_1)
	s_and_not1_b32 vcc_lo, exec_lo, s2
	s_cbranch_vccnz .LBB56_2766
; %bb.2765:
	s_wait_xcnt 0x0
	v_and_b32_e32 v3, 0xffff, v1
	global_store_b32 v[6:7], v3, off
.LBB56_2766:
	s_mov_b32 s2, 0
.LBB56_2767:
	s_delay_alu instid0(SALU_CYCLE_1)
	s_and_not1_b32 vcc_lo, exec_lo, s2
	s_cbranch_vccnz .LBB56_2776
; %bb.2768:
	s_cmp_lt_i32 s0, 6
	s_mov_b32 s2, -1
	s_cbranch_scc1 .LBB56_2774
; %bb.2769:
	s_cmp_gt_i32 s0, 6
	s_cbranch_scc0 .LBB56_2771
; %bb.2770:
	s_wait_xcnt 0x0
	v_cvt_f32_f16_e32 v3, v1
	s_mov_b32 s2, 0
	s_delay_alu instid0(VALU_DEP_1)
	v_cvt_f64_f32_e32 v[8:9], v3
	global_store_b64 v[6:7], v[8:9], off
.LBB56_2771:
	s_and_not1_b32 vcc_lo, exec_lo, s2
	s_cbranch_vccnz .LBB56_2773
; %bb.2772:
	s_wait_xcnt 0x0
	v_cvt_f32_f16_e32 v3, v1
	global_store_b32 v[6:7], v3, off
.LBB56_2773:
	s_mov_b32 s2, 0
.LBB56_2774:
	s_delay_alu instid0(SALU_CYCLE_1)
	s_and_not1_b32 vcc_lo, exec_lo, s2
	s_cbranch_vccnz .LBB56_2776
; %bb.2775:
	global_store_b16 v[6:7], v1, off
.LBB56_2776:
	s_mov_b32 s2, 0
.LBB56_2777:
	s_delay_alu instid0(SALU_CYCLE_1)
	s_and_not1_b32 vcc_lo, exec_lo, s2
	s_cbranch_vccnz .LBB56_2793
; %bb.2778:
	s_cmp_lt_i32 s0, 2
	s_mov_b32 s2, -1
	s_cbranch_scc1 .LBB56_2788
; %bb.2779:
	s_cmp_lt_i32 s0, 3
	s_cbranch_scc1 .LBB56_2785
; %bb.2780:
	s_cmp_gt_i32 s0, 3
	s_cbranch_scc0 .LBB56_2782
; %bb.2781:
	s_wait_xcnt 0x0
	v_cvt_f32_f16_e32 v3, v1
	s_mov_b32 s2, 0
	s_delay_alu instid0(VALU_DEP_1) | instskip(NEXT) | instid1(VALU_DEP_1)
	v_cvt_i32_f32_e32 v8, v3
	v_ashrrev_i32_e32 v9, 31, v8
	global_store_b64 v[6:7], v[8:9], off
.LBB56_2782:
	s_and_not1_b32 vcc_lo, exec_lo, s2
	s_cbranch_vccnz .LBB56_2784
; %bb.2783:
	s_wait_xcnt 0x0
	v_cvt_f32_f16_e32 v3, v1
	s_delay_alu instid0(VALU_DEP_1)
	v_cvt_i32_f32_e32 v3, v3
	global_store_b32 v[6:7], v3, off
.LBB56_2784:
	s_mov_b32 s2, 0
.LBB56_2785:
	s_delay_alu instid0(SALU_CYCLE_1)
	s_and_not1_b32 vcc_lo, exec_lo, s2
	s_cbranch_vccnz .LBB56_2787
; %bb.2786:
	s_wait_xcnt 0x0
	v_cvt_i16_f16_e32 v3, v1
	global_store_b16 v[6:7], v3, off
.LBB56_2787:
	s_mov_b32 s2, 0
.LBB56_2788:
	s_delay_alu instid0(SALU_CYCLE_1)
	s_and_not1_b32 vcc_lo, exec_lo, s2
	s_cbranch_vccnz .LBB56_2793
; %bb.2789:
	s_cmp_gt_i32 s0, 0
	s_mov_b32 s0, -1
	s_cbranch_scc0 .LBB56_2791
; %bb.2790:
	s_wait_xcnt 0x0
	v_cvt_i16_f16_e32 v3, v1
	s_mov_b32 s0, 0
	global_store_b8 v[6:7], v3, off
.LBB56_2791:
	s_and_not1_b32 vcc_lo, exec_lo, s0
	s_cbranch_vccnz .LBB56_2793
; %bb.2792:
	s_wait_xcnt 0x0
	v_cvt_f32_f16_e32 v1, v1
	s_delay_alu instid0(VALU_DEP_1)
	v_cvt_i32_f32_e32 v1, v1
	global_store_b8 v[6:7], v1, off
.LBB56_2793:
.LBB56_2794:
	s_wait_xcnt 0x0
	v_mul_f16_e32 v1, v20, v18
	v_cmp_lt_f16_e32 vcc_lo, 0, v20
	v_mov_b32_e32 v5, 0
	s_and_b32 s2, 0xffff, s1
	s_mov_b32 s6, 0
	s_cmp_lt_i32 s2, 11
	v_cndmask_b32_e32 v1, v1, v20, vcc_lo
	v_add_nc_u64_e32 v[4:5], s[4:5], v[4:5]
	s_mov_b32 s0, -1
	s_cbranch_scc1 .LBB56_2873
; %bb.2795:
	s_mov_b32 s7, -1
	s_mov_b32 s3, 0
	s_cmp_gt_i32 s2, 25
	s_mov_b32 s0, 0
	s_cbranch_scc0 .LBB56_2828
; %bb.2796:
	s_cmp_gt_i32 s2, 28
	s_cbranch_scc0 .LBB56_2811
; %bb.2797:
	s_cmp_gt_i32 s2, 43
	;; [unrolled: 3-line block ×3, first 2 shown]
	s_cbranch_scc0 .LBB56_2801
; %bb.2799:
	s_mov_b32 s0, -1
	s_mov_b32 s7, 0
	s_cmp_eq_u32 s2, 46
	s_cbranch_scc0 .LBB56_2801
; %bb.2800:
	v_cvt_f32_f16_e32 v3, v1
	v_cmp_o_f16_e32 vcc_lo, v1, v1
	s_mov_b32 s0, 0
	s_mov_b32 s6, -1
	s_delay_alu instid0(VALU_DEP_2) | instskip(NEXT) | instid1(VALU_DEP_1)
	v_bfe_u32 v6, v3, 16, 1
	v_add3_u32 v3, v3, v6, 0x7fff
	s_delay_alu instid0(VALU_DEP_1) | instskip(NEXT) | instid1(VALU_DEP_1)
	v_lshrrev_b32_e32 v3, 16, v3
	v_cndmask_b32_e32 v3, 0x7fc0, v3, vcc_lo
	global_store_b32 v[4:5], v3, off
.LBB56_2801:
	s_and_b32 vcc_lo, exec_lo, s7
	s_cbranch_vccz .LBB56_2806
; %bb.2802:
	s_cmp_eq_u32 s2, 44
	s_mov_b32 s0, -1
	s_cbranch_scc0 .LBB56_2806
; %bb.2803:
	s_wait_xcnt 0x0
	v_cvt_f32_f16_e32 v3, v1
	v_mov_b32_e32 v6, 0xff
	s_mov_b32 s6, exec_lo
	s_delay_alu instid0(VALU_DEP_2) | instskip(NEXT) | instid1(VALU_DEP_1)
	v_bfe_u32 v7, v3, 23, 8
	v_cmpx_ne_u32_e32 0xff, v7
	s_cbranch_execz .LBB56_2805
; %bb.2804:
	v_and_b32_e32 v6, 0x400000, v3
	v_and_or_b32 v7, 0x3fffff, v3, v7
	v_lshrrev_b32_e32 v3, 23, v3
	s_delay_alu instid0(VALU_DEP_3) | instskip(NEXT) | instid1(VALU_DEP_3)
	v_cmp_ne_u32_e32 vcc_lo, 0, v6
	v_cmp_ne_u32_e64 s0, 0, v7
	s_and_b32 s0, vcc_lo, s0
	s_delay_alu instid0(SALU_CYCLE_1) | instskip(NEXT) | instid1(VALU_DEP_1)
	v_cndmask_b32_e64 v6, 0, 1, s0
	v_add_nc_u32_e32 v6, v3, v6
.LBB56_2805:
	s_or_b32 exec_lo, exec_lo, s6
	s_mov_b32 s0, 0
	s_mov_b32 s6, -1
	global_store_b8 v[4:5], v6, off
.LBB56_2806:
	s_mov_b32 s7, 0
.LBB56_2807:
	s_delay_alu instid0(SALU_CYCLE_1)
	s_and_b32 vcc_lo, exec_lo, s7
	s_cbranch_vccz .LBB56_2810
; %bb.2808:
	s_cmp_eq_u32 s2, 29
	s_mov_b32 s0, -1
	s_cbranch_scc0 .LBB56_2810
; %bb.2809:
	s_wait_xcnt 0x0
	v_cvt_f32_f16_e32 v3, v1
	v_mov_b32_e32 v7, 0
	s_mov_b32 s0, 0
	s_mov_b32 s6, -1
	s_delay_alu instid0(VALU_DEP_2)
	v_cvt_u32_f32_e32 v6, v3
	global_store_b64 v[4:5], v[6:7], off
.LBB56_2810:
	s_mov_b32 s7, 0
.LBB56_2811:
	s_delay_alu instid0(SALU_CYCLE_1)
	s_and_b32 vcc_lo, exec_lo, s7
	s_cbranch_vccz .LBB56_2827
; %bb.2812:
	s_cmp_lt_i32 s2, 27
	s_mov_b32 s6, -1
	s_cbranch_scc1 .LBB56_2818
; %bb.2813:
	s_cmp_gt_i32 s2, 27
	s_cbranch_scc0 .LBB56_2815
; %bb.2814:
	s_wait_xcnt 0x0
	v_cvt_f32_f16_e32 v3, v1
	s_mov_b32 s6, 0
	s_delay_alu instid0(VALU_DEP_1)
	v_cvt_u32_f32_e32 v3, v3
	global_store_b32 v[4:5], v3, off
.LBB56_2815:
	s_and_not1_b32 vcc_lo, exec_lo, s6
	s_cbranch_vccnz .LBB56_2817
; %bb.2816:
	s_wait_xcnt 0x0
	v_cvt_u16_f16_e32 v3, v1
	global_store_b16 v[4:5], v3, off
.LBB56_2817:
	s_mov_b32 s6, 0
.LBB56_2818:
	s_delay_alu instid0(SALU_CYCLE_1)
	s_and_not1_b32 vcc_lo, exec_lo, s6
	s_cbranch_vccnz .LBB56_2826
; %bb.2819:
	s_wait_xcnt 0x0
	v_cvt_f32_f16_e32 v3, v1
	v_mov_b32_e32 v7, 0x80
	s_mov_b32 s6, exec_lo
	s_delay_alu instid0(VALU_DEP_2) | instskip(NEXT) | instid1(VALU_DEP_1)
	v_and_b32_e32 v6, 0x7fffffff, v3
	v_cmpx_gt_u32_e32 0x43800000, v6
	s_cbranch_execz .LBB56_2825
; %bb.2820:
	v_cmp_lt_u32_e32 vcc_lo, 0x3bffffff, v6
	s_mov_b32 s7, 0
                                        ; implicit-def: $vgpr6
	s_and_saveexec_b32 s11, vcc_lo
	s_delay_alu instid0(SALU_CYCLE_1)
	s_xor_b32 s11, exec_lo, s11
	s_cbranch_execz .LBB56_3157
; %bb.2821:
	v_bfe_u32 v6, v3, 20, 1
	s_mov_b32 s7, exec_lo
	s_delay_alu instid0(VALU_DEP_1) | instskip(NEXT) | instid1(VALU_DEP_1)
	v_add3_u32 v6, v3, v6, 0x487ffff
	v_lshrrev_b32_e32 v6, 20, v6
	s_and_not1_saveexec_b32 s11, s11
	s_cbranch_execnz .LBB56_3158
.LBB56_2822:
	s_or_b32 exec_lo, exec_lo, s11
	v_mov_b32_e32 v7, 0
	s_and_saveexec_b32 s11, s7
.LBB56_2823:
	v_lshrrev_b32_e32 v3, 24, v3
	s_delay_alu instid0(VALU_DEP_1)
	v_and_or_b32 v7, 0x80, v3, v6
.LBB56_2824:
	s_or_b32 exec_lo, exec_lo, s11
.LBB56_2825:
	s_delay_alu instid0(SALU_CYCLE_1)
	s_or_b32 exec_lo, exec_lo, s6
	global_store_b8 v[4:5], v7, off
.LBB56_2826:
	s_mov_b32 s6, -1
.LBB56_2827:
	s_mov_b32 s7, 0
.LBB56_2828:
	s_delay_alu instid0(SALU_CYCLE_1)
	s_and_b32 vcc_lo, exec_lo, s7
	s_cbranch_vccz .LBB56_2868
; %bb.2829:
	s_cmp_gt_i32 s2, 22
	s_mov_b32 s3, -1
	s_cbranch_scc0 .LBB56_2861
; %bb.2830:
	s_cmp_lt_i32 s2, 24
	s_cbranch_scc1 .LBB56_2850
; %bb.2831:
	s_cmp_gt_i32 s2, 24
	s_cbranch_scc0 .LBB56_2839
; %bb.2832:
	s_wait_xcnt 0x0
	v_cvt_f32_f16_e32 v3, v1
	v_mov_b32_e32 v7, 0x80
	s_mov_b32 s3, exec_lo
	s_delay_alu instid0(VALU_DEP_2) | instskip(NEXT) | instid1(VALU_DEP_1)
	v_and_b32_e32 v6, 0x7fffffff, v3
	v_cmpx_gt_u32_e32 0x47800000, v6
	s_cbranch_execz .LBB56_2838
; %bb.2833:
	v_cmp_lt_u32_e32 vcc_lo, 0x37ffffff, v6
	s_mov_b32 s6, 0
                                        ; implicit-def: $vgpr6
	s_and_saveexec_b32 s7, vcc_lo
	s_delay_alu instid0(SALU_CYCLE_1)
	s_xor_b32 s7, exec_lo, s7
	s_cbranch_execz .LBB56_3160
; %bb.2834:
	v_bfe_u32 v6, v3, 21, 1
	s_mov_b32 s6, exec_lo
	s_delay_alu instid0(VALU_DEP_1) | instskip(NEXT) | instid1(VALU_DEP_1)
	v_add3_u32 v6, v3, v6, 0x88fffff
	v_lshrrev_b32_e32 v6, 21, v6
	s_and_not1_saveexec_b32 s7, s7
	s_cbranch_execnz .LBB56_3161
.LBB56_2835:
	s_or_b32 exec_lo, exec_lo, s7
	v_mov_b32_e32 v7, 0
	s_and_saveexec_b32 s7, s6
.LBB56_2836:
	v_lshrrev_b32_e32 v3, 24, v3
	s_delay_alu instid0(VALU_DEP_1)
	v_and_or_b32 v7, 0x80, v3, v6
.LBB56_2837:
	s_or_b32 exec_lo, exec_lo, s7
.LBB56_2838:
	s_delay_alu instid0(SALU_CYCLE_1)
	s_or_b32 exec_lo, exec_lo, s3
	s_mov_b32 s3, 0
	global_store_b8 v[4:5], v7, off
.LBB56_2839:
	s_and_b32 vcc_lo, exec_lo, s3
	s_cbranch_vccz .LBB56_2849
; %bb.2840:
	s_wait_xcnt 0x0
	v_cvt_f32_f16_e32 v3, v1
	s_mov_b32 s3, exec_lo
                                        ; implicit-def: $vgpr6
	s_delay_alu instid0(VALU_DEP_1) | instskip(NEXT) | instid1(VALU_DEP_1)
	v_and_b32_e32 v7, 0x7fffffff, v3
	v_cmpx_gt_u32_e32 0x43f00000, v7
	s_xor_b32 s3, exec_lo, s3
	s_cbranch_execz .LBB56_2846
; %bb.2841:
	s_mov_b32 s6, exec_lo
                                        ; implicit-def: $vgpr6
	v_cmpx_lt_u32_e32 0x3c7fffff, v7
	s_xor_b32 s6, exec_lo, s6
; %bb.2842:
	v_bfe_u32 v6, v3, 20, 1
	s_delay_alu instid0(VALU_DEP_1) | instskip(NEXT) | instid1(VALU_DEP_1)
	v_add3_u32 v6, v3, v6, 0x407ffff
	v_and_b32_e32 v7, 0xff00000, v6
	v_lshrrev_b32_e32 v6, 20, v6
	s_delay_alu instid0(VALU_DEP_2) | instskip(NEXT) | instid1(VALU_DEP_2)
	v_cmp_ne_u32_e32 vcc_lo, 0x7f00000, v7
	v_cndmask_b32_e32 v6, 0x7e, v6, vcc_lo
; %bb.2843:
	s_and_not1_saveexec_b32 s6, s6
; %bb.2844:
	v_add_f32_e64 v6, 0x46800000, |v3|
; %bb.2845:
	s_or_b32 exec_lo, exec_lo, s6
                                        ; implicit-def: $vgpr7
.LBB56_2846:
	s_and_not1_saveexec_b32 s3, s3
; %bb.2847:
	v_mov_b32_e32 v6, 0x7f
	v_cmp_lt_u32_e32 vcc_lo, 0x7f800000, v7
	s_delay_alu instid0(VALU_DEP_2)
	v_cndmask_b32_e32 v6, 0x7e, v6, vcc_lo
; %bb.2848:
	s_or_b32 exec_lo, exec_lo, s3
	v_lshrrev_b32_e32 v3, 24, v3
	s_delay_alu instid0(VALU_DEP_1)
	v_and_or_b32 v3, 0x80, v3, v6
	global_store_b8 v[4:5], v3, off
.LBB56_2849:
	s_mov_b32 s3, 0
.LBB56_2850:
	s_delay_alu instid0(SALU_CYCLE_1)
	s_and_not1_b32 vcc_lo, exec_lo, s3
	s_cbranch_vccnz .LBB56_2860
; %bb.2851:
	s_wait_xcnt 0x0
	v_cvt_f32_f16_e32 v3, v1
	s_mov_b32 s3, exec_lo
                                        ; implicit-def: $vgpr6
	s_delay_alu instid0(VALU_DEP_1) | instskip(NEXT) | instid1(VALU_DEP_1)
	v_and_b32_e32 v7, 0x7fffffff, v3
	v_cmpx_gt_u32_e32 0x47800000, v7
	s_xor_b32 s3, exec_lo, s3
	s_cbranch_execz .LBB56_2857
; %bb.2852:
	s_mov_b32 s6, exec_lo
                                        ; implicit-def: $vgpr6
	v_cmpx_lt_u32_e32 0x387fffff, v7
	s_xor_b32 s6, exec_lo, s6
; %bb.2853:
	v_bfe_u32 v6, v3, 21, 1
	s_delay_alu instid0(VALU_DEP_1) | instskip(NEXT) | instid1(VALU_DEP_1)
	v_add3_u32 v6, v3, v6, 0x80fffff
	v_lshrrev_b32_e32 v6, 21, v6
; %bb.2854:
	s_and_not1_saveexec_b32 s6, s6
; %bb.2855:
	v_add_f32_e64 v6, 0x43000000, |v3|
; %bb.2856:
	s_or_b32 exec_lo, exec_lo, s6
                                        ; implicit-def: $vgpr7
.LBB56_2857:
	s_and_not1_saveexec_b32 s3, s3
; %bb.2858:
	v_mov_b32_e32 v6, 0x7f
	v_cmp_lt_u32_e32 vcc_lo, 0x7f800000, v7
	s_delay_alu instid0(VALU_DEP_2)
	v_cndmask_b32_e32 v6, 0x7c, v6, vcc_lo
; %bb.2859:
	s_or_b32 exec_lo, exec_lo, s3
	v_lshrrev_b32_e32 v3, 24, v3
	s_delay_alu instid0(VALU_DEP_1)
	v_and_or_b32 v3, 0x80, v3, v6
	global_store_b8 v[4:5], v3, off
.LBB56_2860:
	s_mov_b32 s3, 0
	s_mov_b32 s6, -1
.LBB56_2861:
	s_and_not1_b32 vcc_lo, exec_lo, s3
	s_mov_b32 s3, 0
	s_cbranch_vccnz .LBB56_2868
; %bb.2862:
	s_cmp_gt_i32 s2, 14
	s_mov_b32 s3, -1
	s_cbranch_scc0 .LBB56_2866
; %bb.2863:
	s_cmp_eq_u32 s2, 15
	s_mov_b32 s0, -1
	s_cbranch_scc0 .LBB56_2865
; %bb.2864:
	s_wait_xcnt 0x0
	v_cvt_f32_f16_e32 v3, v1
	v_cmp_o_f16_e32 vcc_lo, v1, v1
	s_mov_b32 s0, 0
	s_mov_b32 s6, -1
	s_delay_alu instid0(VALU_DEP_2) | instskip(NEXT) | instid1(VALU_DEP_1)
	v_bfe_u32 v6, v3, 16, 1
	v_add3_u32 v3, v3, v6, 0x7fff
	s_delay_alu instid0(VALU_DEP_1) | instskip(NEXT) | instid1(VALU_DEP_1)
	v_lshrrev_b32_e32 v3, 16, v3
	v_cndmask_b32_e32 v3, 0x7fc0, v3, vcc_lo
	global_store_b16 v[4:5], v3, off
.LBB56_2865:
	s_mov_b32 s3, 0
.LBB56_2866:
	s_delay_alu instid0(SALU_CYCLE_1)
	s_and_b32 vcc_lo, exec_lo, s3
	s_mov_b32 s3, 0
	s_cbranch_vccz .LBB56_2868
; %bb.2867:
	s_cmp_lg_u32 s2, 11
	s_mov_b32 s3, -1
	s_cselect_b32 s0, -1, 0
.LBB56_2868:
	s_delay_alu instid0(SALU_CYCLE_1)
	s_and_b32 vcc_lo, exec_lo, s0
	s_cbranch_vccnz .LBB56_3159
; %bb.2869:
	s_and_not1_b32 vcc_lo, exec_lo, s3
	s_cbranch_vccnz .LBB56_2871
.LBB56_2870:
	s_wait_xcnt 0x0
	v_and_b32_e32 v3, 0x7fff, v1
	s_mov_b32 s6, -1
	s_delay_alu instid0(VALU_DEP_1)
	v_cmp_ne_u16_e32 vcc_lo, 0, v3
	v_cndmask_b32_e64 v3, 0, 1, vcc_lo
	global_store_b8 v[4:5], v3, off
.LBB56_2871:
.LBB56_2872:
	s_and_not1_b32 vcc_lo, exec_lo, s6
	s_cbranch_vccz .LBB56_2912
	s_branch .LBB56_3106
.LBB56_2873:
	s_and_b32 vcc_lo, exec_lo, s0
	s_cbranch_vccz .LBB56_2872
; %bb.2874:
	s_cmp_lt_i32 s2, 5
	s_mov_b32 s0, -1
	s_cbranch_scc1 .LBB56_2895
; %bb.2875:
	s_cmp_lt_i32 s2, 8
	s_cbranch_scc1 .LBB56_2885
; %bb.2876:
	s_cmp_lt_i32 s2, 9
	s_cbranch_scc1 .LBB56_2882
; %bb.2877:
	s_cmp_gt_i32 s2, 9
	s_cbranch_scc0 .LBB56_2879
; %bb.2878:
	s_wait_xcnt 0x0
	v_cvt_f32_f16_e32 v3, v1
	v_mov_b32_e32 v8, 0
	s_mov_b32 s0, 0
	s_delay_alu instid0(VALU_DEP_2) | instskip(NEXT) | instid1(VALU_DEP_2)
	v_cvt_f64_f32_e32 v[6:7], v3
	v_mov_b32_e32 v9, v8
	global_store_b128 v[4:5], v[6:9], off
.LBB56_2879:
	s_and_not1_b32 vcc_lo, exec_lo, s0
	s_cbranch_vccnz .LBB56_2881
; %bb.2880:
	s_wait_xcnt 0x0
	v_cvt_f32_f16_e32 v6, v1
	v_mov_b32_e32 v7, 0
	global_store_b64 v[4:5], v[6:7], off
.LBB56_2881:
	s_mov_b32 s0, 0
.LBB56_2882:
	s_delay_alu instid0(SALU_CYCLE_1)
	s_and_not1_b32 vcc_lo, exec_lo, s0
	s_cbranch_vccnz .LBB56_2884
; %bb.2883:
	s_wait_xcnt 0x0
	v_and_b32_e32 v3, 0xffff, v1
	global_store_b32 v[4:5], v3, off
.LBB56_2884:
	s_mov_b32 s0, 0
.LBB56_2885:
	s_delay_alu instid0(SALU_CYCLE_1)
	s_and_not1_b32 vcc_lo, exec_lo, s0
	s_cbranch_vccnz .LBB56_2894
; %bb.2886:
	s_cmp_lt_i32 s2, 6
	s_mov_b32 s0, -1
	s_cbranch_scc1 .LBB56_2892
; %bb.2887:
	s_cmp_gt_i32 s2, 6
	s_cbranch_scc0 .LBB56_2889
; %bb.2888:
	s_wait_xcnt 0x0
	v_cvt_f32_f16_e32 v3, v1
	s_mov_b32 s0, 0
	s_delay_alu instid0(VALU_DEP_1)
	v_cvt_f64_f32_e32 v[6:7], v3
	global_store_b64 v[4:5], v[6:7], off
.LBB56_2889:
	s_and_not1_b32 vcc_lo, exec_lo, s0
	s_cbranch_vccnz .LBB56_2891
; %bb.2890:
	s_wait_xcnt 0x0
	v_cvt_f32_f16_e32 v3, v1
	global_store_b32 v[4:5], v3, off
.LBB56_2891:
	s_mov_b32 s0, 0
.LBB56_2892:
	s_delay_alu instid0(SALU_CYCLE_1)
	s_and_not1_b32 vcc_lo, exec_lo, s0
	s_cbranch_vccnz .LBB56_2894
; %bb.2893:
	global_store_b16 v[4:5], v1, off
.LBB56_2894:
	s_mov_b32 s0, 0
.LBB56_2895:
	s_delay_alu instid0(SALU_CYCLE_1)
	s_and_not1_b32 vcc_lo, exec_lo, s0
	s_cbranch_vccnz .LBB56_2911
; %bb.2896:
	s_cmp_lt_i32 s2, 2
	s_mov_b32 s0, -1
	s_cbranch_scc1 .LBB56_2906
; %bb.2897:
	s_cmp_lt_i32 s2, 3
	s_cbranch_scc1 .LBB56_2903
; %bb.2898:
	s_cmp_gt_i32 s2, 3
	s_cbranch_scc0 .LBB56_2900
; %bb.2899:
	s_wait_xcnt 0x0
	v_cvt_f32_f16_e32 v3, v1
	s_mov_b32 s0, 0
	s_delay_alu instid0(VALU_DEP_1) | instskip(NEXT) | instid1(VALU_DEP_1)
	v_cvt_i32_f32_e32 v6, v3
	v_ashrrev_i32_e32 v7, 31, v6
	global_store_b64 v[4:5], v[6:7], off
.LBB56_2900:
	s_and_not1_b32 vcc_lo, exec_lo, s0
	s_cbranch_vccnz .LBB56_2902
; %bb.2901:
	s_wait_xcnt 0x0
	v_cvt_f32_f16_e32 v3, v1
	s_delay_alu instid0(VALU_DEP_1)
	v_cvt_i32_f32_e32 v3, v3
	global_store_b32 v[4:5], v3, off
.LBB56_2902:
	s_mov_b32 s0, 0
.LBB56_2903:
	s_delay_alu instid0(SALU_CYCLE_1)
	s_and_not1_b32 vcc_lo, exec_lo, s0
	s_cbranch_vccnz .LBB56_2905
; %bb.2904:
	s_wait_xcnt 0x0
	v_cvt_i16_f16_e32 v3, v1
	global_store_b16 v[4:5], v3, off
.LBB56_2905:
	s_mov_b32 s0, 0
.LBB56_2906:
	s_delay_alu instid0(SALU_CYCLE_1)
	s_and_not1_b32 vcc_lo, exec_lo, s0
	s_cbranch_vccnz .LBB56_2911
; %bb.2907:
	s_cmp_gt_i32 s2, 0
	s_mov_b32 s0, -1
	s_cbranch_scc0 .LBB56_2909
; %bb.2908:
	s_wait_xcnt 0x0
	v_cvt_i16_f16_e32 v3, v1
	s_mov_b32 s0, 0
	global_store_b8 v[4:5], v3, off
.LBB56_2909:
	s_and_not1_b32 vcc_lo, exec_lo, s0
	s_cbranch_vccnz .LBB56_2911
; %bb.2910:
	s_wait_xcnt 0x0
	v_cvt_f32_f16_e32 v1, v1
	s_delay_alu instid0(VALU_DEP_1)
	v_cvt_i32_f32_e32 v1, v1
	global_store_b8 v[4:5], v1, off
.LBB56_2911:
.LBB56_2912:
	s_wait_xcnt 0x0
	v_mul_f16_e32 v1, v16, v14
	v_cmp_lt_f16_e32 vcc_lo, 0, v16
	v_mov_b32_e32 v3, 0
	s_mov_b32 s6, 0
	s_cmp_lt_i32 s2, 11
	s_mov_b32 s0, -1
	v_cndmask_b32_e32 v1, v1, v16, vcc_lo
	v_add_nc_u64_e32 v[2:3], s[4:5], v[2:3]
	s_cbranch_scc1 .LBB56_3067
; %bb.2913:
	s_mov_b32 s7, -1
	s_mov_b32 s3, 0
	s_cmp_gt_i32 s2, 25
	s_mov_b32 s0, 0
	s_cbranch_scc0 .LBB56_2946
; %bb.2914:
	s_cmp_gt_i32 s2, 28
	s_cbranch_scc0 .LBB56_2929
; %bb.2915:
	s_cmp_gt_i32 s2, 43
	;; [unrolled: 3-line block ×3, first 2 shown]
	s_cbranch_scc0 .LBB56_2919
; %bb.2917:
	s_mov_b32 s0, -1
	s_mov_b32 s7, 0
	s_cmp_eq_u32 s2, 46
	s_cbranch_scc0 .LBB56_2919
; %bb.2918:
	v_cvt_f32_f16_e32 v4, v1
	v_cmp_o_f16_e32 vcc_lo, v1, v1
	s_mov_b32 s0, 0
	s_mov_b32 s6, -1
	s_delay_alu instid0(VALU_DEP_2) | instskip(NEXT) | instid1(VALU_DEP_1)
	v_bfe_u32 v5, v4, 16, 1
	v_add3_u32 v4, v4, v5, 0x7fff
	s_delay_alu instid0(VALU_DEP_1) | instskip(NEXT) | instid1(VALU_DEP_1)
	v_lshrrev_b32_e32 v4, 16, v4
	v_cndmask_b32_e32 v4, 0x7fc0, v4, vcc_lo
	global_store_b32 v[2:3], v4, off
.LBB56_2919:
	s_and_b32 vcc_lo, exec_lo, s7
	s_cbranch_vccz .LBB56_2924
; %bb.2920:
	s_cmp_eq_u32 s2, 44
	s_mov_b32 s0, -1
	s_cbranch_scc0 .LBB56_2924
; %bb.2921:
	s_wait_xcnt 0x0
	v_cvt_f32_f16_e32 v4, v1
	v_mov_b32_e32 v5, 0xff
	s_mov_b32 s6, exec_lo
	s_delay_alu instid0(VALU_DEP_2) | instskip(NEXT) | instid1(VALU_DEP_1)
	v_bfe_u32 v6, v4, 23, 8
	v_cmpx_ne_u32_e32 0xff, v6
	s_cbranch_execz .LBB56_2923
; %bb.2922:
	v_and_b32_e32 v5, 0x400000, v4
	v_and_or_b32 v6, 0x3fffff, v4, v6
	v_lshrrev_b32_e32 v4, 23, v4
	s_delay_alu instid0(VALU_DEP_3) | instskip(NEXT) | instid1(VALU_DEP_3)
	v_cmp_ne_u32_e32 vcc_lo, 0, v5
	v_cmp_ne_u32_e64 s0, 0, v6
	s_and_b32 s0, vcc_lo, s0
	s_delay_alu instid0(SALU_CYCLE_1) | instskip(NEXT) | instid1(VALU_DEP_1)
	v_cndmask_b32_e64 v5, 0, 1, s0
	v_add_nc_u32_e32 v5, v4, v5
.LBB56_2923:
	s_or_b32 exec_lo, exec_lo, s6
	s_mov_b32 s0, 0
	s_mov_b32 s6, -1
	global_store_b8 v[2:3], v5, off
.LBB56_2924:
	s_mov_b32 s7, 0
.LBB56_2925:
	s_delay_alu instid0(SALU_CYCLE_1)
	s_and_b32 vcc_lo, exec_lo, s7
	s_cbranch_vccz .LBB56_2928
; %bb.2926:
	s_cmp_eq_u32 s2, 29
	s_mov_b32 s0, -1
	s_cbranch_scc0 .LBB56_2928
; %bb.2927:
	s_wait_xcnt 0x0
	v_cvt_f32_f16_e32 v4, v1
	v_mov_b32_e32 v5, 0
	s_mov_b32 s0, 0
	s_mov_b32 s6, -1
	s_delay_alu instid0(VALU_DEP_2)
	v_cvt_u32_f32_e32 v4, v4
	global_store_b64 v[2:3], v[4:5], off
.LBB56_2928:
	s_mov_b32 s7, 0
.LBB56_2929:
	s_delay_alu instid0(SALU_CYCLE_1)
	s_and_b32 vcc_lo, exec_lo, s7
	s_cbranch_vccz .LBB56_2945
; %bb.2930:
	s_cmp_lt_i32 s2, 27
	s_mov_b32 s6, -1
	s_cbranch_scc1 .LBB56_2936
; %bb.2931:
	s_cmp_gt_i32 s2, 27
	s_cbranch_scc0 .LBB56_2933
; %bb.2932:
	s_wait_xcnt 0x0
	v_cvt_f32_f16_e32 v4, v1
	s_mov_b32 s6, 0
	s_delay_alu instid0(VALU_DEP_1)
	v_cvt_u32_f32_e32 v4, v4
	global_store_b32 v[2:3], v4, off
.LBB56_2933:
	s_and_not1_b32 vcc_lo, exec_lo, s6
	s_cbranch_vccnz .LBB56_2935
; %bb.2934:
	s_wait_xcnt 0x0
	v_cvt_u16_f16_e32 v4, v1
	global_store_b16 v[2:3], v4, off
.LBB56_2935:
	s_mov_b32 s6, 0
.LBB56_2936:
	s_delay_alu instid0(SALU_CYCLE_1)
	s_and_not1_b32 vcc_lo, exec_lo, s6
	s_cbranch_vccnz .LBB56_2944
; %bb.2937:
	s_wait_xcnt 0x0
	v_cvt_f32_f16_e32 v4, v1
	v_mov_b32_e32 v6, 0x80
	s_mov_b32 s6, exec_lo
	s_delay_alu instid0(VALU_DEP_2) | instskip(NEXT) | instid1(VALU_DEP_1)
	v_and_b32_e32 v5, 0x7fffffff, v4
	v_cmpx_gt_u32_e32 0x43800000, v5
	s_cbranch_execz .LBB56_2943
; %bb.2938:
	v_cmp_lt_u32_e32 vcc_lo, 0x3bffffff, v5
	s_mov_b32 s7, 0
                                        ; implicit-def: $vgpr5
	s_and_saveexec_b32 s11, vcc_lo
	s_delay_alu instid0(SALU_CYCLE_1)
	s_xor_b32 s11, exec_lo, s11
	s_cbranch_execz .LBB56_3162
; %bb.2939:
	v_bfe_u32 v5, v4, 20, 1
	s_mov_b32 s7, exec_lo
	s_delay_alu instid0(VALU_DEP_1) | instskip(NEXT) | instid1(VALU_DEP_1)
	v_add3_u32 v5, v4, v5, 0x487ffff
	v_lshrrev_b32_e32 v5, 20, v5
	s_and_not1_saveexec_b32 s11, s11
	s_cbranch_execnz .LBB56_3163
.LBB56_2940:
	s_or_b32 exec_lo, exec_lo, s11
	v_mov_b32_e32 v6, 0
	s_and_saveexec_b32 s11, s7
.LBB56_2941:
	v_lshrrev_b32_e32 v4, 24, v4
	s_delay_alu instid0(VALU_DEP_1)
	v_and_or_b32 v6, 0x80, v4, v5
.LBB56_2942:
	s_or_b32 exec_lo, exec_lo, s11
.LBB56_2943:
	s_delay_alu instid0(SALU_CYCLE_1)
	s_or_b32 exec_lo, exec_lo, s6
	global_store_b8 v[2:3], v6, off
.LBB56_2944:
	s_mov_b32 s6, -1
.LBB56_2945:
	s_mov_b32 s7, 0
.LBB56_2946:
	s_delay_alu instid0(SALU_CYCLE_1)
	s_and_b32 vcc_lo, exec_lo, s7
	s_cbranch_vccz .LBB56_2986
; %bb.2947:
	s_cmp_gt_i32 s2, 22
	s_mov_b32 s3, -1
	s_cbranch_scc0 .LBB56_2979
; %bb.2948:
	s_cmp_lt_i32 s2, 24
	s_cbranch_scc1 .LBB56_2968
; %bb.2949:
	s_cmp_gt_i32 s2, 24
	s_cbranch_scc0 .LBB56_2957
; %bb.2950:
	s_wait_xcnt 0x0
	v_cvt_f32_f16_e32 v4, v1
	v_mov_b32_e32 v6, 0x80
	s_mov_b32 s3, exec_lo
	s_delay_alu instid0(VALU_DEP_2) | instskip(NEXT) | instid1(VALU_DEP_1)
	v_and_b32_e32 v5, 0x7fffffff, v4
	v_cmpx_gt_u32_e32 0x47800000, v5
	s_cbranch_execz .LBB56_2956
; %bb.2951:
	v_cmp_lt_u32_e32 vcc_lo, 0x37ffffff, v5
	s_mov_b32 s6, 0
                                        ; implicit-def: $vgpr5
	s_and_saveexec_b32 s7, vcc_lo
	s_delay_alu instid0(SALU_CYCLE_1)
	s_xor_b32 s7, exec_lo, s7
	s_cbranch_execz .LBB56_3165
; %bb.2952:
	v_bfe_u32 v5, v4, 21, 1
	s_mov_b32 s6, exec_lo
	s_delay_alu instid0(VALU_DEP_1) | instskip(NEXT) | instid1(VALU_DEP_1)
	v_add3_u32 v5, v4, v5, 0x88fffff
	v_lshrrev_b32_e32 v5, 21, v5
	s_and_not1_saveexec_b32 s7, s7
	s_cbranch_execnz .LBB56_3166
.LBB56_2953:
	s_or_b32 exec_lo, exec_lo, s7
	v_mov_b32_e32 v6, 0
	s_and_saveexec_b32 s7, s6
.LBB56_2954:
	v_lshrrev_b32_e32 v4, 24, v4
	s_delay_alu instid0(VALU_DEP_1)
	v_and_or_b32 v6, 0x80, v4, v5
.LBB56_2955:
	s_or_b32 exec_lo, exec_lo, s7
.LBB56_2956:
	s_delay_alu instid0(SALU_CYCLE_1)
	s_or_b32 exec_lo, exec_lo, s3
	s_mov_b32 s3, 0
	global_store_b8 v[2:3], v6, off
.LBB56_2957:
	s_and_b32 vcc_lo, exec_lo, s3
	s_cbranch_vccz .LBB56_2967
; %bb.2958:
	s_wait_xcnt 0x0
	v_cvt_f32_f16_e32 v4, v1
	s_mov_b32 s3, exec_lo
                                        ; implicit-def: $vgpr5
	s_delay_alu instid0(VALU_DEP_1) | instskip(NEXT) | instid1(VALU_DEP_1)
	v_and_b32_e32 v6, 0x7fffffff, v4
	v_cmpx_gt_u32_e32 0x43f00000, v6
	s_xor_b32 s3, exec_lo, s3
	s_cbranch_execz .LBB56_2964
; %bb.2959:
	s_mov_b32 s6, exec_lo
                                        ; implicit-def: $vgpr5
	v_cmpx_lt_u32_e32 0x3c7fffff, v6
	s_xor_b32 s6, exec_lo, s6
; %bb.2960:
	v_bfe_u32 v5, v4, 20, 1
	s_delay_alu instid0(VALU_DEP_1) | instskip(NEXT) | instid1(VALU_DEP_1)
	v_add3_u32 v5, v4, v5, 0x407ffff
	v_and_b32_e32 v6, 0xff00000, v5
	v_lshrrev_b32_e32 v5, 20, v5
	s_delay_alu instid0(VALU_DEP_2) | instskip(NEXT) | instid1(VALU_DEP_2)
	v_cmp_ne_u32_e32 vcc_lo, 0x7f00000, v6
	v_cndmask_b32_e32 v5, 0x7e, v5, vcc_lo
; %bb.2961:
	s_and_not1_saveexec_b32 s6, s6
; %bb.2962:
	v_add_f32_e64 v5, 0x46800000, |v4|
; %bb.2963:
	s_or_b32 exec_lo, exec_lo, s6
                                        ; implicit-def: $vgpr6
.LBB56_2964:
	s_and_not1_saveexec_b32 s3, s3
; %bb.2965:
	v_mov_b32_e32 v5, 0x7f
	v_cmp_lt_u32_e32 vcc_lo, 0x7f800000, v6
	s_delay_alu instid0(VALU_DEP_2)
	v_cndmask_b32_e32 v5, 0x7e, v5, vcc_lo
; %bb.2966:
	s_or_b32 exec_lo, exec_lo, s3
	v_lshrrev_b32_e32 v4, 24, v4
	s_delay_alu instid0(VALU_DEP_1)
	v_and_or_b32 v4, 0x80, v4, v5
	global_store_b8 v[2:3], v4, off
.LBB56_2967:
	s_mov_b32 s3, 0
.LBB56_2968:
	s_delay_alu instid0(SALU_CYCLE_1)
	s_and_not1_b32 vcc_lo, exec_lo, s3
	s_cbranch_vccnz .LBB56_2978
; %bb.2969:
	s_wait_xcnt 0x0
	v_cvt_f32_f16_e32 v4, v1
	s_mov_b32 s3, exec_lo
                                        ; implicit-def: $vgpr5
	s_delay_alu instid0(VALU_DEP_1) | instskip(NEXT) | instid1(VALU_DEP_1)
	v_and_b32_e32 v6, 0x7fffffff, v4
	v_cmpx_gt_u32_e32 0x47800000, v6
	s_xor_b32 s3, exec_lo, s3
	s_cbranch_execz .LBB56_2975
; %bb.2970:
	s_mov_b32 s6, exec_lo
                                        ; implicit-def: $vgpr5
	v_cmpx_lt_u32_e32 0x387fffff, v6
	s_xor_b32 s6, exec_lo, s6
; %bb.2971:
	v_bfe_u32 v5, v4, 21, 1
	s_delay_alu instid0(VALU_DEP_1) | instskip(NEXT) | instid1(VALU_DEP_1)
	v_add3_u32 v5, v4, v5, 0x80fffff
	v_lshrrev_b32_e32 v5, 21, v5
; %bb.2972:
	s_and_not1_saveexec_b32 s6, s6
; %bb.2973:
	v_add_f32_e64 v5, 0x43000000, |v4|
; %bb.2974:
	s_or_b32 exec_lo, exec_lo, s6
                                        ; implicit-def: $vgpr6
.LBB56_2975:
	s_and_not1_saveexec_b32 s3, s3
; %bb.2976:
	v_mov_b32_e32 v5, 0x7f
	v_cmp_lt_u32_e32 vcc_lo, 0x7f800000, v6
	s_delay_alu instid0(VALU_DEP_2)
	v_cndmask_b32_e32 v5, 0x7c, v5, vcc_lo
; %bb.2977:
	s_or_b32 exec_lo, exec_lo, s3
	v_lshrrev_b32_e32 v4, 24, v4
	s_delay_alu instid0(VALU_DEP_1)
	v_and_or_b32 v4, 0x80, v4, v5
	global_store_b8 v[2:3], v4, off
.LBB56_2978:
	s_mov_b32 s3, 0
	s_mov_b32 s6, -1
.LBB56_2979:
	s_and_not1_b32 vcc_lo, exec_lo, s3
	s_mov_b32 s3, 0
	s_cbranch_vccnz .LBB56_2986
; %bb.2980:
	s_cmp_gt_i32 s2, 14
	s_mov_b32 s3, -1
	s_cbranch_scc0 .LBB56_2984
; %bb.2981:
	s_cmp_eq_u32 s2, 15
	s_mov_b32 s0, -1
	s_cbranch_scc0 .LBB56_2983
; %bb.2982:
	s_wait_xcnt 0x0
	v_cvt_f32_f16_e32 v4, v1
	v_cmp_o_f16_e32 vcc_lo, v1, v1
	s_mov_b32 s0, 0
	s_mov_b32 s6, -1
	s_delay_alu instid0(VALU_DEP_2) | instskip(NEXT) | instid1(VALU_DEP_1)
	v_bfe_u32 v5, v4, 16, 1
	v_add3_u32 v4, v4, v5, 0x7fff
	s_delay_alu instid0(VALU_DEP_1) | instskip(NEXT) | instid1(VALU_DEP_1)
	v_lshrrev_b32_e32 v4, 16, v4
	v_cndmask_b32_e32 v4, 0x7fc0, v4, vcc_lo
	global_store_b16 v[2:3], v4, off
.LBB56_2983:
	s_mov_b32 s3, 0
.LBB56_2984:
	s_delay_alu instid0(SALU_CYCLE_1)
	s_and_b32 vcc_lo, exec_lo, s3
	s_mov_b32 s3, 0
	s_cbranch_vccz .LBB56_2986
; %bb.2985:
	s_cmp_lg_u32 s2, 11
	s_mov_b32 s3, -1
	s_cselect_b32 s0, -1, 0
.LBB56_2986:
	s_delay_alu instid0(SALU_CYCLE_1)
	s_and_b32 vcc_lo, exec_lo, s0
	s_cbranch_vccnz .LBB56_3164
; %bb.2987:
	s_and_not1_b32 vcc_lo, exec_lo, s3
	s_cbranch_vccnz .LBB56_2989
.LBB56_2988:
	s_wait_xcnt 0x0
	v_and_b32_e32 v4, 0x7fff, v1
	s_mov_b32 s6, -1
	s_delay_alu instid0(VALU_DEP_1)
	v_cmp_ne_u16_e32 vcc_lo, 0, v4
	v_cndmask_b32_e64 v4, 0, 1, vcc_lo
	global_store_b8 v[2:3], v4, off
.LBB56_2989:
.LBB56_2990:
	s_and_not1_b32 vcc_lo, exec_lo, s6
	s_cbranch_vccnz .LBB56_3106
.LBB56_2991:
	s_wait_xcnt 0x0
	v_mov_b32_e32 v1, 0
	v_mul_f16_e32 v4, v12, v10
	v_cmp_lt_f16_e32 vcc_lo, 0, v12
	s_mov_b32 s3, 0
	s_cmp_lt_i32 s2, 11
	v_add_nc_u64_e32 v[2:3], s[4:5], v[0:1]
	s_mov_b32 s0, -1
	v_cndmask_b32_e32 v1, v4, v12, vcc_lo
	s_cbranch_scc1 .LBB56_3107
; %bb.2992:
	s_mov_b32 s4, -1
	s_cmp_gt_i32 s2, 25
	s_mov_b32 s0, 0
	s_cbranch_scc0 .LBB56_3025
; %bb.2993:
	s_cmp_gt_i32 s2, 28
	s_cbranch_scc0 .LBB56_3009
; %bb.2994:
	s_cmp_gt_i32 s2, 43
	s_cbranch_scc0 .LBB56_3005
; %bb.2995:
	s_cmp_gt_i32 s2, 45
	s_cbranch_scc0 .LBB56_2999
; %bb.2996:
	s_cmp_eq_u32 s2, 46
	s_mov_b32 s0, -1
	s_cbranch_scc0 .LBB56_2998
; %bb.2997:
	v_cvt_f32_f16_e32 v0, v1
	v_cmp_o_f16_e32 vcc_lo, v1, v1
	s_mov_b32 s0, 0
	s_delay_alu instid0(VALU_DEP_2) | instskip(NEXT) | instid1(VALU_DEP_1)
	v_bfe_u32 v4, v0, 16, 1
	v_add3_u32 v0, v0, v4, 0x7fff
	s_delay_alu instid0(VALU_DEP_1) | instskip(NEXT) | instid1(VALU_DEP_1)
	v_lshrrev_b32_e32 v0, 16, v0
	v_cndmask_b32_e32 v0, 0x7fc0, v0, vcc_lo
	global_store_b32 v[2:3], v0, off
.LBB56_2998:
	s_mov_b32 s4, 0
.LBB56_2999:
	s_delay_alu instid0(SALU_CYCLE_1)
	s_and_b32 vcc_lo, exec_lo, s4
	s_cbranch_vccz .LBB56_3004
; %bb.3000:
	s_cmp_eq_u32 s2, 44
	s_mov_b32 s0, -1
	s_cbranch_scc0 .LBB56_3004
; %bb.3001:
	s_wait_xcnt 0x0
	v_cvt_f32_f16_e32 v0, v1
	v_mov_b32_e32 v4, 0xff
	s_mov_b32 s4, exec_lo
	s_delay_alu instid0(VALU_DEP_2) | instskip(NEXT) | instid1(VALU_DEP_1)
	v_bfe_u32 v5, v0, 23, 8
	v_cmpx_ne_u32_e32 0xff, v5
	s_cbranch_execz .LBB56_3003
; %bb.3002:
	v_and_b32_e32 v4, 0x400000, v0
	v_and_or_b32 v5, 0x3fffff, v0, v5
	v_lshrrev_b32_e32 v0, 23, v0
	s_delay_alu instid0(VALU_DEP_3) | instskip(NEXT) | instid1(VALU_DEP_3)
	v_cmp_ne_u32_e32 vcc_lo, 0, v4
	v_cmp_ne_u32_e64 s0, 0, v5
	s_and_b32 s0, vcc_lo, s0
	s_delay_alu instid0(SALU_CYCLE_1) | instskip(NEXT) | instid1(VALU_DEP_1)
	v_cndmask_b32_e64 v4, 0, 1, s0
	v_add_nc_u32_e32 v4, v0, v4
.LBB56_3003:
	s_or_b32 exec_lo, exec_lo, s4
	s_mov_b32 s0, 0
	global_store_b8 v[2:3], v4, off
.LBB56_3004:
	s_mov_b32 s4, 0
.LBB56_3005:
	s_delay_alu instid0(SALU_CYCLE_1)
	s_and_b32 vcc_lo, exec_lo, s4
	s_cbranch_vccz .LBB56_3008
; %bb.3006:
	s_cmp_eq_u32 s2, 29
	s_mov_b32 s0, -1
	s_cbranch_scc0 .LBB56_3008
; %bb.3007:
	s_wait_xcnt 0x0
	v_cvt_f32_f16_e32 v0, v1
	v_mov_b32_e32 v5, 0
	s_mov_b32 s0, 0
	s_delay_alu instid0(VALU_DEP_2)
	v_cvt_u32_f32_e32 v4, v0
	global_store_b64 v[2:3], v[4:5], off
.LBB56_3008:
	s_mov_b32 s4, 0
.LBB56_3009:
	s_delay_alu instid0(SALU_CYCLE_1)
	s_and_b32 vcc_lo, exec_lo, s4
	s_cbranch_vccz .LBB56_3024
; %bb.3010:
	s_cmp_lt_i32 s2, 27
	s_mov_b32 s4, -1
	s_cbranch_scc1 .LBB56_3016
; %bb.3011:
	s_cmp_gt_i32 s2, 27
	s_cbranch_scc0 .LBB56_3013
; %bb.3012:
	s_wait_xcnt 0x0
	v_cvt_f32_f16_e32 v0, v1
	s_mov_b32 s4, 0
	s_delay_alu instid0(VALU_DEP_1)
	v_cvt_u32_f32_e32 v0, v0
	global_store_b32 v[2:3], v0, off
.LBB56_3013:
	s_and_not1_b32 vcc_lo, exec_lo, s4
	s_cbranch_vccnz .LBB56_3015
; %bb.3014:
	s_wait_xcnt 0x0
	v_cvt_u16_f16_e32 v0, v1
	global_store_b16 v[2:3], v0, off
.LBB56_3015:
	s_mov_b32 s4, 0
.LBB56_3016:
	s_delay_alu instid0(SALU_CYCLE_1)
	s_and_not1_b32 vcc_lo, exec_lo, s4
	s_cbranch_vccnz .LBB56_3024
; %bb.3017:
	s_wait_xcnt 0x0
	v_cvt_f32_f16_e32 v0, v1
	v_mov_b32_e32 v5, 0x80
	s_mov_b32 s4, exec_lo
	s_delay_alu instid0(VALU_DEP_2) | instskip(NEXT) | instid1(VALU_DEP_1)
	v_and_b32_e32 v4, 0x7fffffff, v0
	v_cmpx_gt_u32_e32 0x43800000, v4
	s_cbranch_execz .LBB56_3023
; %bb.3018:
	v_cmp_lt_u32_e32 vcc_lo, 0x3bffffff, v4
	s_mov_b32 s5, 0
                                        ; implicit-def: $vgpr4
	s_and_saveexec_b32 s6, vcc_lo
	s_delay_alu instid0(SALU_CYCLE_1)
	s_xor_b32 s6, exec_lo, s6
	s_cbranch_execz .LBB56_3167
; %bb.3019:
	v_bfe_u32 v4, v0, 20, 1
	s_mov_b32 s5, exec_lo
	s_delay_alu instid0(VALU_DEP_1) | instskip(NEXT) | instid1(VALU_DEP_1)
	v_add3_u32 v4, v0, v4, 0x487ffff
	v_lshrrev_b32_e32 v4, 20, v4
	s_and_not1_saveexec_b32 s6, s6
	s_cbranch_execnz .LBB56_3168
.LBB56_3020:
	s_or_b32 exec_lo, exec_lo, s6
	v_mov_b32_e32 v5, 0
	s_and_saveexec_b32 s6, s5
.LBB56_3021:
	v_lshrrev_b32_e32 v0, 24, v0
	s_delay_alu instid0(VALU_DEP_1)
	v_and_or_b32 v5, 0x80, v0, v4
.LBB56_3022:
	s_or_b32 exec_lo, exec_lo, s6
.LBB56_3023:
	s_delay_alu instid0(SALU_CYCLE_1)
	s_or_b32 exec_lo, exec_lo, s4
	global_store_b8 v[2:3], v5, off
.LBB56_3024:
	s_mov_b32 s4, 0
.LBB56_3025:
	s_delay_alu instid0(SALU_CYCLE_1)
	s_and_b32 vcc_lo, exec_lo, s4
	s_cbranch_vccz .LBB56_3065
; %bb.3026:
	s_cmp_gt_i32 s2, 22
	s_mov_b32 s3, -1
	s_cbranch_scc0 .LBB56_3058
; %bb.3027:
	s_cmp_lt_i32 s2, 24
	s_cbranch_scc1 .LBB56_3047
; %bb.3028:
	s_cmp_gt_i32 s2, 24
	s_cbranch_scc0 .LBB56_3036
; %bb.3029:
	s_wait_xcnt 0x0
	v_cvt_f32_f16_e32 v0, v1
	v_mov_b32_e32 v5, 0x80
	s_mov_b32 s3, exec_lo
	s_delay_alu instid0(VALU_DEP_2) | instskip(NEXT) | instid1(VALU_DEP_1)
	v_and_b32_e32 v4, 0x7fffffff, v0
	v_cmpx_gt_u32_e32 0x47800000, v4
	s_cbranch_execz .LBB56_3035
; %bb.3030:
	v_cmp_lt_u32_e32 vcc_lo, 0x37ffffff, v4
	s_mov_b32 s4, 0
                                        ; implicit-def: $vgpr4
	s_and_saveexec_b32 s5, vcc_lo
	s_delay_alu instid0(SALU_CYCLE_1)
	s_xor_b32 s5, exec_lo, s5
	s_cbranch_execz .LBB56_3170
; %bb.3031:
	v_bfe_u32 v4, v0, 21, 1
	s_mov_b32 s4, exec_lo
	s_delay_alu instid0(VALU_DEP_1) | instskip(NEXT) | instid1(VALU_DEP_1)
	v_add3_u32 v4, v0, v4, 0x88fffff
	v_lshrrev_b32_e32 v4, 21, v4
	s_and_not1_saveexec_b32 s5, s5
	s_cbranch_execnz .LBB56_3171
.LBB56_3032:
	s_or_b32 exec_lo, exec_lo, s5
	v_mov_b32_e32 v5, 0
	s_and_saveexec_b32 s5, s4
.LBB56_3033:
	v_lshrrev_b32_e32 v0, 24, v0
	s_delay_alu instid0(VALU_DEP_1)
	v_and_or_b32 v5, 0x80, v0, v4
.LBB56_3034:
	s_or_b32 exec_lo, exec_lo, s5
.LBB56_3035:
	s_delay_alu instid0(SALU_CYCLE_1)
	s_or_b32 exec_lo, exec_lo, s3
	s_mov_b32 s3, 0
	global_store_b8 v[2:3], v5, off
.LBB56_3036:
	s_and_b32 vcc_lo, exec_lo, s3
	s_cbranch_vccz .LBB56_3046
; %bb.3037:
	s_wait_xcnt 0x0
	v_cvt_f32_f16_e32 v0, v1
	s_mov_b32 s3, exec_lo
                                        ; implicit-def: $vgpr4
	s_delay_alu instid0(VALU_DEP_1) | instskip(NEXT) | instid1(VALU_DEP_1)
	v_and_b32_e32 v5, 0x7fffffff, v0
	v_cmpx_gt_u32_e32 0x43f00000, v5
	s_xor_b32 s3, exec_lo, s3
	s_cbranch_execz .LBB56_3043
; %bb.3038:
	s_mov_b32 s4, exec_lo
                                        ; implicit-def: $vgpr4
	v_cmpx_lt_u32_e32 0x3c7fffff, v5
	s_xor_b32 s4, exec_lo, s4
; %bb.3039:
	v_bfe_u32 v4, v0, 20, 1
	s_delay_alu instid0(VALU_DEP_1) | instskip(NEXT) | instid1(VALU_DEP_1)
	v_add3_u32 v4, v0, v4, 0x407ffff
	v_and_b32_e32 v5, 0xff00000, v4
	v_lshrrev_b32_e32 v4, 20, v4
	s_delay_alu instid0(VALU_DEP_2) | instskip(NEXT) | instid1(VALU_DEP_2)
	v_cmp_ne_u32_e32 vcc_lo, 0x7f00000, v5
	v_cndmask_b32_e32 v4, 0x7e, v4, vcc_lo
; %bb.3040:
	s_and_not1_saveexec_b32 s4, s4
; %bb.3041:
	v_add_f32_e64 v4, 0x46800000, |v0|
; %bb.3042:
	s_or_b32 exec_lo, exec_lo, s4
                                        ; implicit-def: $vgpr5
.LBB56_3043:
	s_and_not1_saveexec_b32 s3, s3
; %bb.3044:
	v_mov_b32_e32 v4, 0x7f
	v_cmp_lt_u32_e32 vcc_lo, 0x7f800000, v5
	s_delay_alu instid0(VALU_DEP_2)
	v_cndmask_b32_e32 v4, 0x7e, v4, vcc_lo
; %bb.3045:
	s_or_b32 exec_lo, exec_lo, s3
	v_lshrrev_b32_e32 v0, 24, v0
	s_delay_alu instid0(VALU_DEP_1)
	v_and_or_b32 v0, 0x80, v0, v4
	global_store_b8 v[2:3], v0, off
.LBB56_3046:
	s_mov_b32 s3, 0
.LBB56_3047:
	s_delay_alu instid0(SALU_CYCLE_1)
	s_and_not1_b32 vcc_lo, exec_lo, s3
	s_cbranch_vccnz .LBB56_3057
; %bb.3048:
	s_wait_xcnt 0x0
	v_cvt_f32_f16_e32 v0, v1
	s_mov_b32 s3, exec_lo
                                        ; implicit-def: $vgpr4
	s_delay_alu instid0(VALU_DEP_1) | instskip(NEXT) | instid1(VALU_DEP_1)
	v_and_b32_e32 v5, 0x7fffffff, v0
	v_cmpx_gt_u32_e32 0x47800000, v5
	s_xor_b32 s3, exec_lo, s3
	s_cbranch_execz .LBB56_3054
; %bb.3049:
	s_mov_b32 s4, exec_lo
                                        ; implicit-def: $vgpr4
	v_cmpx_lt_u32_e32 0x387fffff, v5
	s_xor_b32 s4, exec_lo, s4
; %bb.3050:
	v_bfe_u32 v4, v0, 21, 1
	s_delay_alu instid0(VALU_DEP_1) | instskip(NEXT) | instid1(VALU_DEP_1)
	v_add3_u32 v4, v0, v4, 0x80fffff
	v_lshrrev_b32_e32 v4, 21, v4
; %bb.3051:
	s_and_not1_saveexec_b32 s4, s4
; %bb.3052:
	v_add_f32_e64 v4, 0x43000000, |v0|
; %bb.3053:
	s_or_b32 exec_lo, exec_lo, s4
                                        ; implicit-def: $vgpr5
.LBB56_3054:
	s_and_not1_saveexec_b32 s3, s3
; %bb.3055:
	v_mov_b32_e32 v4, 0x7f
	v_cmp_lt_u32_e32 vcc_lo, 0x7f800000, v5
	s_delay_alu instid0(VALU_DEP_2)
	v_cndmask_b32_e32 v4, 0x7c, v4, vcc_lo
; %bb.3056:
	s_or_b32 exec_lo, exec_lo, s3
	v_lshrrev_b32_e32 v0, 24, v0
	s_delay_alu instid0(VALU_DEP_1)
	v_and_or_b32 v0, 0x80, v0, v4
	global_store_b8 v[2:3], v0, off
.LBB56_3057:
	s_mov_b32 s3, 0
.LBB56_3058:
	s_delay_alu instid0(SALU_CYCLE_1)
	s_and_not1_b32 vcc_lo, exec_lo, s3
	s_mov_b32 s3, 0
	s_cbranch_vccnz .LBB56_3065
; %bb.3059:
	s_cmp_gt_i32 s2, 14
	s_mov_b32 s3, -1
	s_cbranch_scc0 .LBB56_3063
; %bb.3060:
	s_cmp_eq_u32 s2, 15
	s_mov_b32 s0, -1
	s_cbranch_scc0 .LBB56_3062
; %bb.3061:
	s_wait_xcnt 0x0
	v_cvt_f32_f16_e32 v0, v1
	v_cmp_o_f16_e32 vcc_lo, v1, v1
	s_mov_b32 s0, 0
	s_delay_alu instid0(VALU_DEP_2) | instskip(NEXT) | instid1(VALU_DEP_1)
	v_bfe_u32 v4, v0, 16, 1
	v_add3_u32 v0, v0, v4, 0x7fff
	s_delay_alu instid0(VALU_DEP_1) | instskip(NEXT) | instid1(VALU_DEP_1)
	v_lshrrev_b32_e32 v0, 16, v0
	v_cndmask_b32_e32 v0, 0x7fc0, v0, vcc_lo
	global_store_b16 v[2:3], v0, off
.LBB56_3062:
	s_mov_b32 s3, 0
.LBB56_3063:
	s_delay_alu instid0(SALU_CYCLE_1)
	s_and_b32 vcc_lo, exec_lo, s3
	s_mov_b32 s3, 0
	s_cbranch_vccz .LBB56_3065
; %bb.3064:
	s_cmp_lg_u32 s2, 11
	s_mov_b32 s3, -1
	s_cselect_b32 s0, -1, 0
.LBB56_3065:
	s_delay_alu instid0(SALU_CYCLE_1)
	s_and_b32 vcc_lo, exec_lo, s0
	s_cbranch_vccnz .LBB56_3169
.LBB56_3066:
	s_mov_b32 s0, 0
	s_branch .LBB56_3107
.LBB56_3067:
	s_and_b32 vcc_lo, exec_lo, s0
	s_cbranch_vccz .LBB56_2990
; %bb.3068:
	s_cmp_lt_i32 s2, 5
	s_mov_b32 s0, -1
	s_cbranch_scc1 .LBB56_3089
; %bb.3069:
	s_cmp_lt_i32 s2, 8
	s_cbranch_scc1 .LBB56_3079
; %bb.3070:
	s_cmp_lt_i32 s2, 9
	s_cbranch_scc1 .LBB56_3076
; %bb.3071:
	s_cmp_gt_i32 s2, 9
	s_cbranch_scc0 .LBB56_3073
; %bb.3072:
	s_wait_xcnt 0x0
	v_cvt_f32_f16_e32 v4, v1
	v_mov_b32_e32 v6, 0
	s_mov_b32 s0, 0
	s_delay_alu instid0(VALU_DEP_2) | instskip(NEXT) | instid1(VALU_DEP_2)
	v_cvt_f64_f32_e32 v[4:5], v4
	v_mov_b32_e32 v7, v6
	global_store_b128 v[2:3], v[4:7], off
.LBB56_3073:
	s_and_not1_b32 vcc_lo, exec_lo, s0
	s_cbranch_vccnz .LBB56_3075
; %bb.3074:
	s_wait_xcnt 0x0
	v_cvt_f32_f16_e32 v4, v1
	v_mov_b32_e32 v5, 0
	global_store_b64 v[2:3], v[4:5], off
.LBB56_3075:
	s_mov_b32 s0, 0
.LBB56_3076:
	s_delay_alu instid0(SALU_CYCLE_1)
	s_and_not1_b32 vcc_lo, exec_lo, s0
	s_cbranch_vccnz .LBB56_3078
; %bb.3077:
	s_wait_xcnt 0x0
	v_and_b32_e32 v4, 0xffff, v1
	global_store_b32 v[2:3], v4, off
.LBB56_3078:
	s_mov_b32 s0, 0
.LBB56_3079:
	s_delay_alu instid0(SALU_CYCLE_1)
	s_and_not1_b32 vcc_lo, exec_lo, s0
	s_cbranch_vccnz .LBB56_3088
; %bb.3080:
	s_cmp_lt_i32 s2, 6
	s_mov_b32 s0, -1
	s_cbranch_scc1 .LBB56_3086
; %bb.3081:
	s_cmp_gt_i32 s2, 6
	s_cbranch_scc0 .LBB56_3083
; %bb.3082:
	s_wait_xcnt 0x0
	v_cvt_f32_f16_e32 v4, v1
	s_mov_b32 s0, 0
	s_delay_alu instid0(VALU_DEP_1)
	v_cvt_f64_f32_e32 v[4:5], v4
	global_store_b64 v[2:3], v[4:5], off
.LBB56_3083:
	s_and_not1_b32 vcc_lo, exec_lo, s0
	s_cbranch_vccnz .LBB56_3085
; %bb.3084:
	s_wait_xcnt 0x0
	v_cvt_f32_f16_e32 v4, v1
	global_store_b32 v[2:3], v4, off
.LBB56_3085:
	s_mov_b32 s0, 0
.LBB56_3086:
	s_delay_alu instid0(SALU_CYCLE_1)
	s_and_not1_b32 vcc_lo, exec_lo, s0
	s_cbranch_vccnz .LBB56_3088
; %bb.3087:
	global_store_b16 v[2:3], v1, off
.LBB56_3088:
	s_mov_b32 s0, 0
.LBB56_3089:
	s_delay_alu instid0(SALU_CYCLE_1)
	s_and_not1_b32 vcc_lo, exec_lo, s0
	s_cbranch_vccnz .LBB56_3105
; %bb.3090:
	s_cmp_lt_i32 s2, 2
	s_mov_b32 s0, -1
	s_cbranch_scc1 .LBB56_3100
; %bb.3091:
	s_cmp_lt_i32 s2, 3
	s_cbranch_scc1 .LBB56_3097
; %bb.3092:
	s_cmp_gt_i32 s2, 3
	s_cbranch_scc0 .LBB56_3094
; %bb.3093:
	s_wait_xcnt 0x0
	v_cvt_f32_f16_e32 v4, v1
	s_mov_b32 s0, 0
	s_delay_alu instid0(VALU_DEP_1) | instskip(NEXT) | instid1(VALU_DEP_1)
	v_cvt_i32_f32_e32 v4, v4
	v_ashrrev_i32_e32 v5, 31, v4
	global_store_b64 v[2:3], v[4:5], off
.LBB56_3094:
	s_and_not1_b32 vcc_lo, exec_lo, s0
	s_cbranch_vccnz .LBB56_3096
; %bb.3095:
	s_wait_xcnt 0x0
	v_cvt_f32_f16_e32 v4, v1
	s_delay_alu instid0(VALU_DEP_1)
	v_cvt_i32_f32_e32 v4, v4
	global_store_b32 v[2:3], v4, off
.LBB56_3096:
	s_mov_b32 s0, 0
.LBB56_3097:
	s_delay_alu instid0(SALU_CYCLE_1)
	s_and_not1_b32 vcc_lo, exec_lo, s0
	s_cbranch_vccnz .LBB56_3099
; %bb.3098:
	s_wait_xcnt 0x0
	v_cvt_i16_f16_e32 v4, v1
	global_store_b16 v[2:3], v4, off
.LBB56_3099:
	s_mov_b32 s0, 0
.LBB56_3100:
	s_delay_alu instid0(SALU_CYCLE_1)
	s_and_not1_b32 vcc_lo, exec_lo, s0
	s_cbranch_vccnz .LBB56_3105
; %bb.3101:
	s_cmp_gt_i32 s2, 0
	s_mov_b32 s0, -1
	s_cbranch_scc0 .LBB56_3103
; %bb.3102:
	s_wait_xcnt 0x0
	v_cvt_i16_f16_e32 v4, v1
	s_mov_b32 s0, 0
	global_store_b8 v[2:3], v4, off
.LBB56_3103:
	s_and_not1_b32 vcc_lo, exec_lo, s0
	s_cbranch_vccnz .LBB56_3105
; %bb.3104:
	s_wait_xcnt 0x0
	v_cvt_f32_f16_e32 v1, v1
	s_delay_alu instid0(VALU_DEP_1)
	v_cvt_i32_f32_e32 v1, v1
	global_store_b8 v[2:3], v1, off
.LBB56_3105:
	s_branch .LBB56_2991
.LBB56_3106:
	s_mov_b32 s0, 0
	s_mov_b32 s3, 0
                                        ; implicit-def: $vgpr2_vgpr3
                                        ; implicit-def: $sgpr1
                                        ; implicit-def: $vgpr1
.LBB56_3107:
	s_and_not1_b32 s2, s8, exec_lo
	s_and_b32 s4, s10, exec_lo
	s_and_b32 s0, s0, exec_lo
	;; [unrolled: 1-line block ×3, first 2 shown]
	s_or_b32 s8, s2, s4
.LBB56_3108:
	s_wait_xcnt 0x0
	s_or_b32 exec_lo, exec_lo, s9
	s_and_saveexec_b32 s2, s8
	s_cbranch_execz .LBB56_3111
; %bb.3109:
	; divergent unreachable
	s_or_b32 exec_lo, exec_lo, s2
	s_and_saveexec_b32 s2, s28
	s_delay_alu instid0(SALU_CYCLE_1)
	s_xor_b32 s2, exec_lo, s2
	s_cbranch_execnz .LBB56_3112
.LBB56_3110:
	s_or_b32 exec_lo, exec_lo, s2
	s_and_saveexec_b32 s2, s0
	s_cbranch_execnz .LBB56_3113
	s_branch .LBB56_3150
.LBB56_3111:
	s_or_b32 exec_lo, exec_lo, s2
	s_and_saveexec_b32 s2, s28
	s_delay_alu instid0(SALU_CYCLE_1)
	s_xor_b32 s2, exec_lo, s2
	s_cbranch_execz .LBB56_3110
.LBB56_3112:
	s_wait_loadcnt 0x0
	v_and_b32_e32 v0, 0x7fff, v1
	s_delay_alu instid0(VALU_DEP_1)
	v_cmp_ne_u16_e32 vcc_lo, 0, v0
	v_cndmask_b32_e64 v0, 0, 1, vcc_lo
	global_store_b8 v[2:3], v0, off
	s_wait_xcnt 0x0
	s_or_b32 exec_lo, exec_lo, s2
	s_and_saveexec_b32 s2, s0
	s_cbranch_execz .LBB56_3150
.LBB56_3113:
	s_sext_i32_i16 s2, s1
	s_mov_b32 s0, -1
	s_cmp_lt_i32 s2, 5
	s_cbranch_scc1 .LBB56_3134
; %bb.3114:
	s_cmp_lt_i32 s2, 8
	s_cbranch_scc1 .LBB56_3124
; %bb.3115:
	;; [unrolled: 3-line block ×3, first 2 shown]
	s_cmp_gt_i32 s2, 9
	s_cbranch_scc0 .LBB56_3118
; %bb.3117:
	s_wait_loadcnt 0x0
	v_cvt_f32_f16_e32 v0, v1
	v_mov_b32_e32 v6, 0
	s_mov_b32 s0, 0
	s_delay_alu instid0(VALU_DEP_2) | instskip(NEXT) | instid1(VALU_DEP_2)
	v_cvt_f64_f32_e32 v[4:5], v0
	v_mov_b32_e32 v7, v6
	global_store_b128 v[2:3], v[4:7], off
.LBB56_3118:
	s_and_not1_b32 vcc_lo, exec_lo, s0
	s_cbranch_vccnz .LBB56_3120
; %bb.3119:
	s_wait_loadcnt 0x0
	v_cvt_f32_f16_e32 v4, v1
	v_mov_b32_e32 v5, 0
	global_store_b64 v[2:3], v[4:5], off
.LBB56_3120:
	s_mov_b32 s0, 0
.LBB56_3121:
	s_delay_alu instid0(SALU_CYCLE_1)
	s_and_not1_b32 vcc_lo, exec_lo, s0
	s_cbranch_vccnz .LBB56_3123
; %bb.3122:
	s_wait_loadcnt 0x0
	v_and_b32_e32 v0, 0xffff, v1
	global_store_b32 v[2:3], v0, off
.LBB56_3123:
	s_mov_b32 s0, 0
.LBB56_3124:
	s_delay_alu instid0(SALU_CYCLE_1)
	s_and_not1_b32 vcc_lo, exec_lo, s0
	s_cbranch_vccnz .LBB56_3133
; %bb.3125:
	s_sext_i32_i16 s2, s1
	s_mov_b32 s0, -1
	s_cmp_lt_i32 s2, 6
	s_cbranch_scc1 .LBB56_3131
; %bb.3126:
	s_cmp_gt_i32 s2, 6
	s_cbranch_scc0 .LBB56_3128
; %bb.3127:
	s_wait_loadcnt 0x0
	v_cvt_f32_f16_e32 v0, v1
	s_mov_b32 s0, 0
	s_delay_alu instid0(VALU_DEP_1)
	v_cvt_f64_f32_e32 v[4:5], v0
	global_store_b64 v[2:3], v[4:5], off
.LBB56_3128:
	s_and_not1_b32 vcc_lo, exec_lo, s0
	s_cbranch_vccnz .LBB56_3130
; %bb.3129:
	s_wait_loadcnt 0x0
	v_cvt_f32_f16_e32 v0, v1
	global_store_b32 v[2:3], v0, off
.LBB56_3130:
	s_mov_b32 s0, 0
.LBB56_3131:
	s_delay_alu instid0(SALU_CYCLE_1)
	s_and_not1_b32 vcc_lo, exec_lo, s0
	s_cbranch_vccnz .LBB56_3133
; %bb.3132:
	s_wait_loadcnt 0x0
	global_store_b16 v[2:3], v1, off
.LBB56_3133:
	s_mov_b32 s0, 0
.LBB56_3134:
	s_delay_alu instid0(SALU_CYCLE_1)
	s_and_not1_b32 vcc_lo, exec_lo, s0
	s_cbranch_vccnz .LBB56_3150
; %bb.3135:
	s_sext_i32_i16 s2, s1
	s_mov_b32 s0, -1
	s_cmp_lt_i32 s2, 2
	s_cbranch_scc1 .LBB56_3145
; %bb.3136:
	s_cmp_lt_i32 s2, 3
	s_cbranch_scc1 .LBB56_3142
; %bb.3137:
	s_cmp_gt_i32 s2, 3
	s_cbranch_scc0 .LBB56_3139
; %bb.3138:
	s_wait_loadcnt 0x0
	v_cvt_f32_f16_e32 v0, v1
	s_mov_b32 s0, 0
	s_delay_alu instid0(VALU_DEP_1) | instskip(NEXT) | instid1(VALU_DEP_1)
	v_cvt_i32_f32_e32 v4, v0
	v_ashrrev_i32_e32 v5, 31, v4
	global_store_b64 v[2:3], v[4:5], off
.LBB56_3139:
	s_and_not1_b32 vcc_lo, exec_lo, s0
	s_cbranch_vccnz .LBB56_3141
; %bb.3140:
	s_wait_loadcnt 0x0
	v_cvt_f32_f16_e32 v0, v1
	s_delay_alu instid0(VALU_DEP_1)
	v_cvt_i32_f32_e32 v0, v0
	global_store_b32 v[2:3], v0, off
.LBB56_3141:
	s_mov_b32 s0, 0
.LBB56_3142:
	s_delay_alu instid0(SALU_CYCLE_1)
	s_and_not1_b32 vcc_lo, exec_lo, s0
	s_cbranch_vccnz .LBB56_3144
; %bb.3143:
	s_wait_loadcnt 0x0
	v_cvt_i16_f16_e32 v0, v1
	global_store_b16 v[2:3], v0, off
.LBB56_3144:
	s_mov_b32 s0, 0
.LBB56_3145:
	s_delay_alu instid0(SALU_CYCLE_1)
	s_and_not1_b32 vcc_lo, exec_lo, s0
	s_cbranch_vccnz .LBB56_3150
; %bb.3146:
	s_sext_i32_i16 s0, s1
	s_delay_alu instid0(SALU_CYCLE_1)
	s_cmp_gt_i32 s0, 0
	s_mov_b32 s0, -1
	s_cbranch_scc0 .LBB56_3148
; %bb.3147:
	s_wait_loadcnt 0x0
	v_cvt_i16_f16_e32 v0, v1
	s_mov_b32 s0, 0
	global_store_b8 v[2:3], v0, off
.LBB56_3148:
	s_and_not1_b32 vcc_lo, exec_lo, s0
	s_cbranch_vccnz .LBB56_3150
; %bb.3149:
	s_wait_loadcnt 0x0
	v_cvt_f32_f16_e32 v0, v1
	s_delay_alu instid0(VALU_DEP_1)
	v_cvt_i32_f32_e32 v0, v0
	global_store_b8 v[2:3], v0, off
	s_endpgm
.LBB56_3150:
	s_endpgm
.LBB56_3151:
	s_or_b32 s10, s10, exec_lo
	s_trap 2
	s_cbranch_execz .LBB56_2624
	s_branch .LBB56_2625
.LBB56_3152:
	s_and_not1_saveexec_b32 s11, s11
	s_cbranch_execz .LBB56_2704
.LBB56_3153:
	v_add_f32_e64 v5, 0x46000000, |v3|
	s_and_not1_b32 s7, s7, exec_lo
	s_delay_alu instid0(VALU_DEP_1) | instskip(NEXT) | instid1(VALU_DEP_1)
	v_and_b32_e32 v5, 0xff, v5
	v_cmp_ne_u32_e32 vcc_lo, 0, v5
	s_and_b32 s12, vcc_lo, exec_lo
	s_delay_alu instid0(SALU_CYCLE_1)
	s_or_b32 s7, s7, s12
	s_or_b32 exec_lo, exec_lo, s11
	v_mov_b32_e32 v8, 0
	s_and_saveexec_b32 s11, s7
	s_cbranch_execnz .LBB56_2705
	s_branch .LBB56_2706
.LBB56_3154:
	s_or_b32 s10, s10, exec_lo
	s_trap 2
	s_cbranch_execz .LBB56_2752
	s_branch .LBB56_2753
.LBB56_3155:
	s_and_not1_saveexec_b32 s7, s7
	s_cbranch_execz .LBB56_2717
.LBB56_3156:
	v_add_f32_e64 v5, 0x42800000, |v3|
	s_and_not1_b32 s6, s6, exec_lo
	s_delay_alu instid0(VALU_DEP_1) | instskip(NEXT) | instid1(VALU_DEP_1)
	v_and_b32_e32 v5, 0xff, v5
	v_cmp_ne_u32_e32 vcc_lo, 0, v5
	s_and_b32 s11, vcc_lo, exec_lo
	s_delay_alu instid0(SALU_CYCLE_1)
	s_or_b32 s6, s6, s11
	s_or_b32 exec_lo, exec_lo, s7
	v_mov_b32_e32 v8, 0
	s_and_saveexec_b32 s7, s6
	s_cbranch_execnz .LBB56_2718
	s_branch .LBB56_2719
.LBB56_3157:
	s_and_not1_saveexec_b32 s11, s11
	s_cbranch_execz .LBB56_2822
.LBB56_3158:
	v_add_f32_e64 v6, 0x46000000, |v3|
	s_and_not1_b32 s7, s7, exec_lo
	s_delay_alu instid0(VALU_DEP_1) | instskip(NEXT) | instid1(VALU_DEP_1)
	v_and_b32_e32 v6, 0xff, v6
	v_cmp_ne_u32_e32 vcc_lo, 0, v6
	s_and_b32 s12, vcc_lo, exec_lo
	s_delay_alu instid0(SALU_CYCLE_1)
	s_or_b32 s7, s7, s12
	s_or_b32 exec_lo, exec_lo, s11
	v_mov_b32_e32 v7, 0
	s_and_saveexec_b32 s11, s7
	s_cbranch_execnz .LBB56_2823
	s_branch .LBB56_2824
.LBB56_3159:
	s_or_b32 s10, s10, exec_lo
	s_trap 2
	s_cbranch_execz .LBB56_2870
	s_branch .LBB56_2871
.LBB56_3160:
	s_and_not1_saveexec_b32 s7, s7
	s_cbranch_execz .LBB56_2835
.LBB56_3161:
	v_add_f32_e64 v6, 0x42800000, |v3|
	s_and_not1_b32 s6, s6, exec_lo
	s_delay_alu instid0(VALU_DEP_1) | instskip(NEXT) | instid1(VALU_DEP_1)
	v_and_b32_e32 v6, 0xff, v6
	v_cmp_ne_u32_e32 vcc_lo, 0, v6
	s_and_b32 s11, vcc_lo, exec_lo
	s_delay_alu instid0(SALU_CYCLE_1)
	s_or_b32 s6, s6, s11
	s_or_b32 exec_lo, exec_lo, s7
	v_mov_b32_e32 v7, 0
	s_and_saveexec_b32 s7, s6
	s_cbranch_execnz .LBB56_2836
	s_branch .LBB56_2837
.LBB56_3162:
	s_and_not1_saveexec_b32 s11, s11
	s_cbranch_execz .LBB56_2940
.LBB56_3163:
	v_add_f32_e64 v5, 0x46000000, |v4|
	s_and_not1_b32 s7, s7, exec_lo
	s_delay_alu instid0(VALU_DEP_1) | instskip(NEXT) | instid1(VALU_DEP_1)
	v_and_b32_e32 v5, 0xff, v5
	v_cmp_ne_u32_e32 vcc_lo, 0, v5
	s_and_b32 s12, vcc_lo, exec_lo
	s_delay_alu instid0(SALU_CYCLE_1)
	s_or_b32 s7, s7, s12
	s_or_b32 exec_lo, exec_lo, s11
	v_mov_b32_e32 v6, 0
	s_and_saveexec_b32 s11, s7
	s_cbranch_execnz .LBB56_2941
	s_branch .LBB56_2942
.LBB56_3164:
	s_or_b32 s10, s10, exec_lo
	s_trap 2
	s_cbranch_execz .LBB56_2988
	s_branch .LBB56_2989
.LBB56_3165:
	s_and_not1_saveexec_b32 s7, s7
	s_cbranch_execz .LBB56_2953
.LBB56_3166:
	v_add_f32_e64 v5, 0x42800000, |v4|
	s_and_not1_b32 s6, s6, exec_lo
	s_delay_alu instid0(VALU_DEP_1) | instskip(NEXT) | instid1(VALU_DEP_1)
	v_and_b32_e32 v5, 0xff, v5
	v_cmp_ne_u32_e32 vcc_lo, 0, v5
	s_and_b32 s11, vcc_lo, exec_lo
	s_delay_alu instid0(SALU_CYCLE_1)
	s_or_b32 s6, s6, s11
	s_or_b32 exec_lo, exec_lo, s7
	v_mov_b32_e32 v6, 0
	s_and_saveexec_b32 s7, s6
	s_cbranch_execnz .LBB56_2954
	s_branch .LBB56_2955
.LBB56_3167:
	s_and_not1_saveexec_b32 s6, s6
	s_cbranch_execz .LBB56_3020
.LBB56_3168:
	v_add_f32_e64 v4, 0x46000000, |v0|
	s_and_not1_b32 s5, s5, exec_lo
	s_delay_alu instid0(VALU_DEP_1) | instskip(NEXT) | instid1(VALU_DEP_1)
	v_and_b32_e32 v4, 0xff, v4
	v_cmp_ne_u32_e32 vcc_lo, 0, v4
	s_and_b32 s7, vcc_lo, exec_lo
	s_delay_alu instid0(SALU_CYCLE_1)
	s_or_b32 s5, s5, s7
	s_or_b32 exec_lo, exec_lo, s6
	v_mov_b32_e32 v5, 0
	s_and_saveexec_b32 s6, s5
	s_cbranch_execnz .LBB56_3021
	s_branch .LBB56_3022
.LBB56_3169:
	s_mov_b32 s3, 0
	s_or_b32 s10, s10, exec_lo
	s_trap 2
	s_branch .LBB56_3066
.LBB56_3170:
	s_and_not1_saveexec_b32 s5, s5
	s_cbranch_execz .LBB56_3032
.LBB56_3171:
	v_add_f32_e64 v4, 0x42800000, |v0|
	s_and_not1_b32 s4, s4, exec_lo
	s_delay_alu instid0(VALU_DEP_1) | instskip(NEXT) | instid1(VALU_DEP_1)
	v_and_b32_e32 v4, 0xff, v4
	v_cmp_ne_u32_e32 vcc_lo, 0, v4
	s_and_b32 s6, vcc_lo, exec_lo
	s_delay_alu instid0(SALU_CYCLE_1)
	s_or_b32 s4, s4, s6
	s_or_b32 exec_lo, exec_lo, s5
	v_mov_b32_e32 v5, 0
	s_and_saveexec_b32 s5, s4
	s_cbranch_execnz .LBB56_3033
	s_branch .LBB56_3034
	.section	.rodata,"a",@progbits
	.p2align	6, 0x0
	.amdhsa_kernel _ZN2at6native32elementwise_kernel_manual_unrollILi128ELi4EZNS0_15gpu_kernel_implIZZZNS0_12prelu_kernelERNS_14TensorIteratorEENKUlvE_clEvENKUlvE2_clEvEUlN3c104HalfES8_E_EEvRNS_18TensorIteratorBaseERKT_EUlibE0_EEviT1_
		.amdhsa_group_segment_fixed_size 0
		.amdhsa_private_segment_fixed_size 0
		.amdhsa_kernarg_size 432
		.amdhsa_user_sgpr_count 2
		.amdhsa_user_sgpr_dispatch_ptr 0
		.amdhsa_user_sgpr_queue_ptr 0
		.amdhsa_user_sgpr_kernarg_segment_ptr 1
		.amdhsa_user_sgpr_dispatch_id 0
		.amdhsa_user_sgpr_kernarg_preload_length 0
		.amdhsa_user_sgpr_kernarg_preload_offset 0
		.amdhsa_user_sgpr_private_segment_size 0
		.amdhsa_wavefront_size32 1
		.amdhsa_uses_dynamic_stack 0
		.amdhsa_enable_private_segment 0
		.amdhsa_system_sgpr_workgroup_id_x 1
		.amdhsa_system_sgpr_workgroup_id_y 0
		.amdhsa_system_sgpr_workgroup_id_z 0
		.amdhsa_system_sgpr_workgroup_info 0
		.amdhsa_system_vgpr_workitem_id 0
		.amdhsa_next_free_vgpr 26
		.amdhsa_next_free_sgpr 60
		.amdhsa_named_barrier_count 0
		.amdhsa_reserve_vcc 1
		.amdhsa_float_round_mode_32 0
		.amdhsa_float_round_mode_16_64 0
		.amdhsa_float_denorm_mode_32 3
		.amdhsa_float_denorm_mode_16_64 3
		.amdhsa_fp16_overflow 0
		.amdhsa_memory_ordered 1
		.amdhsa_forward_progress 1
		.amdhsa_inst_pref_size 255
		.amdhsa_round_robin_scheduling 0
		.amdhsa_exception_fp_ieee_invalid_op 0
		.amdhsa_exception_fp_denorm_src 0
		.amdhsa_exception_fp_ieee_div_zero 0
		.amdhsa_exception_fp_ieee_overflow 0
		.amdhsa_exception_fp_ieee_underflow 0
		.amdhsa_exception_fp_ieee_inexact 0
		.amdhsa_exception_int_div_zero 0
	.end_amdhsa_kernel
	.section	.text._ZN2at6native32elementwise_kernel_manual_unrollILi128ELi4EZNS0_15gpu_kernel_implIZZZNS0_12prelu_kernelERNS_14TensorIteratorEENKUlvE_clEvENKUlvE2_clEvEUlN3c104HalfES8_E_EEvRNS_18TensorIteratorBaseERKT_EUlibE0_EEviT1_,"axG",@progbits,_ZN2at6native32elementwise_kernel_manual_unrollILi128ELi4EZNS0_15gpu_kernel_implIZZZNS0_12prelu_kernelERNS_14TensorIteratorEENKUlvE_clEvENKUlvE2_clEvEUlN3c104HalfES8_E_EEvRNS_18TensorIteratorBaseERKT_EUlibE0_EEviT1_,comdat
.Lfunc_end56:
	.size	_ZN2at6native32elementwise_kernel_manual_unrollILi128ELi4EZNS0_15gpu_kernel_implIZZZNS0_12prelu_kernelERNS_14TensorIteratorEENKUlvE_clEvENKUlvE2_clEvEUlN3c104HalfES8_E_EEvRNS_18TensorIteratorBaseERKT_EUlibE0_EEviT1_, .Lfunc_end56-_ZN2at6native32elementwise_kernel_manual_unrollILi128ELi4EZNS0_15gpu_kernel_implIZZZNS0_12prelu_kernelERNS_14TensorIteratorEENKUlvE_clEvENKUlvE2_clEvEUlN3c104HalfES8_E_EEvRNS_18TensorIteratorBaseERKT_EUlibE0_EEviT1_
                                        ; -- End function
	.set _ZN2at6native32elementwise_kernel_manual_unrollILi128ELi4EZNS0_15gpu_kernel_implIZZZNS0_12prelu_kernelERNS_14TensorIteratorEENKUlvE_clEvENKUlvE2_clEvEUlN3c104HalfES8_E_EEvRNS_18TensorIteratorBaseERKT_EUlibE0_EEviT1_.num_vgpr, 26
	.set _ZN2at6native32elementwise_kernel_manual_unrollILi128ELi4EZNS0_15gpu_kernel_implIZZZNS0_12prelu_kernelERNS_14TensorIteratorEENKUlvE_clEvENKUlvE2_clEvEUlN3c104HalfES8_E_EEvRNS_18TensorIteratorBaseERKT_EUlibE0_EEviT1_.num_agpr, 0
	.set _ZN2at6native32elementwise_kernel_manual_unrollILi128ELi4EZNS0_15gpu_kernel_implIZZZNS0_12prelu_kernelERNS_14TensorIteratorEENKUlvE_clEvENKUlvE2_clEvEUlN3c104HalfES8_E_EEvRNS_18TensorIteratorBaseERKT_EUlibE0_EEviT1_.numbered_sgpr, 60
	.set _ZN2at6native32elementwise_kernel_manual_unrollILi128ELi4EZNS0_15gpu_kernel_implIZZZNS0_12prelu_kernelERNS_14TensorIteratorEENKUlvE_clEvENKUlvE2_clEvEUlN3c104HalfES8_E_EEvRNS_18TensorIteratorBaseERKT_EUlibE0_EEviT1_.num_named_barrier, 0
	.set _ZN2at6native32elementwise_kernel_manual_unrollILi128ELi4EZNS0_15gpu_kernel_implIZZZNS0_12prelu_kernelERNS_14TensorIteratorEENKUlvE_clEvENKUlvE2_clEvEUlN3c104HalfES8_E_EEvRNS_18TensorIteratorBaseERKT_EUlibE0_EEviT1_.private_seg_size, 0
	.set _ZN2at6native32elementwise_kernel_manual_unrollILi128ELi4EZNS0_15gpu_kernel_implIZZZNS0_12prelu_kernelERNS_14TensorIteratorEENKUlvE_clEvENKUlvE2_clEvEUlN3c104HalfES8_E_EEvRNS_18TensorIteratorBaseERKT_EUlibE0_EEviT1_.uses_vcc, 1
	.set _ZN2at6native32elementwise_kernel_manual_unrollILi128ELi4EZNS0_15gpu_kernel_implIZZZNS0_12prelu_kernelERNS_14TensorIteratorEENKUlvE_clEvENKUlvE2_clEvEUlN3c104HalfES8_E_EEvRNS_18TensorIteratorBaseERKT_EUlibE0_EEviT1_.uses_flat_scratch, 0
	.set _ZN2at6native32elementwise_kernel_manual_unrollILi128ELi4EZNS0_15gpu_kernel_implIZZZNS0_12prelu_kernelERNS_14TensorIteratorEENKUlvE_clEvENKUlvE2_clEvEUlN3c104HalfES8_E_EEvRNS_18TensorIteratorBaseERKT_EUlibE0_EEviT1_.has_dyn_sized_stack, 0
	.set _ZN2at6native32elementwise_kernel_manual_unrollILi128ELi4EZNS0_15gpu_kernel_implIZZZNS0_12prelu_kernelERNS_14TensorIteratorEENKUlvE_clEvENKUlvE2_clEvEUlN3c104HalfES8_E_EEvRNS_18TensorIteratorBaseERKT_EUlibE0_EEviT1_.has_recursion, 0
	.set _ZN2at6native32elementwise_kernel_manual_unrollILi128ELi4EZNS0_15gpu_kernel_implIZZZNS0_12prelu_kernelERNS_14TensorIteratorEENKUlvE_clEvENKUlvE2_clEvEUlN3c104HalfES8_E_EEvRNS_18TensorIteratorBaseERKT_EUlibE0_EEviT1_.has_indirect_call, 0
	.section	.AMDGPU.csdata,"",@progbits
; Kernel info:
; codeLenInByte = 69416
; TotalNumSgprs: 62
; NumVgprs: 26
; ScratchSize: 0
; MemoryBound: 0
; FloatMode: 240
; IeeeMode: 1
; LDSByteSize: 0 bytes/workgroup (compile time only)
; SGPRBlocks: 0
; VGPRBlocks: 1
; NumSGPRsForWavesPerEU: 62
; NumVGPRsForWavesPerEU: 26
; NamedBarCnt: 0
; Occupancy: 16
; WaveLimiterHint : 1
; COMPUTE_PGM_RSRC2:SCRATCH_EN: 0
; COMPUTE_PGM_RSRC2:USER_SGPR: 2
; COMPUTE_PGM_RSRC2:TRAP_HANDLER: 0
; COMPUTE_PGM_RSRC2:TGID_X_EN: 1
; COMPUTE_PGM_RSRC2:TGID_Y_EN: 0
; COMPUTE_PGM_RSRC2:TGID_Z_EN: 0
; COMPUTE_PGM_RSRC2:TIDIG_COMP_CNT: 0
	.section	.text._ZN2at6native12_GLOBAL__N_145unrolled_elementwise_kernel_for_multi_outputsILi2EZZZNS0_21prelu_backward_kernelERNS_14TensorIteratorEENKUlvE_clEvENKUlvE_clEvEUldddE_St5arrayIPcLm5EE23TrivialOffsetCalculatorILi3EjESB_ILi2EjEEEviT0_T1_T2_T3_,"axG",@progbits,_ZN2at6native12_GLOBAL__N_145unrolled_elementwise_kernel_for_multi_outputsILi2EZZZNS0_21prelu_backward_kernelERNS_14TensorIteratorEENKUlvE_clEvENKUlvE_clEvEUldddE_St5arrayIPcLm5EE23TrivialOffsetCalculatorILi3EjESB_ILi2EjEEEviT0_T1_T2_T3_,comdat
	.globl	_ZN2at6native12_GLOBAL__N_145unrolled_elementwise_kernel_for_multi_outputsILi2EZZZNS0_21prelu_backward_kernelERNS_14TensorIteratorEENKUlvE_clEvENKUlvE_clEvEUldddE_St5arrayIPcLm5EE23TrivialOffsetCalculatorILi3EjESB_ILi2EjEEEviT0_T1_T2_T3_ ; -- Begin function _ZN2at6native12_GLOBAL__N_145unrolled_elementwise_kernel_for_multi_outputsILi2EZZZNS0_21prelu_backward_kernelERNS_14TensorIteratorEENKUlvE_clEvENKUlvE_clEvEUldddE_St5arrayIPcLm5EE23TrivialOffsetCalculatorILi3EjESB_ILi2EjEEEviT0_T1_T2_T3_
	.p2align	8
	.type	_ZN2at6native12_GLOBAL__N_145unrolled_elementwise_kernel_for_multi_outputsILi2EZZZNS0_21prelu_backward_kernelERNS_14TensorIteratorEENKUlvE_clEvENKUlvE_clEvEUldddE_St5arrayIPcLm5EE23TrivialOffsetCalculatorILi3EjESB_ILi2EjEEEviT0_T1_T2_T3_,@function
_ZN2at6native12_GLOBAL__N_145unrolled_elementwise_kernel_for_multi_outputsILi2EZZZNS0_21prelu_backward_kernelERNS_14TensorIteratorEENKUlvE_clEvENKUlvE_clEvEUldddE_St5arrayIPcLm5EE23TrivialOffsetCalculatorILi3EjESB_ILi2EjEEEviT0_T1_T2_T3_: ; @_ZN2at6native12_GLOBAL__N_145unrolled_elementwise_kernel_for_multi_outputsILi2EZZZNS0_21prelu_backward_kernelERNS_14TensorIteratorEENKUlvE_clEvENKUlvE_clEvEUldddE_St5arrayIPcLm5EE23TrivialOffsetCalculatorILi3EjESB_ILi2EjEEEviT0_T1_T2_T3_
; %bb.0:
	s_load_b32 s13, s[0:1], 0x0
	s_bfe_u32 s2, ttmp6, 0x4000c
	s_load_b256 s[4:11], s[0:1], 0x8
	s_add_co_i32 s2, s2, 1
	s_and_b32 s12, ttmp6, 15
	s_mul_i32 s15, ttmp9, s2
	s_load_b64 s[2:3], s[0:1], 0x28
	s_getreg_b32 s14, hwreg(HW_REG_IB_STS2, 6, 4)
	s_add_co_i32 s12, s12, s15
	s_cmp_eq_u32 s14, 0
	v_mov_b64_e32 v[2:3], 0
	s_wait_xcnt 0x0
	s_cselect_b32 s0, ttmp9, s12
	v_mov_b64_e32 v[6:7], 0
	s_lshl_b32 s12, s0, 10
	v_mov_b64_e32 v[8:9], 0
	v_mov_b64_e32 v[4:5], 0
	;; [unrolled: 1-line block ×6, first 2 shown]
	s_wait_kmcnt 0x0
	s_sub_co_i32 s13, s13, s12
	v_mov_b64_e32 v[20:21], 0
	v_mov_b64_e32 v[18:19], 0
	;; [unrolled: 1-line block ×5, first 2 shown]
	v_cmp_gt_i32_e32 vcc_lo, s13, v0
	v_or_b32_e32 v31, s12, v0
	v_or_b32_e32 v30, 0x100, v0
	s_and_saveexec_b32 s1, vcc_lo
	s_cbranch_execz .LBB57_8
; %bb.1:
	s_clause 0x2
	global_load_b64 v[22:23], v31, s[8:9] scale_offset
	global_load_b64 v[26:27], v31, s[10:11] scale_offset
	;; [unrolled: 1-line block ×3, first 2 shown]
	v_mov_b64_e32 v[18:19], 0
	v_mov_b64_e32 v[20:21], 0
	;; [unrolled: 1-line block ×9, first 2 shown]
	s_mov_b32 s14, exec_lo
	s_wait_xcnt 0x0
	v_cmpx_gt_u32_e64 s13, v30
	s_cbranch_execz .LBB57_7
; %bb.2:
	v_add_nc_u32_e32 v1, s12, v30
	v_mov_b64_e32 v[12:13], 0
	v_mov_b64_e32 v[14:15], 0
	;; [unrolled: 1-line block ×4, first 2 shown]
	s_clause 0x2
	global_load_b64 v[16:17], v1, s[8:9] scale_offset
	global_load_b64 v[20:21], v1, s[10:11] scale_offset
	;; [unrolled: 1-line block ×3, first 2 shown]
	v_mov_b64_e32 v[8:9], 0
	v_mov_b64_e32 v[6:7], 0
	s_wait_xcnt 0x0
	v_or_b32_e32 v1, 0x200, v0
	s_mov_b32 s15, exec_lo
	s_delay_alu instid0(VALU_DEP_1)
	v_cmpx_gt_u32_e64 s13, v1
	s_cbranch_execz .LBB57_6
; %bb.3:
	v_add_nc_u32_e32 v1, s12, v1
	v_mov_b64_e32 v[4:5], 0
	v_mov_b64_e32 v[8:9], 0
	;; [unrolled: 1-line block ×3, first 2 shown]
	s_mov_b32 s16, exec_lo
	s_clause 0x2
	global_load_b64 v[10:11], v1, s[8:9] scale_offset
	global_load_b64 v[14:15], v1, s[10:11] scale_offset
	;; [unrolled: 1-line block ×3, first 2 shown]
	s_wait_xcnt 0x0
	v_or_b32_e32 v1, 0x300, v0
	s_delay_alu instid0(VALU_DEP_1)
	v_cmpx_gt_u32_e64 s13, v1
	s_cbranch_execz .LBB57_5
; %bb.4:
	v_add_nc_u32_e32 v1, s12, v1
	s_clause 0x2
	global_load_b64 v[6:7], v1, s[8:9] scale_offset
	global_load_b64 v[8:9], v1, s[10:11] scale_offset
	;; [unrolled: 1-line block ×3, first 2 shown]
.LBB57_5:
	s_wait_xcnt 0x0
	s_or_b32 exec_lo, exec_lo, s16
.LBB57_6:
	s_delay_alu instid0(SALU_CYCLE_1)
	s_or_b32 exec_lo, exec_lo, s15
.LBB57_7:
	s_delay_alu instid0(SALU_CYCLE_1)
	s_or_b32 exec_lo, exec_lo, s14
.LBB57_8:
	s_delay_alu instid0(SALU_CYCLE_1)
	s_or_b32 exec_lo, exec_lo, s1
	v_mov_b64_e32 v[28:29], 0
	s_and_saveexec_b32 s1, vcc_lo
	s_cbranch_execz .LBB57_10
; %bb.9:
	s_wait_loadcnt 0x0
	v_mul_f64_e32 v[2:3], v[26:27], v[24:25]
	v_cmp_lt_f64_e64 s0, 0, v[22:23]
	v_mul_f64_e32 v[22:23], v[22:23], v[24:25]
	s_delay_alu instid0(VALU_DEP_2) | instskip(NEXT) | instid1(VALU_DEP_2)
	v_dual_cndmask_b32 v29, v3, v25, s0 :: v_dual_cndmask_b32 v28, v2, v24, s0
	v_cndmask_b32_e64 v3, v23, 0, s0
	s_delay_alu instid0(VALU_DEP_3)
	v_cndmask_b32_e64 v2, v22, 0, s0
.LBB57_10:
	s_or_b32 exec_lo, exec_lo, s1
	s_wait_loadcnt 0x2
	v_mov_b64_e32 v[22:23], 0
	s_wait_loadcnt 0x0
	v_mov_b64_e32 v[24:25], 0
	v_mov_b64_e32 v[26:27], 0
	v_cmp_gt_i32_e64 s0, s13, v30
	s_and_saveexec_b32 s2, s0
	s_cbranch_execz .LBB57_12
; %bb.11:
	v_mul_f64_e32 v[20:21], v[20:21], v[18:19]
	v_cmp_lt_f64_e64 s1, 0, v[16:17]
	v_mul_f64_e32 v[16:17], v[16:17], v[18:19]
	s_delay_alu instid0(VALU_DEP_2) | instskip(NEXT) | instid1(VALU_DEP_2)
	v_dual_cndmask_b32 v27, v21, v19, s1 :: v_dual_cndmask_b32 v26, v20, v18, s1
	v_cndmask_b32_e64 v25, v17, 0, s1
	s_delay_alu instid0(VALU_DEP_3)
	v_cndmask_b32_e64 v24, v16, 0, s1
.LBB57_12:
	s_or_b32 exec_lo, exec_lo, s2
	v_or_b32_e32 v18, 0x200, v0
	v_mov_b64_e32 v[16:17], 0
	s_delay_alu instid0(VALU_DEP_2)
	v_cmp_gt_i32_e64 s1, s13, v18
	s_and_saveexec_b32 s3, s1
	s_cbranch_execz .LBB57_14
; %bb.13:
	v_mul_f64_e32 v[14:15], v[14:15], v[12:13]
	v_cmp_lt_f64_e64 s2, 0, v[10:11]
	v_mul_f64_e32 v[10:11], v[10:11], v[12:13]
	s_delay_alu instid0(VALU_DEP_2) | instskip(NEXT) | instid1(VALU_DEP_2)
	v_dual_cndmask_b32 v17, v15, v13, s2 :: v_dual_cndmask_b32 v16, v14, v12, s2
	v_cndmask_b32_e64 v23, v11, 0, s2
	s_delay_alu instid0(VALU_DEP_3)
	v_cndmask_b32_e64 v22, v10, 0, s2
.LBB57_14:
	s_or_b32 exec_lo, exec_lo, s3
	v_or_b32_e32 v12, 0x300, v0
	v_mov_b64_e32 v[0:1], 0
	v_mov_b64_e32 v[10:11], 0
	s_delay_alu instid0(VALU_DEP_3)
	v_cmp_gt_i32_e64 s2, s13, v12
	s_and_saveexec_b32 s8, s2
	s_cbranch_execz .LBB57_16
; %bb.15:
	v_mul_f64_e32 v[0:1], v[8:9], v[4:5]
	v_cmp_lt_f64_e64 s3, 0, v[6:7]
	v_mul_f64_e32 v[6:7], v[6:7], v[4:5]
	s_delay_alu instid0(VALU_DEP_2) | instskip(NEXT) | instid1(VALU_DEP_2)
	v_dual_cndmask_b32 v11, v1, v5, s3 :: v_dual_cndmask_b32 v10, v0, v4, s3
	v_cndmask_b32_e64 v1, v7, 0, s3
	s_delay_alu instid0(VALU_DEP_3)
	v_cndmask_b32_e64 v0, v6, 0, s3
.LBB57_16:
	s_or_b32 exec_lo, exec_lo, s8
	s_and_saveexec_b32 s3, vcc_lo
	s_cbranch_execz .LBB57_21
; %bb.17:
	s_clause 0x1
	global_store_b64 v31, v[28:29], s[4:5] scale_offset
	global_store_b64 v31, v[2:3], s[6:7] scale_offset
	s_wait_xcnt 0x0
	s_and_b32 exec_lo, exec_lo, s0
	s_cbranch_execz .LBB57_21
; %bb.18:
	v_add_nc_u32_e32 v2, s12, v30
	s_clause 0x1
	global_store_b64 v2, v[26:27], s[4:5] scale_offset
	global_store_b64 v2, v[24:25], s[6:7] scale_offset
	s_wait_xcnt 0x0
	s_and_b32 exec_lo, exec_lo, s1
	s_cbranch_execz .LBB57_21
; %bb.19:
	v_add_nc_u32_e32 v2, s12, v18
	;; [unrolled: 8-line block ×3, first 2 shown]
	s_clause 0x1
	global_store_b64 v2, v[10:11], s[4:5] scale_offset
	global_store_b64 v2, v[0:1], s[6:7] scale_offset
.LBB57_21:
	s_endpgm
	.section	.rodata,"a",@progbits
	.p2align	6, 0x0
	.amdhsa_kernel _ZN2at6native12_GLOBAL__N_145unrolled_elementwise_kernel_for_multi_outputsILi2EZZZNS0_21prelu_backward_kernelERNS_14TensorIteratorEENKUlvE_clEvENKUlvE_clEvEUldddE_St5arrayIPcLm5EE23TrivialOffsetCalculatorILi3EjESB_ILi2EjEEEviT0_T1_T2_T3_
		.amdhsa_group_segment_fixed_size 0
		.amdhsa_private_segment_fixed_size 0
		.amdhsa_kernarg_size 52
		.amdhsa_user_sgpr_count 2
		.amdhsa_user_sgpr_dispatch_ptr 0
		.amdhsa_user_sgpr_queue_ptr 0
		.amdhsa_user_sgpr_kernarg_segment_ptr 1
		.amdhsa_user_sgpr_dispatch_id 0
		.amdhsa_user_sgpr_kernarg_preload_length 0
		.amdhsa_user_sgpr_kernarg_preload_offset 0
		.amdhsa_user_sgpr_private_segment_size 0
		.amdhsa_wavefront_size32 1
		.amdhsa_uses_dynamic_stack 0
		.amdhsa_enable_private_segment 0
		.amdhsa_system_sgpr_workgroup_id_x 1
		.amdhsa_system_sgpr_workgroup_id_y 0
		.amdhsa_system_sgpr_workgroup_id_z 0
		.amdhsa_system_sgpr_workgroup_info 0
		.amdhsa_system_vgpr_workitem_id 0
		.amdhsa_next_free_vgpr 32
		.amdhsa_next_free_sgpr 17
		.amdhsa_named_barrier_count 0
		.amdhsa_reserve_vcc 1
		.amdhsa_float_round_mode_32 0
		.amdhsa_float_round_mode_16_64 0
		.amdhsa_float_denorm_mode_32 3
		.amdhsa_float_denorm_mode_16_64 3
		.amdhsa_fp16_overflow 0
		.amdhsa_memory_ordered 1
		.amdhsa_forward_progress 1
		.amdhsa_inst_pref_size 9
		.amdhsa_round_robin_scheduling 0
		.amdhsa_exception_fp_ieee_invalid_op 0
		.amdhsa_exception_fp_denorm_src 0
		.amdhsa_exception_fp_ieee_div_zero 0
		.amdhsa_exception_fp_ieee_overflow 0
		.amdhsa_exception_fp_ieee_underflow 0
		.amdhsa_exception_fp_ieee_inexact 0
		.amdhsa_exception_int_div_zero 0
	.end_amdhsa_kernel
	.section	.text._ZN2at6native12_GLOBAL__N_145unrolled_elementwise_kernel_for_multi_outputsILi2EZZZNS0_21prelu_backward_kernelERNS_14TensorIteratorEENKUlvE_clEvENKUlvE_clEvEUldddE_St5arrayIPcLm5EE23TrivialOffsetCalculatorILi3EjESB_ILi2EjEEEviT0_T1_T2_T3_,"axG",@progbits,_ZN2at6native12_GLOBAL__N_145unrolled_elementwise_kernel_for_multi_outputsILi2EZZZNS0_21prelu_backward_kernelERNS_14TensorIteratorEENKUlvE_clEvENKUlvE_clEvEUldddE_St5arrayIPcLm5EE23TrivialOffsetCalculatorILi3EjESB_ILi2EjEEEviT0_T1_T2_T3_,comdat
.Lfunc_end57:
	.size	_ZN2at6native12_GLOBAL__N_145unrolled_elementwise_kernel_for_multi_outputsILi2EZZZNS0_21prelu_backward_kernelERNS_14TensorIteratorEENKUlvE_clEvENKUlvE_clEvEUldddE_St5arrayIPcLm5EE23TrivialOffsetCalculatorILi3EjESB_ILi2EjEEEviT0_T1_T2_T3_, .Lfunc_end57-_ZN2at6native12_GLOBAL__N_145unrolled_elementwise_kernel_for_multi_outputsILi2EZZZNS0_21prelu_backward_kernelERNS_14TensorIteratorEENKUlvE_clEvENKUlvE_clEvEUldddE_St5arrayIPcLm5EE23TrivialOffsetCalculatorILi3EjESB_ILi2EjEEEviT0_T1_T2_T3_
                                        ; -- End function
	.set _ZN2at6native12_GLOBAL__N_145unrolled_elementwise_kernel_for_multi_outputsILi2EZZZNS0_21prelu_backward_kernelERNS_14TensorIteratorEENKUlvE_clEvENKUlvE_clEvEUldddE_St5arrayIPcLm5EE23TrivialOffsetCalculatorILi3EjESB_ILi2EjEEEviT0_T1_T2_T3_.num_vgpr, 32
	.set _ZN2at6native12_GLOBAL__N_145unrolled_elementwise_kernel_for_multi_outputsILi2EZZZNS0_21prelu_backward_kernelERNS_14TensorIteratorEENKUlvE_clEvENKUlvE_clEvEUldddE_St5arrayIPcLm5EE23TrivialOffsetCalculatorILi3EjESB_ILi2EjEEEviT0_T1_T2_T3_.num_agpr, 0
	.set _ZN2at6native12_GLOBAL__N_145unrolled_elementwise_kernel_for_multi_outputsILi2EZZZNS0_21prelu_backward_kernelERNS_14TensorIteratorEENKUlvE_clEvENKUlvE_clEvEUldddE_St5arrayIPcLm5EE23TrivialOffsetCalculatorILi3EjESB_ILi2EjEEEviT0_T1_T2_T3_.numbered_sgpr, 17
	.set _ZN2at6native12_GLOBAL__N_145unrolled_elementwise_kernel_for_multi_outputsILi2EZZZNS0_21prelu_backward_kernelERNS_14TensorIteratorEENKUlvE_clEvENKUlvE_clEvEUldddE_St5arrayIPcLm5EE23TrivialOffsetCalculatorILi3EjESB_ILi2EjEEEviT0_T1_T2_T3_.num_named_barrier, 0
	.set _ZN2at6native12_GLOBAL__N_145unrolled_elementwise_kernel_for_multi_outputsILi2EZZZNS0_21prelu_backward_kernelERNS_14TensorIteratorEENKUlvE_clEvENKUlvE_clEvEUldddE_St5arrayIPcLm5EE23TrivialOffsetCalculatorILi3EjESB_ILi2EjEEEviT0_T1_T2_T3_.private_seg_size, 0
	.set _ZN2at6native12_GLOBAL__N_145unrolled_elementwise_kernel_for_multi_outputsILi2EZZZNS0_21prelu_backward_kernelERNS_14TensorIteratorEENKUlvE_clEvENKUlvE_clEvEUldddE_St5arrayIPcLm5EE23TrivialOffsetCalculatorILi3EjESB_ILi2EjEEEviT0_T1_T2_T3_.uses_vcc, 1
	.set _ZN2at6native12_GLOBAL__N_145unrolled_elementwise_kernel_for_multi_outputsILi2EZZZNS0_21prelu_backward_kernelERNS_14TensorIteratorEENKUlvE_clEvENKUlvE_clEvEUldddE_St5arrayIPcLm5EE23TrivialOffsetCalculatorILi3EjESB_ILi2EjEEEviT0_T1_T2_T3_.uses_flat_scratch, 0
	.set _ZN2at6native12_GLOBAL__N_145unrolled_elementwise_kernel_for_multi_outputsILi2EZZZNS0_21prelu_backward_kernelERNS_14TensorIteratorEENKUlvE_clEvENKUlvE_clEvEUldddE_St5arrayIPcLm5EE23TrivialOffsetCalculatorILi3EjESB_ILi2EjEEEviT0_T1_T2_T3_.has_dyn_sized_stack, 0
	.set _ZN2at6native12_GLOBAL__N_145unrolled_elementwise_kernel_for_multi_outputsILi2EZZZNS0_21prelu_backward_kernelERNS_14TensorIteratorEENKUlvE_clEvENKUlvE_clEvEUldddE_St5arrayIPcLm5EE23TrivialOffsetCalculatorILi3EjESB_ILi2EjEEEviT0_T1_T2_T3_.has_recursion, 0
	.set _ZN2at6native12_GLOBAL__N_145unrolled_elementwise_kernel_for_multi_outputsILi2EZZZNS0_21prelu_backward_kernelERNS_14TensorIteratorEENKUlvE_clEvENKUlvE_clEvEUldddE_St5arrayIPcLm5EE23TrivialOffsetCalculatorILi3EjESB_ILi2EjEEEviT0_T1_T2_T3_.has_indirect_call, 0
	.section	.AMDGPU.csdata,"",@progbits
; Kernel info:
; codeLenInByte = 1028
; TotalNumSgprs: 19
; NumVgprs: 32
; ScratchSize: 0
; MemoryBound: 0
; FloatMode: 240
; IeeeMode: 1
; LDSByteSize: 0 bytes/workgroup (compile time only)
; SGPRBlocks: 0
; VGPRBlocks: 1
; NumSGPRsForWavesPerEU: 19
; NumVGPRsForWavesPerEU: 32
; NamedBarCnt: 0
; Occupancy: 16
; WaveLimiterHint : 0
; COMPUTE_PGM_RSRC2:SCRATCH_EN: 0
; COMPUTE_PGM_RSRC2:USER_SGPR: 2
; COMPUTE_PGM_RSRC2:TRAP_HANDLER: 0
; COMPUTE_PGM_RSRC2:TGID_X_EN: 1
; COMPUTE_PGM_RSRC2:TGID_Y_EN: 0
; COMPUTE_PGM_RSRC2:TGID_Z_EN: 0
; COMPUTE_PGM_RSRC2:TIDIG_COMP_CNT: 0
	.section	.text._ZN2at6native12_GLOBAL__N_145unrolled_elementwise_kernel_for_multi_outputsILi2EZZZNS0_21prelu_backward_kernelERNS_14TensorIteratorEENKUlvE_clEvENKUlvE_clEvEUldddE_St5arrayIPcLm5EE16OffsetCalculatorILi3EjLb0EESB_ILi2EjLb0EEEEviT0_T1_T2_T3_,"axG",@progbits,_ZN2at6native12_GLOBAL__N_145unrolled_elementwise_kernel_for_multi_outputsILi2EZZZNS0_21prelu_backward_kernelERNS_14TensorIteratorEENKUlvE_clEvENKUlvE_clEvEUldddE_St5arrayIPcLm5EE16OffsetCalculatorILi3EjLb0EESB_ILi2EjLb0EEEEviT0_T1_T2_T3_,comdat
	.globl	_ZN2at6native12_GLOBAL__N_145unrolled_elementwise_kernel_for_multi_outputsILi2EZZZNS0_21prelu_backward_kernelERNS_14TensorIteratorEENKUlvE_clEvENKUlvE_clEvEUldddE_St5arrayIPcLm5EE16OffsetCalculatorILi3EjLb0EESB_ILi2EjLb0EEEEviT0_T1_T2_T3_ ; -- Begin function _ZN2at6native12_GLOBAL__N_145unrolled_elementwise_kernel_for_multi_outputsILi2EZZZNS0_21prelu_backward_kernelERNS_14TensorIteratorEENKUlvE_clEvENKUlvE_clEvEUldddE_St5arrayIPcLm5EE16OffsetCalculatorILi3EjLb0EESB_ILi2EjLb0EEEEviT0_T1_T2_T3_
	.p2align	8
	.type	_ZN2at6native12_GLOBAL__N_145unrolled_elementwise_kernel_for_multi_outputsILi2EZZZNS0_21prelu_backward_kernelERNS_14TensorIteratorEENKUlvE_clEvENKUlvE_clEvEUldddE_St5arrayIPcLm5EE16OffsetCalculatorILi3EjLb0EESB_ILi2EjLb0EEEEviT0_T1_T2_T3_,@function
_ZN2at6native12_GLOBAL__N_145unrolled_elementwise_kernel_for_multi_outputsILi2EZZZNS0_21prelu_backward_kernelERNS_14TensorIteratorEENKUlvE_clEvENKUlvE_clEvEUldddE_St5arrayIPcLm5EE16OffsetCalculatorILi3EjLb0EESB_ILi2EjLb0EEEEviT0_T1_T2_T3_: ; @_ZN2at6native12_GLOBAL__N_145unrolled_elementwise_kernel_for_multi_outputsILi2EZZZNS0_21prelu_backward_kernelERNS_14TensorIteratorEENKUlvE_clEvENKUlvE_clEvEUldddE_St5arrayIPcLm5EE16OffsetCalculatorILi3EjLb0EESB_ILi2EjLb0EEEEviT0_T1_T2_T3_
; %bb.0:
	s_clause 0x5
	s_load_b256 s[16:23], s[0:1], 0x1f4
	s_load_b256 s[24:31], s[0:1], 0x214
	s_load_b32 s2, s[0:1], 0x0
	s_load_b256 s[36:43], s[0:1], 0x234
	s_load_b256 s[44:51], s[0:1], 0x254
	;; [unrolled: 1-line block ×3, first 2 shown]
	s_bfe_u32 s4, ttmp6, 0x4000c
	s_load_b256 s[60:67], s[0:1], 0x294
	s_add_co_i32 s4, s4, 1
	s_and_b32 s3, ttmp6, 15
	s_mul_i32 s4, ttmp9, s4
	s_getreg_b32 s5, hwreg(HW_REG_IB_STS2, 6, 4)
	s_load_b256 s[68:75], s[0:1], 0x2b4
	s_add_co_i32 s3, s3, s4
	s_cmp_eq_u32 s5, 0
	s_load_b256 s[8:15], s[0:1], 0x8
	s_cselect_b32 s3, ttmp9, s3
	s_load_b64 s[4:5], s[0:1], 0x28
	s_lshl_b32 s6, s3, 10
	v_mov_b64_e32 v[30:31], 0
	v_mov_b64_e32 v[34:35], 0
	s_wait_kmcnt 0x0
	v_mov_b64_e32 v[2:3], s[20:21]
	v_mov_b64_e32 v[10:11], s[28:29]
	;; [unrolled: 1-line block ×8, first 2 shown]
	s_load_b256 s[24:31], s[0:1], 0x2d4
	s_clause 0x3
	scratch_store_b128 off, v[2:5], off offset:512
	scratch_store_b128 off, v[6:9], off offset:528
	;; [unrolled: 1-line block ×4, first 2 shown]
	s_wait_xcnt 0x3
	v_mov_b64_e32 v[2:3], s[40:41]
	s_wait_xcnt 0x2
	v_mov_b64_e32 v[6:7], s[44:45]
	;; [unrolled: 2-line block ×3, first 2 shown]
	s_sub_co_i32 s7, s2, s6
	v_mov_b64_e32 v[4:5], s[42:43]
	v_mov_b64_e32 v[8:9], s[46:47]
	;; [unrolled: 1-line block ×3, first 2 shown]
	s_clause 0x2
	s_load_b32 s2, s[0:1], 0x2f4
	s_load_b256 s[44:51], s[0:1], 0x1b4
	s_load_b256 s[36:43], s[0:1], 0x1d4
	v_mov_b64_e32 v[14:15], s[52:53]
	v_mov_b64_e32 v[16:17], s[54:55]
	;; [unrolled: 1-line block ×6, first 2 shown]
	s_clause 0x5
	scratch_store_b128 off, v[2:5], off offset:576
	scratch_store_b128 off, v[6:9], off offset:592
	;; [unrolled: 1-line block ×6, first 2 shown]
	s_wait_xcnt 0x5
	v_mov_b64_e32 v[2:3], s[64:65]
	v_mov_b64_e32 v[4:5], s[66:67]
	s_wait_xcnt 0x4
	v_mov_b64_e32 v[6:7], s[68:69]
	v_mov_b64_e32 v[8:9], s[70:71]
	s_wait_xcnt 0x3
	v_mov_b64_e32 v[10:11], s[72:73]
	s_load_b256 s[52:59], s[0:1], 0xd0
	v_mov_b64_e32 v[12:13], s[74:75]
	s_wait_kmcnt 0x0
	v_mov_b64_e32 v[14:15], s[24:25]
	v_mov_b64_e32 v[16:17], s[26:27]
	s_load_b256 s[20:27], s[0:1], 0xb0
	s_clause 0x3
	scratch_store_b128 off, v[2:5], off offset:672
	scratch_store_b128 off, v[6:9], off offset:688
	;; [unrolled: 1-line block ×4, first 2 shown]
	s_wait_xcnt 0x3
	v_mov_b64_e32 v[2:3], s[28:29]
	s_wait_xcnt 0x2
	v_mov_b64_e32 v[6:7], s[48:49]
	v_mov_b64_e32 v[4:5], s[30:31]
	s_load_b256 s[60:67], s[0:1], 0xf0
	v_mov_b64_e32 v[8:9], s[50:51]
	v_mov_b64_e32 v[10:11], s[36:37]
	;; [unrolled: 1-line block ×3, first 2 shown]
	s_load_b256 s[68:75], s[0:1], 0x110
	v_mov_b32_e32 v1, s2
	s_clause 0x3
	scratch_store_b128 off, v[2:5], off offset:736
	scratch_store_b32 off, v1, off offset:752
	scratch_store_b128 off, v[6:9], off offset:448
	scratch_store_b128 off, v[10:13], off offset:464
	s_wait_xcnt 0x1
	v_mov_b64_e32 v[6:7], s[40:41]
	v_mov_b64_e32 v[8:9], s[42:43]
	s_wait_xcnt 0x0
	v_mov_b64_e32 v[10:11], s[16:17]
	s_load_b256 s[36:43], s[0:1], 0x130
	v_mov_b64_e32 v[2:3], s[44:45]
	v_mov_b64_e32 v[12:13], s[18:19]
	;; [unrolled: 1-line block ×3, first 2 shown]
	s_load_b256 s[44:51], s[0:1], 0x150
	v_mov_b64_e32 v[14:15], s[52:53]
	v_mov_b64_e32 v[16:17], s[54:55]
	;; [unrolled: 1-line block ×4, first 2 shown]
	s_clause 0x1
	scratch_store_b128 off, v[6:9], off offset:480
	scratch_store_b128 off, v[10:13], off offset:496
	s_wait_kmcnt 0x0
	v_mov_b64_e32 v[6:7], s[24:25]
	v_mov_b64_e32 v[8:9], s[26:27]
	s_load_b256 s[24:31], s[0:1], 0x170
	v_mov_b64_e32 v[10:11], s[60:61]
	s_clause 0x1
	scratch_store_b128 off, v[14:17], off offset:204
	scratch_store_b128 off, v[18:21], off offset:220
	v_mov_b64_e32 v[12:13], s[62:63]
	s_wait_xcnt 0x1
	v_mov_b64_e32 v[14:15], s[64:65]
	v_mov_b64_e32 v[16:17], s[66:67]
	s_wait_xcnt 0x0
	v_mov_b64_e32 v[18:19], s[68:69]
	v_mov_b64_e32 v[20:21], s[70:71]
	s_load_b256 s[52:59], s[0:1], 0x190
	v_mov_b64_e32 v[22:23], s[72:73]
	v_mov_b64_e32 v[24:25], s[74:75]
	s_clause 0x3
	scratch_store_b128 off, v[10:13], off offset:236
	scratch_store_b128 off, v[14:17], off offset:252
	scratch_store_b128 off, v[18:21], off offset:268
	scratch_store_b128 off, v[22:25], off offset:284
	s_wait_xcnt 0x3
	v_mov_b64_e32 v[10:11], s[36:37]
	s_wait_xcnt 0x2
	v_mov_b64_e32 v[14:15], s[40:41]
	s_load_b32 s2, s[0:1], 0x1b0
	v_mov_b64_e32 v[12:13], s[38:39]
	v_mov_b64_e32 v[16:17], s[42:43]
	s_load_b256 s[36:43], s[0:1], 0x30
	v_mov_b64_e32 v[18:19], s[44:45]
	v_mov_b64_e32 v[20:21], s[46:47]
	;; [unrolled: 1-line block ×4, first 2 shown]
	s_clause 0x1
	s_load_b256 s[44:51], s[0:1], 0x50
	s_load_b256 s[60:67], s[0:1], 0x70
	s_clause 0x3
	scratch_store_b128 off, v[10:13], off offset:300
	scratch_store_b128 off, v[14:17], off offset:316
	;; [unrolled: 1-line block ×4, first 2 shown]
	s_wait_kmcnt 0x0
	v_mov_b64_e32 v[10:11], s[24:25]
	s_wait_xcnt 0x2
	v_mov_b64_e32 v[14:15], s[28:29]
	v_mov_b64_e32 v[12:13], s[26:27]
	;; [unrolled: 1-line block ×3, first 2 shown]
	s_load_b256 s[24:31], s[0:1], 0x90
	v_mov_b64_e32 v[18:19], s[52:53]
	v_mov_b64_e32 v[20:21], s[54:55]
	;; [unrolled: 1-line block ×4, first 2 shown]
	v_mov_b32_e32 v1, s2
	s_clause 0x5
	scratch_store_b128 off, v[10:13], off offset:364
	scratch_store_b128 off, v[14:17], off offset:380
	;; [unrolled: 1-line block ×5, first 2 shown]
	scratch_store_b32 off, v1, off offset:428
	s_wait_xcnt 0x1
	v_mov_b64_e32 v[2:3], s[36:37]
	v_mov_b64_e32 v[4:5], s[38:39]
	;; [unrolled: 1-line block ×12, first 2 shown]
	s_clause 0x5
	scratch_store_b128 off, v[2:5], off offset:44
	scratch_store_b128 off, v[10:13], off offset:60
	scratch_store_b128 off, v[14:17], off offset:76
	scratch_store_b128 off, v[18:21], off offset:92
	scratch_store_b128 off, v[22:25], off offset:108
	scratch_store_b128 off, v[26:29], off offset:124
	s_wait_kmcnt 0x0
	v_mov_b64_e32 v[2:3], s[24:25]
	v_mov_b64_e32 v[4:5], s[26:27]
	s_wait_xcnt 0x4
	v_mov_b64_e32 v[10:11], s[28:29]
	s_wait_xcnt 0x3
	;; [unrolled: 2-line block ×3, first 2 shown]
	v_mov_b64_e32 v[20:21], 0
	v_mov_b64_e32 v[18:19], 0
	;; [unrolled: 1-line block ×10, first 2 shown]
	s_wait_xcnt 0x1
	v_mov_b64_e32 v[24:25], s[22:23]
	v_cmp_gt_i32_e32 vcc_lo, s7, v0
	v_or_b32_e32 v14, s6, v0
	v_mov_b64_e32 v[22:23], s[20:21]
	s_clause 0x3
	scratch_store_b128 off, v[2:5], off offset:140
	scratch_store_b128 off, v[10:13], off offset:156
	;; [unrolled: 1-line block ×4, first 2 shown]
	s_wait_xcnt 0x0
	s_and_saveexec_b32 s3, vcc_lo
	s_cbranch_execz .LBB58_56
; %bb.1:
	s_clause 0x3
	scratch_load_b128 v[6:9], off, off offset:44
	scratch_load_b96 v[10:12], off, off offset:60
	scratch_load_b128 v[2:5], off, off offset:240
	scratch_load_b64 v[22:23], off, off offset:256
	v_dual_mov_b32 v27, 0 :: v_dual_bitop2_b32 v16, s6, v0 bitop3:0x54
                                        ; implicit-def: $vgpr13
	s_wait_loadcnt 0x3
	v_sub_co_u32 v1, s2, v6, 1
	v_cmp_lt_u32_e64 s0, 1, v6
	s_wait_loadcnt 0x2
	v_mov_b32_e32 v24, v11
	s_xor_b32 s17, s2, -1
	v_cmp_lt_u32_e64 s1, 1, v1
	v_min_u32_e32 v1, 15, v1
                                        ; implicit-def: $vgpr11
                                        ; implicit-def: $vgpr6
	s_wait_xcnt 0x0
	s_and_saveexec_b32 s2, s1
	s_delay_alu instid0(SALU_CYCLE_1)
	s_xor_b32 s16, exec_lo, s2
	s_cbranch_execz .LBB58_9
; %bb.2:
	v_dual_mov_b32 v13, 0 :: v_dual_mov_b32 v11, 0
	v_mov_b32_e32 v6, 0
	s_and_saveexec_b32 s18, s17
	s_cbranch_execz .LBB58_8
; %bb.3:
	v_dual_mov_b32 v6, 0 :: v_dual_add_nc_u32 v13, 1, v1
	v_mov_b32_e32 v11, 0
	s_sub_co_i32 s20, 0, 24
	s_mov_b32 s19, 0
	s_delay_alu instid0(VALU_DEP_2)
	v_dual_mov_b32 v13, 0 :: v_dual_bitop2_b32 v15, 30, v13 bitop3:0x40
.LBB58_4:                               ; =>This Inner Loop Header: Depth=1
	s_clause 0x3
	scratch_load_b128 v[18:21], off, s20 offset:72
	scratch_load_b64 v[32:33], off, s20 offset:88
	scratch_load_b128 v[28:31], off, s20 offset:264
	scratch_load_b64 v[34:35], off, s20 offset:280
	s_wait_xcnt 0x0
	s_add_co_i32 s20, s20, 24
	v_add_nc_u32_e32 v15, -2, v15
	s_delay_alu instid0(VALU_DEP_1) | instskip(SKIP_3) | instid1(VALU_DEP_1)
	v_cmp_eq_u32_e64 s2, 0, v15
	s_or_b32 s19, s2, s19
	s_wait_loadcnt 0x3
	v_mul_hi_u32 v17, v19, v16
	v_add_nc_u32_e32 v17, v16, v17
	s_delay_alu instid0(VALU_DEP_1) | instskip(SKIP_1) | instid1(VALU_DEP_1)
	v_lshrrev_b32_e32 v17, v20, v17
	s_wait_loadcnt 0x2
	v_mul_hi_u32 v19, v32, v17
	v_mul_lo_u32 v18, v17, v18
	s_delay_alu instid0(VALU_DEP_1) | instskip(NEXT) | instid1(VALU_DEP_1)
	v_dual_add_nc_u32 v19, v17, v19 :: v_dual_sub_nc_u32 v18, v16, v18
	v_lshrrev_b32_e32 v16, v33, v19
	s_wait_loadcnt 0x1
	s_delay_alu instid0(VALU_DEP_2) | instskip(SKIP_3) | instid1(VALU_DEP_1)
	v_mad_u32 v6, v18, v28, v6
	v_mad_u32 v13, v18, v30, v13
	;; [unrolled: 1-line block ×3, first 2 shown]
	v_mul_lo_u32 v19, v16, v21
	v_sub_nc_u32_e32 v17, v17, v19
	s_delay_alu instid0(VALU_DEP_1)
	v_mad_u32 v6, v17, v31, v6
	s_wait_loadcnt 0x0
	v_mad_u32 v13, v17, v35, v13
	v_mad_u32 v11, v17, v34, v11
	v_mov_b32_e32 v17, s20
	s_and_not1_b32 exec_lo, exec_lo, s19
	s_cbranch_execnz .LBB58_4
; %bb.5:
	s_or_b32 exec_lo, exec_lo, s19
	v_and_b32_e32 v15, 1, v1
	s_mov_b32 s19, exec_lo
	s_delay_alu instid0(VALU_DEP_1)
	v_cmpx_eq_u32_e32 0, v15
	s_cbranch_execz .LBB58_7
; %bb.6:
	s_clause 0x1
	scratch_load_b96 v[18:20], v17, off offset:72
	scratch_load_b96 v[28:30], v17, off offset:264
	s_wait_loadcnt 0x1
	v_mul_hi_u32 v15, v19, v16
	s_delay_alu instid0(VALU_DEP_1) | instskip(NEXT) | instid1(VALU_DEP_1)
	v_add_nc_u32_e32 v15, v16, v15
	v_lshrrev_b32_e32 v15, v20, v15
	s_delay_alu instid0(VALU_DEP_1) | instskip(NEXT) | instid1(VALU_DEP_1)
	v_mul_lo_u32 v15, v15, v18
	v_sub_nc_u32_e32 v15, v16, v15
	s_wait_loadcnt 0x0
	s_delay_alu instid0(VALU_DEP_1)
	v_mad_u32 v6, v15, v28, v6
	v_mad_u32 v11, v15, v29, v11
	;; [unrolled: 1-line block ×3, first 2 shown]
.LBB58_7:
	s_wait_xcnt 0x0
	s_or_b32 exec_lo, exec_lo, s19
.LBB58_8:
	s_delay_alu instid0(SALU_CYCLE_1)
	s_or_b32 exec_lo, exec_lo, s18
                                        ; implicit-def: $vgpr16
.LBB58_9:
	s_or_saveexec_b32 s2, s16
	v_dual_mov_b32 v26, v8 :: v_dual_mov_b32 v25, v27
	s_xor_b32 exec_lo, exec_lo, s2
	s_cbranch_execz .LBB58_13
; %bb.10:
	v_mov_b32_e32 v17, 0
	s_delay_alu instid0(VALU_DEP_1) | instskip(NEXT) | instid1(VALU_DEP_1)
	v_mul_u64_e32 v[18:19], v[26:27], v[16:17]
	v_add_nc_u32_e32 v6, v16, v19
	s_delay_alu instid0(VALU_DEP_1) | instskip(NEXT) | instid1(VALU_DEP_1)
	v_lshrrev_b32_e32 v18, v9, v6
	v_mul_lo_u32 v6, v18, v7
	s_delay_alu instid0(VALU_DEP_1) | instskip(SKIP_1) | instid1(VALU_DEP_1)
	v_sub_nc_u32_e32 v8, v16, v6
	s_wait_loadcnt 0x1
	v_mul_lo_u32 v6, v8, v2
	v_mul_lo_u32 v13, v8, v4
	;; [unrolled: 1-line block ×3, first 2 shown]
	s_and_saveexec_b32 s16, s0
	s_cbranch_execz .LBB58_12
; %bb.11:
	v_mov_b32_e32 v19, v17
	s_delay_alu instid0(VALU_DEP_1) | instskip(NEXT) | instid1(VALU_DEP_1)
	v_mul_u64_e32 v[16:17], v[24:25], v[18:19]
	v_add_nc_u32_e32 v8, v18, v17
	s_delay_alu instid0(VALU_DEP_1) | instskip(NEXT) | instid1(VALU_DEP_1)
	v_lshrrev_b32_e32 v8, v12, v8
	v_mul_lo_u32 v8, v8, v10
	s_delay_alu instid0(VALU_DEP_1) | instskip(NEXT) | instid1(VALU_DEP_1)
	v_sub_nc_u32_e32 v8, v18, v8
	v_mad_u32 v6, v8, v5, v6
	s_wait_loadcnt 0x0
	v_mad_u32 v11, v8, v22, v11
	v_mad_u32 v13, v8, v23, v13
.LBB58_12:
	s_or_b32 exec_lo, exec_lo, s16
.LBB58_13:
	s_delay_alu instid0(SALU_CYCLE_1)
	s_or_b32 exec_lo, exec_lo, s2
	global_load_b64 v[18:19], v6, s[12:13] scale_offset
	global_load_b64 v[20:21], v11, s[14:15] scale_offset
	;; [unrolled: 1-line block ×3, first 2 shown]
	v_mov_b64_e32 v[30:31], 0
	v_mov_b64_e32 v[34:35], 0
	;; [unrolled: 1-line block ×9, first 2 shown]
	s_wait_xcnt 0x2
	v_or_b32_e32 v6, 0x100, v0
	s_mov_b32 s16, exec_lo
	s_wait_xcnt 0x0
	s_delay_alu instid0(VALU_DEP_1)
	v_cmpx_gt_u32_e64 s7, v6
	s_cbranch_execz .LBB58_55
; %bb.14:
	v_add_nc_u32_e32 v28, s6, v6
                                        ; implicit-def: $vgpr8
                                        ; implicit-def: $vgpr11
                                        ; implicit-def: $vgpr6
	s_and_saveexec_b32 s2, s1
	s_delay_alu instid0(SALU_CYCLE_1)
	s_xor_b32 s18, exec_lo, s2
	s_cbranch_execz .LBB58_22
; %bb.15:
	v_dual_mov_b32 v8, 0 :: v_dual_mov_b32 v11, 0
	v_mov_b32_e32 v6, 0
	s_and_saveexec_b32 s19, s17
	s_cbranch_execz .LBB58_21
; %bb.16:
	v_dual_add_nc_u32 v8, 1, v1 :: v_dual_mov_b32 v6, 0
	v_mov_b32_e32 v11, 0
	s_sub_co_i32 s21, 0, 24
	s_mov_b32 s20, 0
	s_delay_alu instid0(VALU_DEP_2)
	v_dual_mov_b32 v8, 0 :: v_dual_bitop2_b32 v13, 30, v8 bitop3:0x40
.LBB58_17:                              ; =>This Inner Loop Header: Depth=1
	s_clause 0x3
	scratch_load_b128 v[30:33], off, s21 offset:72
	scratch_load_b64 v[38:39], off, s21 offset:88
	scratch_load_b128 v[34:37], off, s21 offset:264
	scratch_load_b64 v[40:41], off, s21 offset:280
	s_wait_xcnt 0x0
	s_add_co_i32 s21, s21, 24
	v_add_nc_u32_e32 v13, -2, v13
	s_delay_alu instid0(VALU_DEP_1) | instskip(SKIP_3) | instid1(VALU_DEP_1)
	v_cmp_eq_u32_e64 s2, 0, v13
	s_or_b32 s20, s2, s20
	s_wait_loadcnt 0x3
	v_mul_hi_u32 v15, v31, v28
	v_add_nc_u32_e32 v15, v28, v15
	s_delay_alu instid0(VALU_DEP_1) | instskip(SKIP_1) | instid1(VALU_DEP_1)
	v_lshrrev_b32_e32 v15, v32, v15
	s_wait_loadcnt 0x2
	v_mul_hi_u32 v29, v38, v15
	v_mul_lo_u32 v30, v15, v30
	s_delay_alu instid0(VALU_DEP_1) | instskip(NEXT) | instid1(VALU_DEP_1)
	v_dual_add_nc_u32 v29, v15, v29 :: v_dual_sub_nc_u32 v30, v28, v30
	v_lshrrev_b32_e32 v28, v39, v29
	s_wait_loadcnt 0x1
	s_delay_alu instid0(VALU_DEP_2) | instskip(SKIP_3) | instid1(VALU_DEP_1)
	v_mad_u32 v6, v30, v34, v6
	v_mad_u32 v8, v30, v36, v8
	;; [unrolled: 1-line block ×3, first 2 shown]
	v_mul_lo_u32 v29, v28, v33
	v_sub_nc_u32_e32 v15, v15, v29
	s_delay_alu instid0(VALU_DEP_1)
	v_mad_u32 v6, v15, v37, v6
	s_wait_loadcnt 0x0
	v_mad_u32 v8, v15, v41, v8
	v_mad_u32 v11, v15, v40, v11
	v_mov_b32_e32 v15, s21
	s_and_not1_b32 exec_lo, exec_lo, s20
	s_cbranch_execnz .LBB58_17
; %bb.18:
	s_or_b32 exec_lo, exec_lo, s20
	v_and_b32_e32 v13, 1, v1
	s_mov_b32 s20, exec_lo
	s_delay_alu instid0(VALU_DEP_1)
	v_cmpx_eq_u32_e32 0, v13
	s_cbranch_execz .LBB58_20
; %bb.19:
	s_clause 0x1
	scratch_load_b96 v[30:32], v15, off offset:72
	scratch_load_b96 v[34:36], v15, off offset:264
	s_wait_loadcnt 0x1
	v_mul_hi_u32 v13, v31, v28
	s_delay_alu instid0(VALU_DEP_1) | instskip(NEXT) | instid1(VALU_DEP_1)
	v_add_nc_u32_e32 v13, v28, v13
	v_lshrrev_b32_e32 v13, v32, v13
	s_delay_alu instid0(VALU_DEP_1) | instskip(NEXT) | instid1(VALU_DEP_1)
	v_mul_lo_u32 v13, v13, v30
	v_sub_nc_u32_e32 v13, v28, v13
	s_wait_loadcnt 0x0
	s_delay_alu instid0(VALU_DEP_1)
	v_mad_u32 v6, v13, v34, v6
	v_mad_u32 v11, v13, v35, v11
	;; [unrolled: 1-line block ×3, first 2 shown]
.LBB58_20:
	s_wait_xcnt 0x0
	s_or_b32 exec_lo, exec_lo, s20
.LBB58_21:
	s_delay_alu instid0(SALU_CYCLE_1)
	s_or_b32 exec_lo, exec_lo, s19
                                        ; implicit-def: $vgpr28
.LBB58_22:
	s_and_not1_saveexec_b32 s2, s18
	s_cbranch_execz .LBB58_26
; %bb.23:
	v_mov_b32_e32 v29, 0
	s_delay_alu instid0(VALU_DEP_1) | instskip(NEXT) | instid1(VALU_DEP_1)
	v_mul_u64_e32 v[30:31], v[26:27], v[28:29]
	v_add_nc_u32_e32 v6, v28, v31
	s_delay_alu instid0(VALU_DEP_1) | instskip(NEXT) | instid1(VALU_DEP_1)
	v_lshrrev_b32_e32 v30, v9, v6
	v_mul_lo_u32 v6, v30, v7
	s_delay_alu instid0(VALU_DEP_1) | instskip(SKIP_1) | instid1(VALU_DEP_1)
	v_sub_nc_u32_e32 v11, v28, v6
	s_wait_loadcnt 0x4
	v_mul_lo_u32 v6, v11, v2
	v_mul_lo_u32 v8, v11, v4
	;; [unrolled: 1-line block ×3, first 2 shown]
	s_and_saveexec_b32 s18, s0
	s_cbranch_execz .LBB58_25
; %bb.24:
	v_mov_b32_e32 v31, v29
	s_delay_alu instid0(VALU_DEP_1) | instskip(NEXT) | instid1(VALU_DEP_1)
	v_mul_u64_e32 v[28:29], v[24:25], v[30:31]
	v_add_nc_u32_e32 v13, v30, v29
	s_delay_alu instid0(VALU_DEP_1) | instskip(NEXT) | instid1(VALU_DEP_1)
	v_lshrrev_b32_e32 v13, v12, v13
	v_mul_lo_u32 v13, v13, v10
	s_delay_alu instid0(VALU_DEP_1) | instskip(NEXT) | instid1(VALU_DEP_1)
	v_sub_nc_u32_e32 v13, v30, v13
	v_mad_u32 v6, v13, v5, v6
	s_wait_loadcnt 0x3
	v_mad_u32 v11, v13, v22, v11
	v_mad_u32 v8, v13, v23, v8
.LBB58_25:
	s_or_b32 exec_lo, exec_lo, s18
.LBB58_26:
	s_delay_alu instid0(SALU_CYCLE_1)
	s_or_b32 exec_lo, exec_lo, s2
	global_load_b64 v[32:33], v6, s[12:13] scale_offset
	global_load_b64 v[34:35], v11, s[14:15] scale_offset
	global_load_b64 v[30:31], v8, s[4:5] scale_offset
	v_mov_b64_e32 v[36:37], 0
	v_mov_b64_e32 v[40:41], 0
	v_mov_b64_e32 v[38:39], 0
	v_mov_b64_e32 v[46:47], 0
	v_mov_b64_e32 v[50:51], 0
	v_mov_b64_e32 v[48:49], 0
	s_wait_xcnt 0x2
	v_or_b32_e32 v6, 0x200, v0
	s_mov_b32 s18, exec_lo
	s_wait_xcnt 0x0
	s_delay_alu instid0(VALU_DEP_1)
	v_cmpx_gt_u32_e64 s7, v6
	s_cbranch_execz .LBB58_54
; %bb.27:
	v_add_nc_u32_e32 v28, s6, v6
                                        ; implicit-def: $vgpr8
                                        ; implicit-def: $vgpr11
                                        ; implicit-def: $vgpr6
	s_and_saveexec_b32 s2, s1
	s_delay_alu instid0(SALU_CYCLE_1)
	s_xor_b32 s19, exec_lo, s2
	s_cbranch_execz .LBB58_35
; %bb.28:
	v_dual_mov_b32 v8, 0 :: v_dual_mov_b32 v11, 0
	v_mov_b32_e32 v6, 0
	s_and_saveexec_b32 s20, s17
	s_cbranch_execz .LBB58_34
; %bb.29:
	v_dual_add_nc_u32 v8, 1, v1 :: v_dual_mov_b32 v6, 0
	v_mov_b32_e32 v11, 0
	s_sub_co_i32 s22, 0, 24
	s_mov_b32 s21, 0
	s_delay_alu instid0(VALU_DEP_2)
	v_dual_mov_b32 v8, 0 :: v_dual_bitop2_b32 v13, 30, v8 bitop3:0x40
.LBB58_30:                              ; =>This Inner Loop Header: Depth=1
	s_clause 0x3
	scratch_load_b128 v[36:39], off, s22 offset:72
	scratch_load_b64 v[44:45], off, s22 offset:88
	scratch_load_b128 v[40:43], off, s22 offset:264
	scratch_load_b64 v[46:47], off, s22 offset:280
	s_wait_xcnt 0x0
	s_add_co_i32 s22, s22, 24
	v_add_nc_u32_e32 v13, -2, v13
	s_delay_alu instid0(VALU_DEP_1) | instskip(SKIP_3) | instid1(VALU_DEP_1)
	v_cmp_eq_u32_e64 s2, 0, v13
	s_or_b32 s21, s2, s21
	s_wait_loadcnt 0x3
	v_mul_hi_u32 v15, v37, v28
	v_add_nc_u32_e32 v15, v28, v15
	s_delay_alu instid0(VALU_DEP_1) | instskip(SKIP_1) | instid1(VALU_DEP_1)
	v_lshrrev_b32_e32 v15, v38, v15
	s_wait_loadcnt 0x2
	v_mul_hi_u32 v29, v44, v15
	v_mul_lo_u32 v36, v15, v36
	s_delay_alu instid0(VALU_DEP_1) | instskip(NEXT) | instid1(VALU_DEP_1)
	v_dual_add_nc_u32 v29, v15, v29 :: v_dual_sub_nc_u32 v36, v28, v36
	v_lshrrev_b32_e32 v28, v45, v29
	s_wait_loadcnt 0x1
	s_delay_alu instid0(VALU_DEP_2) | instskip(SKIP_3) | instid1(VALU_DEP_1)
	v_mad_u32 v6, v36, v40, v6
	v_mad_u32 v8, v36, v42, v8
	;; [unrolled: 1-line block ×3, first 2 shown]
	v_mul_lo_u32 v29, v28, v39
	v_sub_nc_u32_e32 v15, v15, v29
	s_delay_alu instid0(VALU_DEP_1)
	v_mad_u32 v6, v15, v43, v6
	s_wait_loadcnt 0x0
	v_mad_u32 v8, v15, v47, v8
	v_mad_u32 v11, v15, v46, v11
	v_mov_b32_e32 v15, s22
	s_and_not1_b32 exec_lo, exec_lo, s21
	s_cbranch_execnz .LBB58_30
; %bb.31:
	s_or_b32 exec_lo, exec_lo, s21
	v_and_b32_e32 v13, 1, v1
	s_mov_b32 s21, exec_lo
	s_delay_alu instid0(VALU_DEP_1)
	v_cmpx_eq_u32_e32 0, v13
	s_cbranch_execz .LBB58_33
; %bb.32:
	s_clause 0x1
	scratch_load_b96 v[36:38], v15, off offset:72
	scratch_load_b96 v[40:42], v15, off offset:264
	s_wait_loadcnt 0x1
	v_mul_hi_u32 v13, v37, v28
	s_delay_alu instid0(VALU_DEP_1) | instskip(NEXT) | instid1(VALU_DEP_1)
	v_add_nc_u32_e32 v13, v28, v13
	v_lshrrev_b32_e32 v13, v38, v13
	s_delay_alu instid0(VALU_DEP_1) | instskip(NEXT) | instid1(VALU_DEP_1)
	v_mul_lo_u32 v13, v13, v36
	v_sub_nc_u32_e32 v13, v28, v13
	s_wait_loadcnt 0x0
	s_delay_alu instid0(VALU_DEP_1)
	v_mad_u32 v6, v13, v40, v6
	v_mad_u32 v11, v13, v41, v11
	v_mad_u32 v8, v13, v42, v8
.LBB58_33:
	s_wait_xcnt 0x0
	s_or_b32 exec_lo, exec_lo, s21
.LBB58_34:
	s_delay_alu instid0(SALU_CYCLE_1)
	s_or_b32 exec_lo, exec_lo, s20
                                        ; implicit-def: $vgpr28
.LBB58_35:
	s_and_not1_saveexec_b32 s2, s19
	s_cbranch_execz .LBB58_39
; %bb.36:
	v_mov_b32_e32 v29, 0
	s_delay_alu instid0(VALU_DEP_1) | instskip(NEXT) | instid1(VALU_DEP_1)
	v_mul_u64_e32 v[36:37], v[26:27], v[28:29]
	v_add_nc_u32_e32 v6, v28, v37
	s_delay_alu instid0(VALU_DEP_1) | instskip(NEXT) | instid1(VALU_DEP_1)
	v_lshrrev_b32_e32 v36, v9, v6
	v_mul_lo_u32 v6, v36, v7
	s_delay_alu instid0(VALU_DEP_1) | instskip(SKIP_1) | instid1(VALU_DEP_1)
	v_sub_nc_u32_e32 v11, v28, v6
	s_wait_loadcnt 0x7
	v_mul_lo_u32 v6, v11, v2
	v_mul_lo_u32 v8, v11, v4
	v_mul_lo_u32 v11, v11, v3
	s_and_saveexec_b32 s19, s0
	s_cbranch_execz .LBB58_38
; %bb.37:
	v_mov_b32_e32 v37, v29
	s_delay_alu instid0(VALU_DEP_1) | instskip(NEXT) | instid1(VALU_DEP_1)
	v_mul_u64_e32 v[28:29], v[24:25], v[36:37]
	v_add_nc_u32_e32 v13, v36, v29
	s_delay_alu instid0(VALU_DEP_1) | instskip(NEXT) | instid1(VALU_DEP_1)
	v_lshrrev_b32_e32 v13, v12, v13
	v_mul_lo_u32 v13, v13, v10
	s_delay_alu instid0(VALU_DEP_1) | instskip(NEXT) | instid1(VALU_DEP_1)
	v_sub_nc_u32_e32 v13, v36, v13
	v_mad_u32 v6, v13, v5, v6
	s_wait_loadcnt 0x6
	v_mad_u32 v11, v13, v22, v11
	v_mad_u32 v8, v13, v23, v8
.LBB58_38:
	s_or_b32 exec_lo, exec_lo, s19
.LBB58_39:
	s_delay_alu instid0(SALU_CYCLE_1)
	s_or_b32 exec_lo, exec_lo, s2
	global_load_b64 v[38:39], v6, s[12:13] scale_offset
	global_load_b64 v[40:41], v11, s[14:15] scale_offset
	;; [unrolled: 1-line block ×3, first 2 shown]
	v_mov_b64_e32 v[46:47], 0
	v_mov_b64_e32 v[50:51], 0
	;; [unrolled: 1-line block ×3, first 2 shown]
	s_wait_xcnt 0x2
	v_or_b32_e32 v6, 0x300, v0
	s_mov_b32 s19, exec_lo
	s_wait_xcnt 0x0
	s_delay_alu instid0(VALU_DEP_1)
	v_cmpx_gt_u32_e64 s7, v6
	s_cbranch_execz .LBB58_53
; %bb.40:
	v_add_nc_u32_e32 v28, s6, v6
                                        ; implicit-def: $vgpr42
                                        ; implicit-def: $vgpr13
                                        ; implicit-def: $vgpr15
	s_and_saveexec_b32 s2, s1
	s_delay_alu instid0(SALU_CYCLE_1)
	s_xor_b32 s2, exec_lo, s2
	s_cbranch_execz .LBB58_48
; %bb.41:
	v_dual_mov_b32 v42, 0 :: v_dual_mov_b32 v13, 0
	v_mov_b32_e32 v15, 0
	s_and_saveexec_b32 s20, s17
	s_cbranch_execz .LBB58_47
; %bb.42:
	s_wait_loadcnt 0xa
	v_dual_mov_b32 v15, 0 :: v_dual_add_nc_u32 v2, 1, v1
	v_dual_mov_b32 v13, 0 :: v_dual_mov_b32 v42, 0
	s_sub_co_i32 s21, 0, 24
	s_delay_alu instid0(VALU_DEP_2)
	v_and_b32_e32 v2, 30, v2
	s_mov_b32 s17, 0
.LBB58_43:                              ; =>This Inner Loop Header: Depth=1
	scratch_load_b128 v[4:7], off, s21 offset:72
	s_wait_loadcnt 0xa
	s_clause 0x2
	scratch_load_b64 v[22:23], off, s21 offset:88
	scratch_load_b128 v[8:11], off, s21 offset:264
	scratch_load_b64 v[24:25], off, s21 offset:280
	s_wait_xcnt 0x0
	s_add_co_i32 s21, s21, 24
	v_add_nc_u32_e32 v2, -2, v2
	s_delay_alu instid0(VALU_DEP_1) | instskip(SKIP_3) | instid1(VALU_DEP_1)
	v_cmp_eq_u32_e64 s1, 0, v2
	s_or_b32 s17, s1, s17
	s_wait_loadcnt 0x3
	v_mul_hi_u32 v3, v5, v28
	v_add_nc_u32_e32 v3, v28, v3
	s_delay_alu instid0(VALU_DEP_1) | instskip(SKIP_1) | instid1(VALU_DEP_1)
	v_lshrrev_b32_e32 v3, v6, v3
	s_wait_loadcnt 0x2
	v_mul_hi_u32 v5, v22, v3
	v_mul_lo_u32 v4, v3, v4
	s_delay_alu instid0(VALU_DEP_1) | instskip(NEXT) | instid1(VALU_DEP_1)
	v_dual_add_nc_u32 v5, v3, v5 :: v_dual_sub_nc_u32 v4, v28, v4
	v_lshrrev_b32_e32 v28, v23, v5
	s_wait_loadcnt 0x1
	s_delay_alu instid0(VALU_DEP_2) | instskip(NEXT) | instid1(VALU_DEP_2)
	v_mad_u32 v6, v4, v8, v15
	v_mul_lo_u32 v5, v28, v7
	v_mad_u32 v7, v4, v10, v42
	v_mad_u32 v4, v4, v9, v13
	s_delay_alu instid0(VALU_DEP_3) | instskip(NEXT) | instid1(VALU_DEP_1)
	v_sub_nc_u32_e32 v3, v3, v5
	v_mad_u32 v15, v3, v11, v6
	s_wait_loadcnt 0x0
	s_delay_alu instid0(VALU_DEP_4) | instskip(NEXT) | instid1(VALU_DEP_4)
	v_mad_u32 v42, v3, v25, v7
	v_mad_u32 v13, v3, v24, v4
	v_mov_b32_e32 v3, s21
	s_and_not1_b32 exec_lo, exec_lo, s17
	s_cbranch_execnz .LBB58_43
; %bb.44:
	s_or_b32 exec_lo, exec_lo, s17
	v_and_b32_e32 v1, 1, v1
	s_mov_b32 s17, exec_lo
	s_delay_alu instid0(VALU_DEP_1)
	v_cmpx_eq_u32_e32 0, v1
	s_cbranch_execz .LBB58_46
; %bb.45:
	s_clause 0x1
	scratch_load_b96 v[4:6], v3, off offset:72
	scratch_load_b96 v[8:10], v3, off offset:264
	s_wait_loadcnt 0x1
	v_mul_hi_u32 v1, v5, v28
	s_delay_alu instid0(VALU_DEP_1) | instskip(NEXT) | instid1(VALU_DEP_1)
	v_add_nc_u32_e32 v1, v28, v1
	v_lshrrev_b32_e32 v1, v6, v1
	s_delay_alu instid0(VALU_DEP_1) | instskip(NEXT) | instid1(VALU_DEP_1)
	v_mul_lo_u32 v1, v1, v4
	v_sub_nc_u32_e32 v1, v28, v1
	s_wait_loadcnt 0x0
	s_delay_alu instid0(VALU_DEP_1)
	v_mad_u32 v15, v1, v8, v15
	v_mad_u32 v13, v1, v9, v13
	;; [unrolled: 1-line block ×3, first 2 shown]
.LBB58_46:
	s_wait_xcnt 0x0
	s_or_b32 exec_lo, exec_lo, s17
.LBB58_47:
	s_delay_alu instid0(SALU_CYCLE_1)
	s_or_b32 exec_lo, exec_lo, s20
                                        ; implicit-def: $vgpr28
                                        ; implicit-def: $vgpr26_vgpr27
                                        ; implicit-def: $vgpr6_vgpr7_vgpr8_vgpr9
                                        ; implicit-def: $vgpr2_vgpr3_vgpr4_vgpr5
                                        ; implicit-def: $vgpr24_vgpr25
                                        ; implicit-def: $vgpr10_vgpr11_vgpr12
                                        ; implicit-def: $vgpr22_vgpr23
.LBB58_48:
	s_and_not1_saveexec_b32 s1, s2
	s_cbranch_execz .LBB58_52
; %bb.49:
	v_mov_b32_e32 v29, 0
	s_delay_alu instid0(VALU_DEP_1) | instskip(NEXT) | instid1(VALU_DEP_1)
	v_mul_u64_e32 v[26:27], v[26:27], v[28:29]
	v_add_nc_u32_e32 v1, v28, v27
	s_delay_alu instid0(VALU_DEP_1) | instskip(NEXT) | instid1(VALU_DEP_1)
	v_lshrrev_b32_e32 v6, v9, v1
	v_mul_lo_u32 v1, v6, v7
	s_delay_alu instid0(VALU_DEP_1) | instskip(SKIP_1) | instid1(VALU_DEP_1)
	v_sub_nc_u32_e32 v1, v28, v1
	s_wait_loadcnt 0xa
	v_mul_lo_u32 v15, v1, v2
	v_mul_lo_u32 v42, v1, v4
	;; [unrolled: 1-line block ×3, first 2 shown]
	s_and_saveexec_b32 s2, s0
	s_cbranch_execz .LBB58_51
; %bb.50:
	v_mov_b32_e32 v7, v29
	s_delay_alu instid0(VALU_DEP_1) | instskip(NEXT) | instid1(VALU_DEP_1)
	v_mul_u64_e32 v[2:3], v[24:25], v[6:7]
	v_add_nc_u32_e32 v1, v6, v3
	s_delay_alu instid0(VALU_DEP_1) | instskip(NEXT) | instid1(VALU_DEP_1)
	v_lshrrev_b32_e32 v1, v12, v1
	v_mul_lo_u32 v1, v1, v10
	s_delay_alu instid0(VALU_DEP_1) | instskip(NEXT) | instid1(VALU_DEP_1)
	v_sub_nc_u32_e32 v1, v6, v1
	v_mad_u32 v15, v1, v5, v15
	s_wait_loadcnt 0x9
	v_mad_u32 v13, v1, v22, v13
	v_mad_u32 v42, v1, v23, v42
.LBB58_51:
	s_or_b32 exec_lo, exec_lo, s2
.LBB58_52:
	s_delay_alu instid0(SALU_CYCLE_1)
	s_or_b32 exec_lo, exec_lo, s1
	global_load_b64 v[48:49], v15, s[12:13] scale_offset
	global_load_b64 v[50:51], v13, s[14:15] scale_offset
	;; [unrolled: 1-line block ×3, first 2 shown]
.LBB58_53:
	s_wait_xcnt 0x0
	s_or_b32 exec_lo, exec_lo, s19
.LBB58_54:
	s_delay_alu instid0(SALU_CYCLE_1)
	s_or_b32 exec_lo, exec_lo, s18
.LBB58_55:
	s_delay_alu instid0(SALU_CYCLE_1)
	s_or_b32 exec_lo, exec_lo, s16
.LBB58_56:
	s_delay_alu instid0(SALU_CYCLE_1)
	s_or_b32 exec_lo, exec_lo, s3
	v_mov_b64_e32 v[26:27], 0
	v_mov_b64_e32 v[42:43], 0
	v_mov_b64_e32 v[44:45], 0
	s_and_saveexec_b32 s1, vcc_lo
	s_cbranch_execz .LBB58_58
; %bb.57:
	s_wait_loadcnt 0x0
	v_mul_f64_e32 v[2:3], v[20:21], v[16:17]
	v_cmp_lt_f64_e64 s0, 0, v[18:19]
	v_mul_f64_e32 v[4:5], v[18:19], v[16:17]
	s_delay_alu instid0(VALU_DEP_2) | instskip(NEXT) | instid1(VALU_DEP_2)
	v_dual_cndmask_b32 v45, v3, v17, s0 :: v_dual_cndmask_b32 v44, v2, v16, s0
	v_cndmask_b32_e64 v43, v5, 0, s0
	s_delay_alu instid0(VALU_DEP_3)
	v_cndmask_b32_e64 v42, v4, 0, s0
.LBB58_58:
	s_or_b32 exec_lo, exec_lo, s1
	v_or_b32_e32 v52, 0x100, v0
	v_mov_b64_e32 v[28:29], 0
	s_delay_alu instid0(VALU_DEP_2)
	v_cmp_gt_i32_e64 s3, s7, v52
	s_and_saveexec_b32 s1, s3
	s_cbranch_execz .LBB58_60
; %bb.59:
	s_wait_loadcnt 0x0
	v_mul_f64_e32 v[2:3], v[34:35], v[30:31]
	v_cmp_lt_f64_e64 s0, 0, v[32:33]
	v_mul_f64_e32 v[4:5], v[32:33], v[30:31]
	s_delay_alu instid0(VALU_DEP_2) | instskip(NEXT) | instid1(VALU_DEP_2)
	v_dual_cndmask_b32 v29, v3, v31, s0 :: v_dual_cndmask_b32 v28, v2, v30, s0
	v_cndmask_b32_e64 v27, v5, 0, s0
	s_delay_alu instid0(VALU_DEP_3)
	v_cndmask_b32_e64 v26, v4, 0, s0
.LBB58_60:
	s_or_b32 exec_lo, exec_lo, s1
	s_wait_loadcnt 0x1
	v_or_b32_e32 v35, 0x200, v0
	v_mov_b64_e32 v[12:13], 0
	v_mov_b64_e32 v[18:19], 0
	;; [unrolled: 1-line block ×3, first 2 shown]
	s_delay_alu instid0(VALU_DEP_4)
	v_cmp_gt_i32_e64 s2, s7, v35
	s_and_saveexec_b32 s1, s2
	s_cbranch_execz .LBB58_62
; %bb.61:
	s_wait_loadcnt 0x0
	v_mul_f64_e32 v[2:3], v[40:41], v[36:37]
	v_cmp_lt_f64_e64 s0, 0, v[38:39]
	v_mul_f64_e32 v[4:5], v[38:39], v[36:37]
	s_delay_alu instid0(VALU_DEP_2) | instskip(NEXT) | instid1(VALU_DEP_2)
	v_dual_cndmask_b32 v21, v3, v37, s0 :: v_dual_cndmask_b32 v20, v2, v36, s0
	v_cndmask_b32_e64 v19, v5, 0, s0
	s_delay_alu instid0(VALU_DEP_3)
	v_cndmask_b32_e64 v18, v4, 0, s0
.LBB58_62:
	s_or_b32 exec_lo, exec_lo, s1
	v_or_b32_e32 v11, 0x300, v0
	s_wait_loadcnt 0x0
	v_mov_b64_e32 v[16:17], 0
	s_delay_alu instid0(VALU_DEP_2)
	v_cmp_gt_i32_e64 s0, s7, v11
	s_and_saveexec_b32 s4, s0
	s_cbranch_execz .LBB58_64
; %bb.63:
	v_mul_f64_e32 v[0:1], v[50:51], v[46:47]
	v_cmp_lt_f64_e64 s1, 0, v[48:49]
	v_mul_f64_e32 v[2:3], v[48:49], v[46:47]
	s_delay_alu instid0(VALU_DEP_2) | instskip(NEXT) | instid1(VALU_DEP_2)
	v_dual_cndmask_b32 v17, v1, v47, s1 :: v_dual_cndmask_b32 v16, v0, v46, s1
	v_cndmask_b32_e64 v13, v3, 0, s1
	s_delay_alu instid0(VALU_DEP_3)
	v_cndmask_b32_e64 v12, v2, 0, s1
.LBB58_64:
	s_or_b32 exec_lo, exec_lo, s4
	s_and_saveexec_b32 s1, vcc_lo
	s_delay_alu instid0(SALU_CYCLE_1)
	s_xor_b32 s1, exec_lo, s1
	s_cbranch_execz .LBB58_133
; %bb.65:
	s_clause 0x2
	scratch_load_b128 v[4:7], off, off offset:432
	scratch_load_b96 v[8:10], off, off offset:448
	scratch_load_b128 v[0:3], off, off offset:628
	v_mov_b32_e32 v25, 0
                                        ; implicit-def: $vgpr31
	s_wait_loadcnt 0x2
	v_sub_co_u32 v34, s4, v4, 1
	v_cmp_lt_u32_e32 vcc_lo, 1, v4
	s_wait_loadcnt 0x1
	v_mov_b32_e32 v22, v9
	s_xor_b32 s5, s4, -1
	v_cmp_lt_u32_e64 s1, 1, v34
	v_min_u32_e32 v4, 15, v34
	s_wait_xcnt 0x0
	s_and_saveexec_b32 s4, s1
	s_delay_alu instid0(SALU_CYCLE_1)
	s_xor_b32 s7, exec_lo, s4
	s_cbranch_execz .LBB58_77
; %bb.66:
	v_dual_mov_b32 v31, 0 :: v_dual_mov_b32 v30, 0
	s_and_saveexec_b32 s12, s5
	s_cbranch_execz .LBB58_76
; %bb.67:
	v_mov_b64_e32 v[30:31], 0
	v_dual_add_nc_u32 v15, 1, v4 :: v_dual_mov_b32 v9, 0
	s_mov_b32 s13, exec_lo
	v_cmpx_ne_u32_e32 2, v34
	s_cbranch_execz .LBB58_71
; %bb.68:
	s_delay_alu instid0(VALU_DEP_2)
	v_dual_mov_b32 v30, 0 :: v_dual_bitop2_b32 v9, 28, v15 bitop3:0x40
	v_mov_b32_e32 v31, 0
	s_mov_b32 s14, 0
	s_mov_b32 s15, 0
	s_mov_b32 s16, 0
	s_mov_b32 s17, 0
.LBB58_69:                              ; =>This Inner Loop Header: Depth=1
	s_clause 0x4
	scratch_load_b128 v[36:39], off, s16 offset:436
	scratch_load_b128 v[46:49], off, s16 offset:452
	;; [unrolled: 1-line block ×5, first 2 shown]
	s_add_co_i32 s17, s17, 4
	s_mov_b32 s4, s16
                                        ; kill: killed $sgpr4
	v_cmp_eq_u32_e64 s4, s17, v9
	s_mov_b32 s18, s15
	s_wait_xcnt 0x2
	s_add_co_i32 s16, s16, 48
	s_wait_xcnt 0x0
	s_add_co_i32 s15, s15, 32
                                        ; kill: killed $sgpr18
	s_or_b32 s14, s4, s14
	s_wait_loadcnt 0x4
	v_mul_hi_u32 v23, v37, v14
	s_delay_alu instid0(VALU_DEP_1) | instskip(NEXT) | instid1(VALU_DEP_1)
	v_add_nc_u32_e32 v23, v14, v23
	v_lshrrev_b32_e32 v23, v38, v23
	s_wait_loadcnt 0x3
	s_delay_alu instid0(VALU_DEP_1) | instskip(NEXT) | instid1(VALU_DEP_1)
	v_mul_hi_u32 v24, v46, v23
	v_add_nc_u32_e32 v24, v23, v24
	s_delay_alu instid0(VALU_DEP_1) | instskip(NEXT) | instid1(VALU_DEP_1)
	v_lshrrev_b32_e32 v24, v47, v24
	v_mul_hi_u32 v32, v49, v24
	s_delay_alu instid0(VALU_DEP_1) | instskip(SKIP_1) | instid1(VALU_DEP_1)
	v_add_nc_u32_e32 v32, v24, v32
	v_mul_lo_u32 v33, v23, v36
	v_sub_nc_u32_e32 v14, v14, v33
	v_mul_lo_u32 v33, v24, v39
	s_wait_loadcnt 0x2
	v_lshrrev_b32_e32 v32, v54, v32
	s_wait_loadcnt 0x1
	v_mad_u32 v31, v14, v59, v31
	v_mad_u32 v14, v14, v58, v30
	s_delay_alu instid0(VALU_DEP_4) | instskip(SKIP_2) | instid1(VALU_DEP_3)
	v_sub_nc_u32_e32 v23, v23, v33
	v_mul_hi_u32 v36, v56, v32
	v_mul_lo_u32 v30, v32, v48
	v_mad_u32 v31, v23, v61, v31
	v_mad_u32 v23, v23, v60, v14
	s_delay_alu instid0(VALU_DEP_4) | instskip(NEXT) | instid1(VALU_DEP_1)
	v_add_nc_u32_e32 v33, v32, v36
	v_dual_sub_nc_u32 v24, v24, v30 :: v_dual_lshrrev_b32 v14, v57, v33
	s_wait_loadcnt 0x0
	s_delay_alu instid0(VALU_DEP_1) | instskip(NEXT) | instid1(VALU_DEP_4)
	v_mad_u32 v31, v24, v63, v31
	v_mad_u32 v23, v24, v62, v23
	s_delay_alu instid0(VALU_DEP_3) | instskip(NEXT) | instid1(VALU_DEP_1)
	v_mul_lo_u32 v30, v14, v55
	v_sub_nc_u32_e32 v24, v32, v30
	s_delay_alu instid0(VALU_DEP_1) | instskip(NEXT) | instid1(VALU_DEP_4)
	v_mad_u32 v31, v24, v65, v31
	v_mad_u32 v30, v24, v64, v23
	s_and_not1_b32 exec_lo, exec_lo, s14
	s_cbranch_execnz .LBB58_69
; %bb.70:
	s_or_b32 exec_lo, exec_lo, s14
.LBB58_71:
	s_delay_alu instid0(SALU_CYCLE_1) | instskip(SKIP_3) | instid1(VALU_DEP_1)
	s_or_b32 exec_lo, exec_lo, s13
	v_and_b32_e32 v15, 3, v15
	s_mov_b32 s14, 0
	s_mov_b32 s13, exec_lo
	v_cmpx_ne_u32_e32 0, v15
	s_cbranch_execz .LBB58_75
; %bb.72:
	v_lshlrev_b32_e32 v23, 3, v9
	s_mov_b32 s4, 0
	v_mad_u32_u24 v9, v9, 12, 0
	s_delay_alu instid0(VALU_DEP_2)
	v_add3_u32 v23, v23, s4, 0x274
.LBB58_73:                              ; =>This Inner Loop Header: Depth=1
	scratch_load_b96 v[36:38], v9, off offset:436
	scratch_load_b64 v[32:33], v23, off
	v_add_nc_u32_e32 v15, -1, v15
	s_wait_xcnt 0x0
	v_dual_add_nc_u32 v23, 8, v23 :: v_dual_add_nc_u32 v9, 12, v9
	s_delay_alu instid0(VALU_DEP_2) | instskip(SKIP_3) | instid1(VALU_DEP_1)
	v_cmp_eq_u32_e64 s4, 0, v15
	s_or_b32 s14, s4, s14
	s_wait_loadcnt 0x1
	v_mul_hi_u32 v24, v37, v14
	v_add_nc_u32_e32 v24, v14, v24
	s_delay_alu instid0(VALU_DEP_1) | instskip(NEXT) | instid1(VALU_DEP_1)
	v_lshrrev_b32_e32 v24, v38, v24
	v_mul_lo_u32 v36, v24, v36
	s_delay_alu instid0(VALU_DEP_1) | instskip(SKIP_1) | instid1(VALU_DEP_1)
	v_sub_nc_u32_e32 v14, v14, v36
	s_wait_loadcnt 0x0
	v_mad_u32 v31, v14, v33, v31
	v_mad_u32 v30, v14, v32, v30
	v_mov_b32_e32 v14, v24
	s_and_not1_b32 exec_lo, exec_lo, s14
	s_cbranch_execnz .LBB58_73
; %bb.74:
	s_or_b32 exec_lo, exec_lo, s14
.LBB58_75:
	s_delay_alu instid0(SALU_CYCLE_1)
	s_or_b32 exec_lo, exec_lo, s13
.LBB58_76:
	s_delay_alu instid0(SALU_CYCLE_1)
	s_or_b32 exec_lo, exec_lo, s12
                                        ; implicit-def: $vgpr14
.LBB58_77:
	s_or_saveexec_b32 s4, s7
	v_dual_mov_b32 v24, v6 :: v_dual_mov_b32 v23, v25
	s_xor_b32 exec_lo, exec_lo, s4
	s_cbranch_execz .LBB58_81
; %bb.78:
	v_mov_b32_e32 v15, 0
	s_delay_alu instid0(VALU_DEP_1) | instskip(NEXT) | instid1(VALU_DEP_1)
	v_mul_u64_e32 v[30:31], v[24:25], v[14:15]
	v_add_nc_u32_e32 v6, v14, v31
	s_delay_alu instid0(VALU_DEP_1) | instskip(NEXT) | instid1(VALU_DEP_1)
	v_lshrrev_b32_e32 v32, v7, v6
	v_mul_lo_u32 v6, v32, v5
	s_delay_alu instid0(VALU_DEP_1) | instskip(SKIP_1) | instid1(VALU_DEP_1)
	v_sub_nc_u32_e32 v6, v14, v6
	s_wait_loadcnt 0x0
	v_mul_lo_u32 v31, v6, v1
	v_mul_lo_u32 v30, v6, v0
	s_and_saveexec_b32 s7, vcc_lo
	s_cbranch_execz .LBB58_80
; %bb.79:
	v_mov_b32_e32 v33, v15
	s_delay_alu instid0(VALU_DEP_1) | instskip(NEXT) | instid1(VALU_DEP_1)
	v_mul_u64_e32 v[14:15], v[32:33], v[22:23]
	v_add_nc_u32_e32 v6, v32, v15
	s_delay_alu instid0(VALU_DEP_1) | instskip(NEXT) | instid1(VALU_DEP_1)
	v_lshrrev_b32_e32 v6, v10, v6
	v_mul_lo_u32 v6, v6, v8
	s_delay_alu instid0(VALU_DEP_1) | instskip(NEXT) | instid1(VALU_DEP_1)
	v_sub_nc_u32_e32 v6, v32, v6
	v_mad_u32 v30, v6, v2, v30
	v_mad_u32 v31, v6, v3, v31
.LBB58_80:
	s_or_b32 exec_lo, exec_lo, s7
.LBB58_81:
	s_delay_alu instid0(SALU_CYCLE_1)
	s_or_b32 exec_lo, exec_lo, s4
	global_store_b64 v30, v[44:45], s[8:9] scale_offset
	global_store_b64 v31, v[42:43], s[10:11] scale_offset
	s_wait_xcnt 0x0
	s_and_saveexec_b32 s4, s3
	s_cbranch_execz .LBB58_133
; %bb.82:
	v_add_nc_u32_e32 v30, s6, v52
                                        ; implicit-def: $vgpr15
	s_and_saveexec_b32 s3, s1
	s_delay_alu instid0(SALU_CYCLE_1)
	s_xor_b32 s4, exec_lo, s3
	s_cbranch_execz .LBB58_94
; %bb.83:
	v_dual_mov_b32 v15, 0 :: v_dual_mov_b32 v14, 0
	s_and_saveexec_b32 s7, s5
	s_cbranch_execz .LBB58_93
; %bb.84:
	v_mov_b64_e32 v[14:15], 0
	v_dual_mov_b32 v6, 0 :: v_dual_add_nc_u32 v9, 1, v4
	s_mov_b32 s12, exec_lo
	v_cmpx_ne_u32_e32 2, v34
	s_cbranch_execz .LBB58_88
; %bb.85:
	s_delay_alu instid0(VALU_DEP_2)
	v_dual_mov_b32 v14, 0 :: v_dual_bitop2_b32 v6, 28, v9 bitop3:0x40
	v_mov_b32_e32 v15, 0
	s_mov_b32 s13, 0
	s_mov_b32 s14, 0
	;; [unrolled: 1-line block ×4, first 2 shown]
.LBB58_86:                              ; =>This Inner Loop Header: Depth=1
	s_clause 0x4
	scratch_load_b128 v[36:39], off, s15 offset:436
	scratch_load_b128 v[40:43], off, s15 offset:452
	;; [unrolled: 1-line block ×5, first 2 shown]
	s_add_co_i32 s16, s16, 4
	s_mov_b32 s3, s15
                                        ; kill: killed $sgpr3
	v_cmp_eq_u32_e64 s3, s16, v6
	s_mov_b32 s17, s14
	s_wait_xcnt 0x2
	s_add_co_i32 s15, s15, 48
	s_wait_xcnt 0x0
	s_add_co_i32 s14, s14, 32
                                        ; kill: killed $sgpr17
	s_or_b32 s13, s3, s13
	s_wait_loadcnt 0x4
	v_mul_hi_u32 v31, v37, v30
	s_delay_alu instid0(VALU_DEP_1) | instskip(NEXT) | instid1(VALU_DEP_1)
	v_add_nc_u32_e32 v31, v30, v31
	v_lshrrev_b32_e32 v31, v38, v31
	s_wait_loadcnt 0x3
	s_delay_alu instid0(VALU_DEP_1) | instskip(NEXT) | instid1(VALU_DEP_1)
	v_mul_hi_u32 v32, v40, v31
	v_add_nc_u32_e32 v32, v31, v32
	s_delay_alu instid0(VALU_DEP_1) | instskip(NEXT) | instid1(VALU_DEP_1)
	v_lshrrev_b32_e32 v32, v41, v32
	v_mul_hi_u32 v33, v43, v32
	s_delay_alu instid0(VALU_DEP_1) | instskip(SKIP_2) | instid1(VALU_DEP_2)
	v_add_nc_u32_e32 v33, v32, v33
	v_mul_lo_u32 v36, v31, v36
	s_wait_loadcnt 0x2
	v_lshrrev_b32_e32 v33, v44, v33
	s_delay_alu instid0(VALU_DEP_1) | instskip(NEXT) | instid1(VALU_DEP_3)
	v_mul_hi_u32 v37, v46, v33
	v_sub_nc_u32_e32 v30, v30, v36
	v_mul_lo_u32 v36, v32, v39
	s_wait_loadcnt 0x1
	s_delay_alu instid0(VALU_DEP_2) | instskip(SKIP_1) | instid1(VALU_DEP_3)
	v_mad_u32 v15, v30, v49, v15
	v_mad_u32 v14, v30, v48, v14
	v_sub_nc_u32_e32 v30, v31, v36
	v_mul_lo_u32 v31, v33, v42
	s_delay_alu instid0(VALU_DEP_1) | instskip(NEXT) | instid1(VALU_DEP_3)
	v_dual_add_nc_u32 v36, v33, v37 :: v_dual_sub_nc_u32 v31, v32, v31
	v_mad_u32 v15, v30, v51, v15
	v_mad_u32 v14, v30, v50, v14
	s_delay_alu instid0(VALU_DEP_3) | instskip(NEXT) | instid1(VALU_DEP_1)
	v_lshrrev_b32_e32 v30, v47, v36
	v_mul_lo_u32 v32, v30, v45
	s_wait_loadcnt 0x0
	s_delay_alu instid0(VALU_DEP_4) | instskip(NEXT) | instid1(VALU_DEP_4)
	v_mad_u32 v15, v31, v53, v15
	v_mad_u32 v14, v31, v52, v14
	s_delay_alu instid0(VALU_DEP_3) | instskip(NEXT) | instid1(VALU_DEP_1)
	v_sub_nc_u32_e32 v31, v33, v32
	v_mad_u32 v15, v31, v55, v15
	s_delay_alu instid0(VALU_DEP_3)
	v_mad_u32 v14, v31, v54, v14
	s_and_not1_b32 exec_lo, exec_lo, s13
	s_cbranch_execnz .LBB58_86
; %bb.87:
	s_or_b32 exec_lo, exec_lo, s13
.LBB58_88:
	s_delay_alu instid0(SALU_CYCLE_1) | instskip(SKIP_3) | instid1(VALU_DEP_1)
	s_or_b32 exec_lo, exec_lo, s12
	v_and_b32_e32 v9, 3, v9
	s_mov_b32 s13, 0
	s_mov_b32 s12, exec_lo
	v_cmpx_ne_u32_e32 0, v9
	s_cbranch_execz .LBB58_92
; %bb.89:
	v_lshlrev_b32_e32 v31, 3, v6
	s_mov_b32 s3, 0
	v_mad_u32_u24 v6, v6, 12, 0
	s_delay_alu instid0(VALU_DEP_2)
	v_add3_u32 v31, v31, s3, 0x274
.LBB58_90:                              ; =>This Inner Loop Header: Depth=1
	scratch_load_b96 v[36:38], v6, off offset:436
	scratch_load_b64 v[32:33], v31, off
	s_wait_xcnt 0x1
	v_dual_add_nc_u32 v9, -1, v9 :: v_dual_add_nc_u32 v6, 12, v6
	s_wait_xcnt 0x0
	v_add_nc_u32_e32 v31, 8, v31
	s_delay_alu instid0(VALU_DEP_2) | instskip(SKIP_3) | instid1(VALU_DEP_1)
	v_cmp_eq_u32_e64 s3, 0, v9
	s_or_b32 s13, s3, s13
	s_wait_loadcnt 0x1
	v_mul_hi_u32 v37, v37, v30
	v_add_nc_u32_e32 v37, v30, v37
	s_delay_alu instid0(VALU_DEP_1) | instskip(NEXT) | instid1(VALU_DEP_1)
	v_lshrrev_b32_e32 v37, v38, v37
	v_mul_lo_u32 v36, v37, v36
	s_delay_alu instid0(VALU_DEP_1) | instskip(SKIP_1) | instid1(VALU_DEP_1)
	v_sub_nc_u32_e32 v30, v30, v36
	s_wait_loadcnt 0x0
	v_mad_u32 v15, v30, v33, v15
	v_mad_u32 v14, v30, v32, v14
	v_mov_b32_e32 v30, v37
	s_and_not1_b32 exec_lo, exec_lo, s13
	s_cbranch_execnz .LBB58_90
; %bb.91:
	s_or_b32 exec_lo, exec_lo, s13
.LBB58_92:
	s_delay_alu instid0(SALU_CYCLE_1)
	s_or_b32 exec_lo, exec_lo, s12
.LBB58_93:
	s_delay_alu instid0(SALU_CYCLE_1)
	s_or_b32 exec_lo, exec_lo, s7
                                        ; implicit-def: $vgpr30
.LBB58_94:
	s_and_not1_saveexec_b32 s3, s4
	s_cbranch_execz .LBB58_98
; %bb.95:
	v_mov_b32_e32 v31, 0
	s_delay_alu instid0(VALU_DEP_1) | instskip(NEXT) | instid1(VALU_DEP_1)
	v_mul_u64_e32 v[14:15], v[24:25], v[30:31]
	v_add_nc_u32_e32 v6, v30, v15
	s_delay_alu instid0(VALU_DEP_1) | instskip(NEXT) | instid1(VALU_DEP_1)
	v_lshrrev_b32_e32 v32, v7, v6
	v_mul_lo_u32 v6, v32, v5
	s_delay_alu instid0(VALU_DEP_1) | instskip(SKIP_1) | instid1(VALU_DEP_1)
	v_sub_nc_u32_e32 v6, v30, v6
	s_wait_loadcnt 0x0
	v_mul_lo_u32 v15, v6, v1
	v_mul_lo_u32 v14, v6, v0
	s_and_saveexec_b32 s4, vcc_lo
	s_cbranch_execz .LBB58_97
; %bb.96:
	v_mov_b32_e32 v33, v31
	s_delay_alu instid0(VALU_DEP_1) | instskip(NEXT) | instid1(VALU_DEP_1)
	v_mul_u64_e32 v[30:31], v[32:33], v[22:23]
	v_add_nc_u32_e32 v6, v32, v31
	s_delay_alu instid0(VALU_DEP_1) | instskip(NEXT) | instid1(VALU_DEP_1)
	v_lshrrev_b32_e32 v6, v10, v6
	v_mul_lo_u32 v6, v6, v8
	s_delay_alu instid0(VALU_DEP_1) | instskip(NEXT) | instid1(VALU_DEP_1)
	v_sub_nc_u32_e32 v6, v32, v6
	v_mad_u32 v14, v6, v2, v14
	v_mad_u32 v15, v6, v3, v15
.LBB58_97:
	s_or_b32 exec_lo, exec_lo, s4
.LBB58_98:
	s_delay_alu instid0(SALU_CYCLE_1)
	s_or_b32 exec_lo, exec_lo, s3
	global_store_b64 v14, v[28:29], s[8:9] scale_offset
	global_store_b64 v15, v[26:27], s[10:11] scale_offset
	s_wait_xcnt 0x0
	s_and_b32 exec_lo, exec_lo, s2
	s_cbranch_execz .LBB58_133
; %bb.99:
	v_add_nc_u32_e32 v26, s6, v35
                                        ; implicit-def: $vgpr15
	s_and_saveexec_b32 s2, s1
	s_delay_alu instid0(SALU_CYCLE_1)
	s_xor_b32 s3, exec_lo, s2
	s_cbranch_execz .LBB58_111
; %bb.100:
	v_dual_mov_b32 v15, 0 :: v_dual_mov_b32 v14, 0
	s_and_saveexec_b32 s4, s5
	s_cbranch_execz .LBB58_110
; %bb.101:
	v_mov_b64_e32 v[14:15], 0
	v_dual_mov_b32 v6, 0 :: v_dual_add_nc_u32 v9, 1, v4
	s_mov_b32 s7, exec_lo
	v_cmpx_ne_u32_e32 2, v34
	s_cbranch_execz .LBB58_105
; %bb.102:
	s_delay_alu instid0(VALU_DEP_2)
	v_dual_mov_b32 v14, 0 :: v_dual_bitop2_b32 v6, 28, v9 bitop3:0x40
	v_mov_b32_e32 v15, 0
	s_mov_b32 s12, 0
	s_mov_b32 s13, 0
	;; [unrolled: 1-line block ×4, first 2 shown]
.LBB58_103:                             ; =>This Inner Loop Header: Depth=1
	s_clause 0x4
	scratch_load_b128 v[28:31], off, s14 offset:436
	scratch_load_b128 v[36:39], off, s14 offset:452
	;; [unrolled: 1-line block ×5, first 2 shown]
	s_add_co_i32 s15, s15, 4
	s_mov_b32 s2, s14
                                        ; kill: killed $sgpr2
	v_cmp_eq_u32_e64 s2, s15, v6
	s_mov_b32 s16, s13
	s_wait_xcnt 0x2
	s_add_co_i32 s14, s14, 48
	s_wait_xcnt 0x0
	s_add_co_i32 s13, s13, 32
                                        ; kill: killed $sgpr16
	s_or_b32 s12, s2, s12
	s_wait_loadcnt 0x4
	v_mul_hi_u32 v27, v29, v26
	s_delay_alu instid0(VALU_DEP_1) | instskip(NEXT) | instid1(VALU_DEP_1)
	v_add_nc_u32_e32 v27, v26, v27
	v_lshrrev_b32_e32 v27, v30, v27
	s_wait_loadcnt 0x3
	s_delay_alu instid0(VALU_DEP_1) | instskip(NEXT) | instid1(VALU_DEP_1)
	v_mul_hi_u32 v29, v36, v27
	v_add_nc_u32_e32 v29, v27, v29
	s_delay_alu instid0(VALU_DEP_1) | instskip(NEXT) | instid1(VALU_DEP_1)
	v_lshrrev_b32_e32 v29, v37, v29
	v_mul_hi_u32 v30, v39, v29
	s_delay_alu instid0(VALU_DEP_1) | instskip(SKIP_2) | instid1(VALU_DEP_1)
	v_add_nc_u32_e32 v30, v29, v30
	v_mul_lo_u32 v28, v27, v28
	s_wait_loadcnt 0x2
	v_dual_sub_nc_u32 v26, v26, v28 :: v_dual_lshrrev_b32 v28, v40, v30
	v_mul_lo_u32 v30, v29, v31
	s_wait_loadcnt 0x1
	s_delay_alu instid0(VALU_DEP_2) | instskip(SKIP_1) | instid1(VALU_DEP_3)
	v_mad_u32 v15, v26, v45, v15
	v_mad_u32 v14, v26, v44, v14
	v_sub_nc_u32_e32 v26, v27, v30
	v_mul_hi_u32 v31, v42, v28
	v_mul_lo_u32 v27, v28, v38
	s_delay_alu instid0(VALU_DEP_3) | instskip(SKIP_1) | instid1(VALU_DEP_4)
	v_mad_u32 v15, v26, v47, v15
	v_mad_u32 v14, v26, v46, v14
	v_add_nc_u32_e32 v30, v28, v31
	s_delay_alu instid0(VALU_DEP_1) | instskip(SKIP_1) | instid1(VALU_DEP_1)
	v_dual_sub_nc_u32 v27, v29, v27 :: v_dual_lshrrev_b32 v26, v43, v30
	s_wait_loadcnt 0x0
	v_mad_u32 v15, v27, v49, v15
	s_delay_alu instid0(VALU_DEP_4) | instskip(NEXT) | instid1(VALU_DEP_3)
	v_mad_u32 v14, v27, v48, v14
	v_mul_lo_u32 v29, v26, v41
	s_delay_alu instid0(VALU_DEP_1) | instskip(NEXT) | instid1(VALU_DEP_1)
	v_sub_nc_u32_e32 v27, v28, v29
	v_mad_u32 v15, v27, v51, v15
	s_delay_alu instid0(VALU_DEP_4)
	v_mad_u32 v14, v27, v50, v14
	s_and_not1_b32 exec_lo, exec_lo, s12
	s_cbranch_execnz .LBB58_103
; %bb.104:
	s_or_b32 exec_lo, exec_lo, s12
.LBB58_105:
	s_delay_alu instid0(SALU_CYCLE_1) | instskip(SKIP_3) | instid1(VALU_DEP_1)
	s_or_b32 exec_lo, exec_lo, s7
	v_and_b32_e32 v9, 3, v9
	s_mov_b32 s12, 0
	s_mov_b32 s7, exec_lo
	v_cmpx_ne_u32_e32 0, v9
	s_cbranch_execz .LBB58_109
; %bb.106:
	v_lshlrev_b32_e32 v27, 3, v6
	s_mov_b32 s2, 0
	v_mad_u32_u24 v6, v6, 12, 0
	s_delay_alu instid0(VALU_DEP_2)
	v_add3_u32 v27, v27, s2, 0x274
.LBB58_107:                             ; =>This Inner Loop Header: Depth=1
	scratch_load_b96 v[28:30], v6, off offset:436
	scratch_load_b64 v[32:33], v27, off
	s_wait_xcnt 0x1
	v_dual_add_nc_u32 v9, -1, v9 :: v_dual_add_nc_u32 v6, 12, v6
	s_wait_xcnt 0x0
	v_add_nc_u32_e32 v27, 8, v27
	s_delay_alu instid0(VALU_DEP_2) | instskip(SKIP_3) | instid1(VALU_DEP_1)
	v_cmp_eq_u32_e64 s2, 0, v9
	s_or_b32 s12, s2, s12
	s_wait_loadcnt 0x1
	v_mul_hi_u32 v29, v29, v26
	v_add_nc_u32_e32 v29, v26, v29
	s_delay_alu instid0(VALU_DEP_1) | instskip(NEXT) | instid1(VALU_DEP_1)
	v_lshrrev_b32_e32 v29, v30, v29
	v_mul_lo_u32 v28, v29, v28
	s_delay_alu instid0(VALU_DEP_1) | instskip(SKIP_1) | instid1(VALU_DEP_1)
	v_sub_nc_u32_e32 v26, v26, v28
	s_wait_loadcnt 0x0
	v_mad_u32 v15, v26, v33, v15
	v_mad_u32 v14, v26, v32, v14
	v_mov_b32_e32 v26, v29
	s_and_not1_b32 exec_lo, exec_lo, s12
	s_cbranch_execnz .LBB58_107
; %bb.108:
	s_or_b32 exec_lo, exec_lo, s12
.LBB58_109:
	s_delay_alu instid0(SALU_CYCLE_1)
	s_or_b32 exec_lo, exec_lo, s7
.LBB58_110:
	s_delay_alu instid0(SALU_CYCLE_1)
	s_or_b32 exec_lo, exec_lo, s4
                                        ; implicit-def: $vgpr26
.LBB58_111:
	s_and_not1_saveexec_b32 s2, s3
	s_cbranch_execz .LBB58_115
; %bb.112:
	v_mov_b32_e32 v27, 0
	s_delay_alu instid0(VALU_DEP_1) | instskip(NEXT) | instid1(VALU_DEP_1)
	v_mul_u64_e32 v[14:15], v[24:25], v[26:27]
	v_add_nc_u32_e32 v6, v26, v15
	s_delay_alu instid0(VALU_DEP_1) | instskip(NEXT) | instid1(VALU_DEP_1)
	v_lshrrev_b32_e32 v28, v7, v6
	v_mul_lo_u32 v6, v28, v5
	s_delay_alu instid0(VALU_DEP_1) | instskip(SKIP_1) | instid1(VALU_DEP_1)
	v_sub_nc_u32_e32 v6, v26, v6
	s_wait_loadcnt 0x0
	v_mul_lo_u32 v15, v6, v1
	v_mul_lo_u32 v14, v6, v0
	s_and_saveexec_b32 s3, vcc_lo
	s_cbranch_execz .LBB58_114
; %bb.113:
	v_mov_b32_e32 v29, v27
	s_delay_alu instid0(VALU_DEP_1) | instskip(NEXT) | instid1(VALU_DEP_1)
	v_mul_u64_e32 v[26:27], v[28:29], v[22:23]
	v_add_nc_u32_e32 v6, v28, v27
	s_delay_alu instid0(VALU_DEP_1) | instskip(NEXT) | instid1(VALU_DEP_1)
	v_lshrrev_b32_e32 v6, v10, v6
	v_mul_lo_u32 v6, v6, v8
	s_delay_alu instid0(VALU_DEP_1) | instskip(NEXT) | instid1(VALU_DEP_1)
	v_sub_nc_u32_e32 v6, v28, v6
	v_mad_u32 v14, v6, v2, v14
	v_mad_u32 v15, v6, v3, v15
.LBB58_114:
	s_or_b32 exec_lo, exec_lo, s3
.LBB58_115:
	s_delay_alu instid0(SALU_CYCLE_1)
	s_or_b32 exec_lo, exec_lo, s2
	global_store_b64 v14, v[20:21], s[8:9] scale_offset
	global_store_b64 v15, v[18:19], s[10:11] scale_offset
	s_wait_xcnt 0x0
	s_and_b32 exec_lo, exec_lo, s0
	s_cbranch_execz .LBB58_133
; %bb.116:
	v_add_nc_u32_e32 v18, s6, v11
                                        ; implicit-def: $vgpr15
	s_and_saveexec_b32 s0, s1
	s_delay_alu instid0(SALU_CYCLE_1)
	s_xor_b32 s1, exec_lo, s0
	s_cbranch_execz .LBB58_128
; %bb.117:
	v_dual_mov_b32 v15, 0 :: v_dual_mov_b32 v14, 0
	s_and_saveexec_b32 s2, s5
	s_cbranch_execz .LBB58_127
; %bb.118:
	v_mov_b64_e32 v[14:15], 0
	s_wait_loadcnt 0x0
	v_dual_mov_b32 v0, 0 :: v_dual_add_nc_u32 v1, 1, v4
	s_mov_b32 s3, exec_lo
	v_cmpx_ne_u32_e32 2, v34
	s_cbranch_execz .LBB58_122
; %bb.119:
	s_delay_alu instid0(VALU_DEP_2)
	v_dual_mov_b32 v14, 0 :: v_dual_bitop2_b32 v0, 28, v1 bitop3:0x40
	v_mov_b32_e32 v15, 0
	s_mov_b32 s4, 0
	s_mov_b32 s5, 0
	;; [unrolled: 1-line block ×4, first 2 shown]
.LBB58_120:                             ; =>This Inner Loop Header: Depth=1
	s_clause 0x4
	scratch_load_b128 v[2:5], off, s6 offset:436
	scratch_load_b128 v[6:9], off, s6 offset:452
	scratch_load_b128 v[20:23], off, s6 offset:468
	scratch_load_b128 v[24:27], off, s5 offset:628
	scratch_load_b128 v[28:31], off, s5 offset:644
	s_add_co_i32 s7, s7, 4
	s_mov_b32 s0, s6
                                        ; kill: killed $sgpr0
	v_cmp_eq_u32_e64 s0, s7, v0
	s_mov_b32 s12, s5
	s_wait_xcnt 0x2
	s_add_co_i32 s6, s6, 48
	s_wait_xcnt 0x0
	s_add_co_i32 s5, s5, 32
                                        ; kill: killed $sgpr12
	s_or_b32 s4, s0, s4
	s_wait_loadcnt 0x4
	v_mul_hi_u32 v3, v3, v18
	s_delay_alu instid0(VALU_DEP_1) | instskip(NEXT) | instid1(VALU_DEP_1)
	v_add_nc_u32_e32 v3, v18, v3
	v_lshrrev_b32_e32 v3, v4, v3
	s_wait_loadcnt 0x3
	s_delay_alu instid0(VALU_DEP_1) | instskip(NEXT) | instid1(VALU_DEP_1)
	v_mul_hi_u32 v4, v6, v3
	v_add_nc_u32_e32 v4, v3, v4
	s_delay_alu instid0(VALU_DEP_1) | instskip(NEXT) | instid1(VALU_DEP_1)
	v_lshrrev_b32_e32 v4, v7, v4
	v_mul_hi_u32 v6, v9, v4
	v_mul_lo_u32 v5, v4, v5
	s_delay_alu instid0(VALU_DEP_2) | instskip(SKIP_2) | instid1(VALU_DEP_2)
	v_add_nc_u32_e32 v6, v4, v6
	v_mul_lo_u32 v2, v3, v2
	s_wait_loadcnt 0x2
	v_dual_sub_nc_u32 v3, v3, v5 :: v_dual_lshrrev_b32 v6, v20, v6
	s_delay_alu instid0(VALU_DEP_1) | instskip(SKIP_1) | instid1(VALU_DEP_4)
	v_mul_hi_u32 v7, v22, v6
	v_mul_lo_u32 v5, v6, v8
	v_sub_nc_u32_e32 v2, v18, v2
	s_wait_loadcnt 0x1
	s_delay_alu instid0(VALU_DEP_1) | instskip(SKIP_2) | instid1(VALU_DEP_3)
	v_mad_u32 v9, v2, v25, v15
	v_mad_u32 v2, v2, v24, v14
	v_add_nc_u32_e32 v7, v6, v7
	v_mad_u32 v8, v3, v27, v9
	s_delay_alu instid0(VALU_DEP_3) | instskip(NEXT) | instid1(VALU_DEP_3)
	v_mad_u32 v2, v3, v26, v2
	v_dual_sub_nc_u32 v3, v4, v5 :: v_dual_lshrrev_b32 v18, v23, v7
	s_delay_alu instid0(VALU_DEP_1) | instskip(SKIP_1) | instid1(VALU_DEP_2)
	v_mul_lo_u32 v4, v18, v21
	s_wait_loadcnt 0x0
	v_mad_u32 v5, v3, v29, v8
	s_delay_alu instid0(VALU_DEP_4) | instskip(NEXT) | instid1(VALU_DEP_3)
	v_mad_u32 v2, v3, v28, v2
	v_sub_nc_u32_e32 v3, v6, v4
	s_delay_alu instid0(VALU_DEP_1) | instskip(NEXT) | instid1(VALU_DEP_3)
	v_mad_u32 v15, v3, v31, v5
	v_mad_u32 v14, v3, v30, v2
	s_and_not1_b32 exec_lo, exec_lo, s4
	s_cbranch_execnz .LBB58_120
; %bb.121:
	s_or_b32 exec_lo, exec_lo, s4
.LBB58_122:
	s_delay_alu instid0(SALU_CYCLE_1) | instskip(SKIP_3) | instid1(VALU_DEP_1)
	s_or_b32 exec_lo, exec_lo, s3
	v_and_b32_e32 v1, 3, v1
	s_mov_b32 s4, 0
	s_mov_b32 s3, exec_lo
	v_cmpx_ne_u32_e32 0, v1
	s_cbranch_execz .LBB58_126
; %bb.123:
	v_lshlrev_b32_e32 v2, 3, v0
	s_mov_b32 s0, 0
	v_mad_u32_u24 v0, v0, 12, 0
	s_delay_alu instid0(VALU_DEP_2)
	v_add3_u32 v2, v2, s0, 0x274
.LBB58_124:                             ; =>This Inner Loop Header: Depth=1
	scratch_load_b96 v[4:6], v0, off offset:436
	scratch_load_b64 v[8:9], v2, off
	s_wait_xcnt 0x0
	v_dual_add_nc_u32 v2, 8, v2 :: v_dual_add_nc_u32 v0, 12, v0
	v_add_nc_u32_e32 v1, -1, v1
	s_delay_alu instid0(VALU_DEP_1) | instskip(SKIP_3) | instid1(VALU_DEP_1)
	v_cmp_eq_u32_e64 s0, 0, v1
	s_or_b32 s4, s0, s4
	s_wait_loadcnt 0x1
	v_mul_hi_u32 v3, v5, v18
	v_add_nc_u32_e32 v3, v18, v3
	s_delay_alu instid0(VALU_DEP_1) | instskip(NEXT) | instid1(VALU_DEP_1)
	v_lshrrev_b32_e32 v3, v6, v3
	v_mul_lo_u32 v4, v3, v4
	s_delay_alu instid0(VALU_DEP_1) | instskip(SKIP_1) | instid1(VALU_DEP_1)
	v_dual_sub_nc_u32 v4, v18, v4 :: v_dual_mov_b32 v18, v3
	s_wait_loadcnt 0x0
	v_mad_u32 v15, v4, v9, v15
	v_mad_u32 v14, v4, v8, v14
	s_and_not1_b32 exec_lo, exec_lo, s4
	s_cbranch_execnz .LBB58_124
; %bb.125:
	s_or_b32 exec_lo, exec_lo, s4
.LBB58_126:
	s_delay_alu instid0(SALU_CYCLE_1)
	s_or_b32 exec_lo, exec_lo, s3
.LBB58_127:
	s_delay_alu instid0(SALU_CYCLE_1)
	s_or_b32 exec_lo, exec_lo, s2
                                        ; implicit-def: $vgpr18
                                        ; implicit-def: $vgpr24_vgpr25
                                        ; implicit-def: $vgpr4_vgpr5_vgpr6_vgpr7
                                        ; implicit-def: $vgpr0_vgpr1_vgpr2_vgpr3
                                        ; implicit-def: $vgpr22_vgpr23
                                        ; implicit-def: $vgpr8_vgpr9_vgpr10
.LBB58_128:
	s_and_not1_saveexec_b32 s0, s1
	s_cbranch_execz .LBB58_132
; %bb.129:
	v_mov_b32_e32 v19, 0
	s_delay_alu instid0(VALU_DEP_1) | instskip(NEXT) | instid1(VALU_DEP_1)
	v_mul_u64_e32 v[14:15], v[24:25], v[18:19]
	v_add_nc_u32_e32 v4, v18, v15
	s_delay_alu instid0(VALU_DEP_1) | instskip(NEXT) | instid1(VALU_DEP_1)
	v_lshrrev_b32_e32 v4, v7, v4
	v_mul_lo_u32 v5, v4, v5
	s_delay_alu instid0(VALU_DEP_1) | instskip(SKIP_1) | instid1(VALU_DEP_1)
	v_sub_nc_u32_e32 v5, v18, v5
	s_wait_loadcnt 0x0
	v_mul_lo_u32 v15, v5, v1
	v_mul_lo_u32 v14, v5, v0
	s_and_saveexec_b32 s1, vcc_lo
	s_cbranch_execz .LBB58_131
; %bb.130:
	v_mov_b32_e32 v5, v19
	s_delay_alu instid0(VALU_DEP_1) | instskip(NEXT) | instid1(VALU_DEP_1)
	v_mul_u64_e32 v[0:1], v[4:5], v[22:23]
	v_add_nc_u32_e32 v0, v4, v1
	s_delay_alu instid0(VALU_DEP_1) | instskip(NEXT) | instid1(VALU_DEP_1)
	v_lshrrev_b32_e32 v0, v10, v0
	v_mul_lo_u32 v0, v0, v8
	s_delay_alu instid0(VALU_DEP_1) | instskip(NEXT) | instid1(VALU_DEP_1)
	v_sub_nc_u32_e32 v0, v4, v0
	v_mad_u32 v14, v0, v2, v14
	v_mad_u32 v15, v0, v3, v15
.LBB58_131:
	s_or_b32 exec_lo, exec_lo, s1
.LBB58_132:
	s_delay_alu instid0(SALU_CYCLE_1)
	s_or_b32 exec_lo, exec_lo, s0
	global_store_b64 v14, v[16:17], s[8:9] scale_offset
	global_store_b64 v15, v[12:13], s[10:11] scale_offset
.LBB58_133:
	s_sendmsg sendmsg(MSG_DEALLOC_VGPRS)
	s_endpgm
	.section	.rodata,"a",@progbits
	.p2align	6, 0x0
	.amdhsa_kernel _ZN2at6native12_GLOBAL__N_145unrolled_elementwise_kernel_for_multi_outputsILi2EZZZNS0_21prelu_backward_kernelERNS_14TensorIteratorEENKUlvE_clEvENKUlvE_clEvEUldddE_St5arrayIPcLm5EE16OffsetCalculatorILi3EjLb0EESB_ILi2EjLb0EEEEviT0_T1_T2_T3_
		.amdhsa_group_segment_fixed_size 0
		.amdhsa_private_segment_fixed_size 768
		.amdhsa_kernarg_size 760
		.amdhsa_user_sgpr_count 2
		.amdhsa_user_sgpr_dispatch_ptr 0
		.amdhsa_user_sgpr_queue_ptr 0
		.amdhsa_user_sgpr_kernarg_segment_ptr 1
		.amdhsa_user_sgpr_dispatch_id 0
		.amdhsa_user_sgpr_kernarg_preload_length 0
		.amdhsa_user_sgpr_kernarg_preload_offset 0
		.amdhsa_user_sgpr_private_segment_size 0
		.amdhsa_wavefront_size32 1
		.amdhsa_uses_dynamic_stack 0
		.amdhsa_enable_private_segment 1
		.amdhsa_system_sgpr_workgroup_id_x 1
		.amdhsa_system_sgpr_workgroup_id_y 0
		.amdhsa_system_sgpr_workgroup_id_z 0
		.amdhsa_system_sgpr_workgroup_info 0
		.amdhsa_system_vgpr_workitem_id 0
		.amdhsa_next_free_vgpr 66
		.amdhsa_next_free_sgpr 76
		.amdhsa_named_barrier_count 0
		.amdhsa_reserve_vcc 1
		.amdhsa_float_round_mode_32 0
		.amdhsa_float_round_mode_16_64 0
		.amdhsa_float_denorm_mode_32 3
		.amdhsa_float_denorm_mode_16_64 3
		.amdhsa_fp16_overflow 0
		.amdhsa_memory_ordered 1
		.amdhsa_forward_progress 1
		.amdhsa_inst_pref_size 65
		.amdhsa_round_robin_scheduling 0
		.amdhsa_exception_fp_ieee_invalid_op 0
		.amdhsa_exception_fp_denorm_src 0
		.amdhsa_exception_fp_ieee_div_zero 0
		.amdhsa_exception_fp_ieee_overflow 0
		.amdhsa_exception_fp_ieee_underflow 0
		.amdhsa_exception_fp_ieee_inexact 0
		.amdhsa_exception_int_div_zero 0
	.end_amdhsa_kernel
	.section	.text._ZN2at6native12_GLOBAL__N_145unrolled_elementwise_kernel_for_multi_outputsILi2EZZZNS0_21prelu_backward_kernelERNS_14TensorIteratorEENKUlvE_clEvENKUlvE_clEvEUldddE_St5arrayIPcLm5EE16OffsetCalculatorILi3EjLb0EESB_ILi2EjLb0EEEEviT0_T1_T2_T3_,"axG",@progbits,_ZN2at6native12_GLOBAL__N_145unrolled_elementwise_kernel_for_multi_outputsILi2EZZZNS0_21prelu_backward_kernelERNS_14TensorIteratorEENKUlvE_clEvENKUlvE_clEvEUldddE_St5arrayIPcLm5EE16OffsetCalculatorILi3EjLb0EESB_ILi2EjLb0EEEEviT0_T1_T2_T3_,comdat
.Lfunc_end58:
	.size	_ZN2at6native12_GLOBAL__N_145unrolled_elementwise_kernel_for_multi_outputsILi2EZZZNS0_21prelu_backward_kernelERNS_14TensorIteratorEENKUlvE_clEvENKUlvE_clEvEUldddE_St5arrayIPcLm5EE16OffsetCalculatorILi3EjLb0EESB_ILi2EjLb0EEEEviT0_T1_T2_T3_, .Lfunc_end58-_ZN2at6native12_GLOBAL__N_145unrolled_elementwise_kernel_for_multi_outputsILi2EZZZNS0_21prelu_backward_kernelERNS_14TensorIteratorEENKUlvE_clEvENKUlvE_clEvEUldddE_St5arrayIPcLm5EE16OffsetCalculatorILi3EjLb0EESB_ILi2EjLb0EEEEviT0_T1_T2_T3_
                                        ; -- End function
	.set _ZN2at6native12_GLOBAL__N_145unrolled_elementwise_kernel_for_multi_outputsILi2EZZZNS0_21prelu_backward_kernelERNS_14TensorIteratorEENKUlvE_clEvENKUlvE_clEvEUldddE_St5arrayIPcLm5EE16OffsetCalculatorILi3EjLb0EESB_ILi2EjLb0EEEEviT0_T1_T2_T3_.num_vgpr, 66
	.set _ZN2at6native12_GLOBAL__N_145unrolled_elementwise_kernel_for_multi_outputsILi2EZZZNS0_21prelu_backward_kernelERNS_14TensorIteratorEENKUlvE_clEvENKUlvE_clEvEUldddE_St5arrayIPcLm5EE16OffsetCalculatorILi3EjLb0EESB_ILi2EjLb0EEEEviT0_T1_T2_T3_.num_agpr, 0
	.set _ZN2at6native12_GLOBAL__N_145unrolled_elementwise_kernel_for_multi_outputsILi2EZZZNS0_21prelu_backward_kernelERNS_14TensorIteratorEENKUlvE_clEvENKUlvE_clEvEUldddE_St5arrayIPcLm5EE16OffsetCalculatorILi3EjLb0EESB_ILi2EjLb0EEEEviT0_T1_T2_T3_.numbered_sgpr, 76
	.set _ZN2at6native12_GLOBAL__N_145unrolled_elementwise_kernel_for_multi_outputsILi2EZZZNS0_21prelu_backward_kernelERNS_14TensorIteratorEENKUlvE_clEvENKUlvE_clEvEUldddE_St5arrayIPcLm5EE16OffsetCalculatorILi3EjLb0EESB_ILi2EjLb0EEEEviT0_T1_T2_T3_.num_named_barrier, 0
	.set _ZN2at6native12_GLOBAL__N_145unrolled_elementwise_kernel_for_multi_outputsILi2EZZZNS0_21prelu_backward_kernelERNS_14TensorIteratorEENKUlvE_clEvENKUlvE_clEvEUldddE_St5arrayIPcLm5EE16OffsetCalculatorILi3EjLb0EESB_ILi2EjLb0EEEEviT0_T1_T2_T3_.private_seg_size, 768
	.set _ZN2at6native12_GLOBAL__N_145unrolled_elementwise_kernel_for_multi_outputsILi2EZZZNS0_21prelu_backward_kernelERNS_14TensorIteratorEENKUlvE_clEvENKUlvE_clEvEUldddE_St5arrayIPcLm5EE16OffsetCalculatorILi3EjLb0EESB_ILi2EjLb0EEEEviT0_T1_T2_T3_.uses_vcc, 1
	.set _ZN2at6native12_GLOBAL__N_145unrolled_elementwise_kernel_for_multi_outputsILi2EZZZNS0_21prelu_backward_kernelERNS_14TensorIteratorEENKUlvE_clEvENKUlvE_clEvEUldddE_St5arrayIPcLm5EE16OffsetCalculatorILi3EjLb0EESB_ILi2EjLb0EEEEviT0_T1_T2_T3_.uses_flat_scratch, 1
	.set _ZN2at6native12_GLOBAL__N_145unrolled_elementwise_kernel_for_multi_outputsILi2EZZZNS0_21prelu_backward_kernelERNS_14TensorIteratorEENKUlvE_clEvENKUlvE_clEvEUldddE_St5arrayIPcLm5EE16OffsetCalculatorILi3EjLb0EESB_ILi2EjLb0EEEEviT0_T1_T2_T3_.has_dyn_sized_stack, 0
	.set _ZN2at6native12_GLOBAL__N_145unrolled_elementwise_kernel_for_multi_outputsILi2EZZZNS0_21prelu_backward_kernelERNS_14TensorIteratorEENKUlvE_clEvENKUlvE_clEvEUldddE_St5arrayIPcLm5EE16OffsetCalculatorILi3EjLb0EESB_ILi2EjLb0EEEEviT0_T1_T2_T3_.has_recursion, 0
	.set _ZN2at6native12_GLOBAL__N_145unrolled_elementwise_kernel_for_multi_outputsILi2EZZZNS0_21prelu_backward_kernelERNS_14TensorIteratorEENKUlvE_clEvENKUlvE_clEvEUldddE_St5arrayIPcLm5EE16OffsetCalculatorILi3EjLb0EESB_ILi2EjLb0EEEEviT0_T1_T2_T3_.has_indirect_call, 0
	.section	.AMDGPU.csdata,"",@progbits
; Kernel info:
; codeLenInByte = 8220
; TotalNumSgprs: 78
; NumVgprs: 66
; ScratchSize: 768
; MemoryBound: 0
; FloatMode: 240
; IeeeMode: 1
; LDSByteSize: 0 bytes/workgroup (compile time only)
; SGPRBlocks: 0
; VGPRBlocks: 4
; NumSGPRsForWavesPerEU: 78
; NumVGPRsForWavesPerEU: 66
; NamedBarCnt: 0
; Occupancy: 12
; WaveLimiterHint : 1
; COMPUTE_PGM_RSRC2:SCRATCH_EN: 1
; COMPUTE_PGM_RSRC2:USER_SGPR: 2
; COMPUTE_PGM_RSRC2:TRAP_HANDLER: 0
; COMPUTE_PGM_RSRC2:TGID_X_EN: 1
; COMPUTE_PGM_RSRC2:TGID_Y_EN: 0
; COMPUTE_PGM_RSRC2:TGID_Z_EN: 0
; COMPUTE_PGM_RSRC2:TIDIG_COMP_CNT: 0
	.section	.text._ZN2at6native12_GLOBAL__N_145unrolled_elementwise_kernel_for_multi_outputsILi2EZZZNS0_21prelu_backward_kernelERNS_14TensorIteratorEENKUlvE_clEvENKUlvE0_clEvEUlfffE_St5arrayIPcLm5EE23TrivialOffsetCalculatorILi3EjESB_ILi2EjEEEviT0_T1_T2_T3_,"axG",@progbits,_ZN2at6native12_GLOBAL__N_145unrolled_elementwise_kernel_for_multi_outputsILi2EZZZNS0_21prelu_backward_kernelERNS_14TensorIteratorEENKUlvE_clEvENKUlvE0_clEvEUlfffE_St5arrayIPcLm5EE23TrivialOffsetCalculatorILi3EjESB_ILi2EjEEEviT0_T1_T2_T3_,comdat
	.globl	_ZN2at6native12_GLOBAL__N_145unrolled_elementwise_kernel_for_multi_outputsILi2EZZZNS0_21prelu_backward_kernelERNS_14TensorIteratorEENKUlvE_clEvENKUlvE0_clEvEUlfffE_St5arrayIPcLm5EE23TrivialOffsetCalculatorILi3EjESB_ILi2EjEEEviT0_T1_T2_T3_ ; -- Begin function _ZN2at6native12_GLOBAL__N_145unrolled_elementwise_kernel_for_multi_outputsILi2EZZZNS0_21prelu_backward_kernelERNS_14TensorIteratorEENKUlvE_clEvENKUlvE0_clEvEUlfffE_St5arrayIPcLm5EE23TrivialOffsetCalculatorILi3EjESB_ILi2EjEEEviT0_T1_T2_T3_
	.p2align	8
	.type	_ZN2at6native12_GLOBAL__N_145unrolled_elementwise_kernel_for_multi_outputsILi2EZZZNS0_21prelu_backward_kernelERNS_14TensorIteratorEENKUlvE_clEvENKUlvE0_clEvEUlfffE_St5arrayIPcLm5EE23TrivialOffsetCalculatorILi3EjESB_ILi2EjEEEviT0_T1_T2_T3_,@function
_ZN2at6native12_GLOBAL__N_145unrolled_elementwise_kernel_for_multi_outputsILi2EZZZNS0_21prelu_backward_kernelERNS_14TensorIteratorEENKUlvE_clEvENKUlvE0_clEvEUlfffE_St5arrayIPcLm5EE23TrivialOffsetCalculatorILi3EjESB_ILi2EjEEEviT0_T1_T2_T3_: ; @_ZN2at6native12_GLOBAL__N_145unrolled_elementwise_kernel_for_multi_outputsILi2EZZZNS0_21prelu_backward_kernelERNS_14TensorIteratorEENKUlvE_clEvENKUlvE0_clEvEUlfffE_St5arrayIPcLm5EE23TrivialOffsetCalculatorILi3EjESB_ILi2EjEEEviT0_T1_T2_T3_
; %bb.0:
	s_load_b32 s12, s[0:1], 0x0
	s_bfe_u32 s13, ttmp6, 0x4000c
	s_clause 0x1
	s_load_b256 s[4:11], s[0:1], 0x8
	s_load_b64 s[2:3], s[0:1], 0x28
	s_add_co_i32 s13, s13, 1
	s_wait_xcnt 0x0
	s_and_b32 s0, ttmp6, 15
	s_mul_i32 s1, ttmp9, s13
	s_getreg_b32 s13, hwreg(HW_REG_IB_STS2, 6, 4)
	s_add_co_i32 s0, s0, s1
	s_cmp_eq_u32 s13, 0
	v_or_b32_e32 v1, 0x100, v0
	s_cselect_b32 s0, ttmp9, s0
	s_delay_alu instid0(SALU_CYCLE_1) | instskip(SKIP_2) | instid1(SALU_CYCLE_1)
	s_lshl_b32 s1, s0, 10
	s_wait_kmcnt 0x0
	s_sub_co_i32 s12, s12, s1
	v_cmp_le_i32_e64 s0, s12, v0
	v_cmp_gt_i32_e32 vcc_lo, s12, v0
	s_and_saveexec_b32 s13, s0
	s_delay_alu instid0(SALU_CYCLE_1)
	s_xor_b32 s0, exec_lo, s13
; %bb.1:
	v_or_b32_e32 v1, 0x100, v0
; %bb.2:
	s_or_saveexec_b32 s13, s0
	v_dual_mov_b32 v3, 0 :: v_dual_bitop2_b32 v5, s1, v0 bitop3:0x54
	v_dual_mov_b32 v6, 0 :: v_dual_mov_b32 v2, 0
	v_dual_mov_b32 v7, 0 :: v_dual_mov_b32 v8, 0
	;; [unrolled: 1-line block ×5, first 2 shown]
	v_mov_b32_e32 v13, 0
	s_xor_b32 exec_lo, exec_lo, s13
	s_cbranch_execz .LBB59_10
; %bb.3:
	s_clause 0x2
	global_load_b32 v12, v5, s[8:9] scale_offset
	global_load_b32 v14, v5, s[10:11] scale_offset
	;; [unrolled: 1-line block ×3, first 2 shown]
	v_dual_mov_b32 v9, 0 :: v_dual_mov_b32 v11, 0
	v_dual_mov_b32 v10, 0 :: v_dual_mov_b32 v4, 0
	;; [unrolled: 1-line block ×4, first 2 shown]
	v_mov_b32_e32 v3, 0
	s_mov_b32 s14, exec_lo
	s_wait_xcnt 0x0
	v_cmpx_gt_u32_e64 s12, v1
	s_cbranch_execz .LBB59_9
; %bb.4:
	v_dual_add_nc_u32 v2, s1, v1 :: v_dual_mov_b32 v4, 0
	v_or_b32_e32 v15, 0x200, v0
	v_dual_mov_b32 v8, 0 :: v_dual_mov_b32 v7, 0
	s_clause 0x2
	global_load_b32 v10, v2, s[8:9] scale_offset
	global_load_b32 v11, v2, s[10:11] scale_offset
	;; [unrolled: 1-line block ×3, first 2 shown]
	s_wait_xcnt 0x0
	v_dual_mov_b32 v2, 0 :: v_dual_mov_b32 v6, 0
	v_mov_b32_e32 v3, 0
	s_mov_b32 s15, exec_lo
	v_cmpx_gt_u32_e64 s12, v15
	s_cbranch_execz .LBB59_8
; %bb.5:
	v_dual_add_nc_u32 v2, s1, v15 :: v_dual_mov_b32 v6, 0
	v_or_b32_e32 v15, 0x300, v0
	s_mov_b32 s16, exec_lo
	s_clause 0x2
	global_load_b32 v7, v2, s[8:9] scale_offset
	global_load_b32 v8, v2, s[10:11] scale_offset
	;; [unrolled: 1-line block ×3, first 2 shown]
	s_wait_xcnt 0x0
	v_dual_mov_b32 v2, 0 :: v_dual_mov_b32 v3, 0
	v_cmpx_gt_u32_e64 s12, v15
	s_cbranch_execz .LBB59_7
; %bb.6:
	v_add_nc_u32_e32 v15, s1, v15
	s_clause 0x2
	global_load_b32 v3, v15, s[8:9] scale_offset
	global_load_b32 v6, v15, s[10:11] scale_offset
	;; [unrolled: 1-line block ×3, first 2 shown]
.LBB59_7:
	s_wait_xcnt 0x0
	s_or_b32 exec_lo, exec_lo, s16
.LBB59_8:
	s_delay_alu instid0(SALU_CYCLE_1)
	s_or_b32 exec_lo, exec_lo, s15
.LBB59_9:
	s_delay_alu instid0(SALU_CYCLE_1)
	s_or_b32 exec_lo, exec_lo, s14
.LBB59_10:
	s_delay_alu instid0(SALU_CYCLE_1)
	s_or_b32 exec_lo, exec_lo, s13
	s_and_saveexec_b32 s0, vcc_lo
	s_cbranch_execz .LBB59_15
; %bb.11:
	s_wait_loadcnt 0x0
	v_dual_mul_f32 v14, v14, v13 :: v_dual_mul_f32 v15, v12, v13
	v_cmp_lt_f32_e32 vcc_lo, 0, v12
	s_delay_alu instid0(VALU_DEP_2) | instskip(NEXT) | instid1(VALU_DEP_3)
	v_cndmask_b32_e32 v12, v14, v13, vcc_lo
	v_cndmask_b32_e64 v13, v15, 0, vcc_lo
	v_cmp_gt_i32_e32 vcc_lo, s12, v1
	s_clause 0x1
	global_store_b32 v5, v12, s[4:5] scale_offset
	global_store_b32 v5, v13, s[6:7] scale_offset
	s_wait_xcnt 0x0
	s_and_b32 exec_lo, exec_lo, vcc_lo
	s_cbranch_execz .LBB59_15
; %bb.12:
	v_mul_f32_e32 v11, v11, v9
	v_cmp_lt_f32_e32 vcc_lo, 0, v10
	v_mul_f32_e32 v10, v10, v9
	v_or_b32_e32 v5, 0x200, v0
	v_add_nc_u32_e32 v1, s1, v1
	v_cndmask_b32_e32 v9, v11, v9, vcc_lo
	s_delay_alu instid0(VALU_DEP_4) | instskip(NEXT) | instid1(VALU_DEP_4)
	v_cndmask_b32_e64 v10, v10, 0, vcc_lo
	v_cmp_gt_i32_e32 vcc_lo, s12, v5
	s_clause 0x1
	global_store_b32 v1, v9, s[4:5] scale_offset
	global_store_b32 v1, v10, s[6:7] scale_offset
	s_wait_xcnt 0x0
	s_and_b32 exec_lo, exec_lo, vcc_lo
	s_cbranch_execz .LBB59_15
; %bb.13:
	v_mul_f32_e32 v1, v8, v4
	v_cmp_lt_f32_e32 vcc_lo, 0, v7
	v_mul_f32_e32 v7, v7, v4
	v_or_b32_e32 v0, 0x300, v0
	s_delay_alu instid0(VALU_DEP_4) | instskip(NEXT) | instid1(VALU_DEP_3)
	v_dual_add_nc_u32 v5, s1, v5 :: v_dual_cndmask_b32 v1, v1, v4, vcc_lo
	v_cndmask_b32_e64 v4, v7, 0, vcc_lo
	s_delay_alu instid0(VALU_DEP_3)
	v_cmp_gt_i32_e32 vcc_lo, s12, v0
	s_clause 0x1
	global_store_b32 v5, v1, s[4:5] scale_offset
	global_store_b32 v5, v4, s[6:7] scale_offset
	s_wait_xcnt 0x0
	s_and_b32 exec_lo, exec_lo, vcc_lo
	s_cbranch_execz .LBB59_15
; %bb.14:
	v_mul_f32_e32 v1, v6, v2
	v_cmp_lt_f32_e32 vcc_lo, 0, v3
	v_dual_mul_f32 v3, v3, v2 :: v_dual_add_nc_u32 v0, s1, v0
	s_delay_alu instid0(VALU_DEP_3) | instskip(NEXT) | instid1(VALU_DEP_2)
	v_cndmask_b32_e32 v1, v1, v2, vcc_lo
	v_cndmask_b32_e64 v2, v3, 0, vcc_lo
	s_clause 0x1
	global_store_b32 v0, v1, s[4:5] scale_offset
	global_store_b32 v0, v2, s[6:7] scale_offset
.LBB59_15:
	s_endpgm
	.section	.rodata,"a",@progbits
	.p2align	6, 0x0
	.amdhsa_kernel _ZN2at6native12_GLOBAL__N_145unrolled_elementwise_kernel_for_multi_outputsILi2EZZZNS0_21prelu_backward_kernelERNS_14TensorIteratorEENKUlvE_clEvENKUlvE0_clEvEUlfffE_St5arrayIPcLm5EE23TrivialOffsetCalculatorILi3EjESB_ILi2EjEEEviT0_T1_T2_T3_
		.amdhsa_group_segment_fixed_size 0
		.amdhsa_private_segment_fixed_size 0
		.amdhsa_kernarg_size 52
		.amdhsa_user_sgpr_count 2
		.amdhsa_user_sgpr_dispatch_ptr 0
		.amdhsa_user_sgpr_queue_ptr 0
		.amdhsa_user_sgpr_kernarg_segment_ptr 1
		.amdhsa_user_sgpr_dispatch_id 0
		.amdhsa_user_sgpr_kernarg_preload_length 0
		.amdhsa_user_sgpr_kernarg_preload_offset 0
		.amdhsa_user_sgpr_private_segment_size 0
		.amdhsa_wavefront_size32 1
		.amdhsa_uses_dynamic_stack 0
		.amdhsa_enable_private_segment 0
		.amdhsa_system_sgpr_workgroup_id_x 1
		.amdhsa_system_sgpr_workgroup_id_y 0
		.amdhsa_system_sgpr_workgroup_id_z 0
		.amdhsa_system_sgpr_workgroup_info 0
		.amdhsa_system_vgpr_workitem_id 0
		.amdhsa_next_free_vgpr 16
		.amdhsa_next_free_sgpr 17
		.amdhsa_named_barrier_count 0
		.amdhsa_reserve_vcc 1
		.amdhsa_float_round_mode_32 0
		.amdhsa_float_round_mode_16_64 0
		.amdhsa_float_denorm_mode_32 3
		.amdhsa_float_denorm_mode_16_64 3
		.amdhsa_fp16_overflow 0
		.amdhsa_memory_ordered 1
		.amdhsa_forward_progress 1
		.amdhsa_inst_pref_size 8
		.amdhsa_round_robin_scheduling 0
		.amdhsa_exception_fp_ieee_invalid_op 0
		.amdhsa_exception_fp_denorm_src 0
		.amdhsa_exception_fp_ieee_div_zero 0
		.amdhsa_exception_fp_ieee_overflow 0
		.amdhsa_exception_fp_ieee_underflow 0
		.amdhsa_exception_fp_ieee_inexact 0
		.amdhsa_exception_int_div_zero 0
	.end_amdhsa_kernel
	.section	.text._ZN2at6native12_GLOBAL__N_145unrolled_elementwise_kernel_for_multi_outputsILi2EZZZNS0_21prelu_backward_kernelERNS_14TensorIteratorEENKUlvE_clEvENKUlvE0_clEvEUlfffE_St5arrayIPcLm5EE23TrivialOffsetCalculatorILi3EjESB_ILi2EjEEEviT0_T1_T2_T3_,"axG",@progbits,_ZN2at6native12_GLOBAL__N_145unrolled_elementwise_kernel_for_multi_outputsILi2EZZZNS0_21prelu_backward_kernelERNS_14TensorIteratorEENKUlvE_clEvENKUlvE0_clEvEUlfffE_St5arrayIPcLm5EE23TrivialOffsetCalculatorILi3EjESB_ILi2EjEEEviT0_T1_T2_T3_,comdat
.Lfunc_end59:
	.size	_ZN2at6native12_GLOBAL__N_145unrolled_elementwise_kernel_for_multi_outputsILi2EZZZNS0_21prelu_backward_kernelERNS_14TensorIteratorEENKUlvE_clEvENKUlvE0_clEvEUlfffE_St5arrayIPcLm5EE23TrivialOffsetCalculatorILi3EjESB_ILi2EjEEEviT0_T1_T2_T3_, .Lfunc_end59-_ZN2at6native12_GLOBAL__N_145unrolled_elementwise_kernel_for_multi_outputsILi2EZZZNS0_21prelu_backward_kernelERNS_14TensorIteratorEENKUlvE_clEvENKUlvE0_clEvEUlfffE_St5arrayIPcLm5EE23TrivialOffsetCalculatorILi3EjESB_ILi2EjEEEviT0_T1_T2_T3_
                                        ; -- End function
	.set _ZN2at6native12_GLOBAL__N_145unrolled_elementwise_kernel_for_multi_outputsILi2EZZZNS0_21prelu_backward_kernelERNS_14TensorIteratorEENKUlvE_clEvENKUlvE0_clEvEUlfffE_St5arrayIPcLm5EE23TrivialOffsetCalculatorILi3EjESB_ILi2EjEEEviT0_T1_T2_T3_.num_vgpr, 16
	.set _ZN2at6native12_GLOBAL__N_145unrolled_elementwise_kernel_for_multi_outputsILi2EZZZNS0_21prelu_backward_kernelERNS_14TensorIteratorEENKUlvE_clEvENKUlvE0_clEvEUlfffE_St5arrayIPcLm5EE23TrivialOffsetCalculatorILi3EjESB_ILi2EjEEEviT0_T1_T2_T3_.num_agpr, 0
	.set _ZN2at6native12_GLOBAL__N_145unrolled_elementwise_kernel_for_multi_outputsILi2EZZZNS0_21prelu_backward_kernelERNS_14TensorIteratorEENKUlvE_clEvENKUlvE0_clEvEUlfffE_St5arrayIPcLm5EE23TrivialOffsetCalculatorILi3EjESB_ILi2EjEEEviT0_T1_T2_T3_.numbered_sgpr, 17
	.set _ZN2at6native12_GLOBAL__N_145unrolled_elementwise_kernel_for_multi_outputsILi2EZZZNS0_21prelu_backward_kernelERNS_14TensorIteratorEENKUlvE_clEvENKUlvE0_clEvEUlfffE_St5arrayIPcLm5EE23TrivialOffsetCalculatorILi3EjESB_ILi2EjEEEviT0_T1_T2_T3_.num_named_barrier, 0
	.set _ZN2at6native12_GLOBAL__N_145unrolled_elementwise_kernel_for_multi_outputsILi2EZZZNS0_21prelu_backward_kernelERNS_14TensorIteratorEENKUlvE_clEvENKUlvE0_clEvEUlfffE_St5arrayIPcLm5EE23TrivialOffsetCalculatorILi3EjESB_ILi2EjEEEviT0_T1_T2_T3_.private_seg_size, 0
	.set _ZN2at6native12_GLOBAL__N_145unrolled_elementwise_kernel_for_multi_outputsILi2EZZZNS0_21prelu_backward_kernelERNS_14TensorIteratorEENKUlvE_clEvENKUlvE0_clEvEUlfffE_St5arrayIPcLm5EE23TrivialOffsetCalculatorILi3EjESB_ILi2EjEEEviT0_T1_T2_T3_.uses_vcc, 1
	.set _ZN2at6native12_GLOBAL__N_145unrolled_elementwise_kernel_for_multi_outputsILi2EZZZNS0_21prelu_backward_kernelERNS_14TensorIteratorEENKUlvE_clEvENKUlvE0_clEvEUlfffE_St5arrayIPcLm5EE23TrivialOffsetCalculatorILi3EjESB_ILi2EjEEEviT0_T1_T2_T3_.uses_flat_scratch, 0
	.set _ZN2at6native12_GLOBAL__N_145unrolled_elementwise_kernel_for_multi_outputsILi2EZZZNS0_21prelu_backward_kernelERNS_14TensorIteratorEENKUlvE_clEvENKUlvE0_clEvEUlfffE_St5arrayIPcLm5EE23TrivialOffsetCalculatorILi3EjESB_ILi2EjEEEviT0_T1_T2_T3_.has_dyn_sized_stack, 0
	.set _ZN2at6native12_GLOBAL__N_145unrolled_elementwise_kernel_for_multi_outputsILi2EZZZNS0_21prelu_backward_kernelERNS_14TensorIteratorEENKUlvE_clEvENKUlvE0_clEvEUlfffE_St5arrayIPcLm5EE23TrivialOffsetCalculatorILi3EjESB_ILi2EjEEEviT0_T1_T2_T3_.has_recursion, 0
	.set _ZN2at6native12_GLOBAL__N_145unrolled_elementwise_kernel_for_multi_outputsILi2EZZZNS0_21prelu_backward_kernelERNS_14TensorIteratorEENKUlvE_clEvENKUlvE0_clEvEUlfffE_St5arrayIPcLm5EE23TrivialOffsetCalculatorILi3EjESB_ILi2EjEEEviT0_T1_T2_T3_.has_indirect_call, 0
	.section	.AMDGPU.csdata,"",@progbits
; Kernel info:
; codeLenInByte = 908
; TotalNumSgprs: 19
; NumVgprs: 16
; ScratchSize: 0
; MemoryBound: 0
; FloatMode: 240
; IeeeMode: 1
; LDSByteSize: 0 bytes/workgroup (compile time only)
; SGPRBlocks: 0
; VGPRBlocks: 0
; NumSGPRsForWavesPerEU: 19
; NumVGPRsForWavesPerEU: 16
; NamedBarCnt: 0
; Occupancy: 16
; WaveLimiterHint : 0
; COMPUTE_PGM_RSRC2:SCRATCH_EN: 0
; COMPUTE_PGM_RSRC2:USER_SGPR: 2
; COMPUTE_PGM_RSRC2:TRAP_HANDLER: 0
; COMPUTE_PGM_RSRC2:TGID_X_EN: 1
; COMPUTE_PGM_RSRC2:TGID_Y_EN: 0
; COMPUTE_PGM_RSRC2:TGID_Z_EN: 0
; COMPUTE_PGM_RSRC2:TIDIG_COMP_CNT: 0
	.section	.text._ZN2at6native12_GLOBAL__N_145unrolled_elementwise_kernel_for_multi_outputsILi2EZZZNS0_21prelu_backward_kernelERNS_14TensorIteratorEENKUlvE_clEvENKUlvE0_clEvEUlfffE_St5arrayIPcLm5EE16OffsetCalculatorILi3EjLb0EESB_ILi2EjLb0EEEEviT0_T1_T2_T3_,"axG",@progbits,_ZN2at6native12_GLOBAL__N_145unrolled_elementwise_kernel_for_multi_outputsILi2EZZZNS0_21prelu_backward_kernelERNS_14TensorIteratorEENKUlvE_clEvENKUlvE0_clEvEUlfffE_St5arrayIPcLm5EE16OffsetCalculatorILi3EjLb0EESB_ILi2EjLb0EEEEviT0_T1_T2_T3_,comdat
	.globl	_ZN2at6native12_GLOBAL__N_145unrolled_elementwise_kernel_for_multi_outputsILi2EZZZNS0_21prelu_backward_kernelERNS_14TensorIteratorEENKUlvE_clEvENKUlvE0_clEvEUlfffE_St5arrayIPcLm5EE16OffsetCalculatorILi3EjLb0EESB_ILi2EjLb0EEEEviT0_T1_T2_T3_ ; -- Begin function _ZN2at6native12_GLOBAL__N_145unrolled_elementwise_kernel_for_multi_outputsILi2EZZZNS0_21prelu_backward_kernelERNS_14TensorIteratorEENKUlvE_clEvENKUlvE0_clEvEUlfffE_St5arrayIPcLm5EE16OffsetCalculatorILi3EjLb0EESB_ILi2EjLb0EEEEviT0_T1_T2_T3_
	.p2align	8
	.type	_ZN2at6native12_GLOBAL__N_145unrolled_elementwise_kernel_for_multi_outputsILi2EZZZNS0_21prelu_backward_kernelERNS_14TensorIteratorEENKUlvE_clEvENKUlvE0_clEvEUlfffE_St5arrayIPcLm5EE16OffsetCalculatorILi3EjLb0EESB_ILi2EjLb0EEEEviT0_T1_T2_T3_,@function
_ZN2at6native12_GLOBAL__N_145unrolled_elementwise_kernel_for_multi_outputsILi2EZZZNS0_21prelu_backward_kernelERNS_14TensorIteratorEENKUlvE_clEvENKUlvE0_clEvEUlfffE_St5arrayIPcLm5EE16OffsetCalculatorILi3EjLb0EESB_ILi2EjLb0EEEEviT0_T1_T2_T3_: ; @_ZN2at6native12_GLOBAL__N_145unrolled_elementwise_kernel_for_multi_outputsILi2EZZZNS0_21prelu_backward_kernelERNS_14TensorIteratorEENKUlvE_clEvENKUlvE0_clEvEUlfffE_St5arrayIPcLm5EE16OffsetCalculatorILi3EjLb0EESB_ILi2EjLb0EEEEviT0_T1_T2_T3_
; %bb.0:
	s_clause 0x6
	s_load_b256 s[12:19], s[0:1], 0x1f4
	s_load_b256 s[20:27], s[0:1], 0x214
	s_load_b32 s2, s[0:1], 0x0
	s_load_b256 s[36:43], s[0:1], 0x234
	s_load_b256 s[52:59], s[0:1], 0x254
	;; [unrolled: 1-line block ×4, first 2 shown]
	s_bfe_u32 s28, ttmp6, 0x4000c
	s_load_b256 s[76:83], s[0:1], 0x2b4
	s_add_co_i32 s28, s28, 1
	s_load_b256 s[44:51], s[0:1], 0x2d4
	s_and_b32 s3, ttmp6, 15
	s_mul_i32 s28, ttmp9, s28
	s_getreg_b32 s29, hwreg(HW_REG_IB_STS2, 6, 4)
	s_add_co_i32 s3, s3, s28
	s_cmp_eq_u32 s29, 0
	s_load_b256 s[4:11], s[0:1], 0x8
	s_cselect_b32 s3, ttmp9, s3
	s_load_b64 s[34:35], s[0:1], 0x28
	s_lshl_b32 s3, s3, 10
	s_wait_kmcnt 0x0
	v_mov_b64_e32 v[2:3], s[16:17]
	v_mov_b64_e32 v[4:5], s[18:19]
	v_mov_b64_e32 v[6:7], s[20:21]
	v_mov_b64_e32 v[10:11], s[24:25]
	v_mov_b64_e32 v[8:9], s[22:23]
	v_mov_b64_e32 v[12:13], s[26:27]
	v_mov_b64_e32 v[14:15], s[36:37]
	v_mov_b64_e32 v[16:17], s[38:39]
	s_clause 0x1
	scratch_store_b128 off, v[2:5], off offset:512
	scratch_store_b128 off, v[6:9], off offset:528
	s_wait_xcnt 0x1
	v_mov_b64_e32 v[2:3], s[40:41]
	s_clause 0x1
	scratch_store_b128 off, v[10:13], off offset:544
	scratch_store_b128 off, v[14:17], off offset:560
	v_mov_b64_e32 v[4:5], s[42:43]
	s_wait_xcnt 0x2
	v_mov_b64_e32 v[6:7], s[52:53]
	s_sub_co_i32 s33, s2, s3
	v_mov_b64_e32 v[8:9], s[54:55]
	s_wait_xcnt 0x1
	v_mov_b64_e32 v[10:11], s[56:57]
	s_clause 0x2
	s_load_b32 s2, s[0:1], 0x2f4
	s_load_b256 s[36:43], s[0:1], 0x1b4
	s_load_b256 s[24:31], s[0:1], 0x1d4
	v_mov_b64_e32 v[12:13], s[58:59]
	v_mov_b64_e32 v[14:15], s[60:61]
	;; [unrolled: 1-line block ×7, first 2 shown]
	s_clause 0x5
	scratch_store_b128 off, v[2:5], off offset:576
	scratch_store_b128 off, v[6:9], off offset:592
	;; [unrolled: 1-line block ×6, first 2 shown]
	s_wait_xcnt 0x5
	v_mov_b64_e32 v[2:3], s[72:73]
	v_mov_b64_e32 v[4:5], s[74:75]
	s_wait_xcnt 0x4
	v_mov_b64_e32 v[6:7], s[76:77]
	s_load_b256 s[52:59], s[0:1], 0xd0
	v_mov_b64_e32 v[8:9], s[78:79]
	v_mov_b64_e32 v[10:11], s[80:81]
	;; [unrolled: 1-line block ×5, first 2 shown]
	s_clause 0x3
	scratch_store_b128 off, v[2:5], off offset:672
	scratch_store_b128 off, v[6:9], off offset:688
	;; [unrolled: 1-line block ×4, first 2 shown]
	s_wait_xcnt 0x3
	v_mov_b64_e32 v[2:3], s[48:49]
	v_mov_b64_e32 v[4:5], s[50:51]
	s_load_b256 s[44:51], s[0:1], 0xf0
	s_wait_kmcnt 0x0
	v_mov_b64_e32 v[6:7], s[40:41]
	v_mov_b64_e32 v[8:9], s[42:43]
	;; [unrolled: 1-line block ×4, first 2 shown]
	s_load_b256 s[60:67], s[0:1], 0x110
	v_mov_b32_e32 v1, s2
	s_clause 0x3
	scratch_store_b128 off, v[2:5], off offset:736
	scratch_store_b32 off, v1, off offset:752
	scratch_store_b128 off, v[6:9], off offset:448
	scratch_store_b128 off, v[10:13], off offset:464
	s_wait_xcnt 0x1
	v_mov_b64_e32 v[6:7], s[28:29]
	v_mov_b64_e32 v[14:15], s[52:53]
	s_load_b256 s[16:23], s[0:1], 0xb0
	v_mov_b64_e32 v[8:9], s[30:31]
	v_mov_b64_e32 v[10:11], s[12:13]
	s_load_b256 s[24:31], s[0:1], 0x130
	v_mov_b64_e32 v[16:17], s[54:55]
	v_mov_b64_e32 v[18:19], s[56:57]
	;; [unrolled: 1-line block ×6, first 2 shown]
	s_load_b256 s[36:43], s[0:1], 0x150
	s_clause 0x3
	scratch_store_b128 off, v[6:9], off offset:480
	scratch_store_b128 off, v[10:13], off offset:496
	;; [unrolled: 1-line block ×4, first 2 shown]
	s_wait_xcnt 0x2
	v_mov_b64_e32 v[10:11], s[44:45]
	s_wait_xcnt 0x1
	v_mov_b64_e32 v[14:15], s[48:49]
	v_mov_b64_e32 v[12:13], s[46:47]
	;; [unrolled: 1-line block ×3, first 2 shown]
	s_load_b256 s[44:51], s[0:1], 0x170
	s_wait_kmcnt 0x0
	v_mov_b64_e32 v[18:19], s[60:61]
	v_mov_b64_e32 v[20:21], s[62:63]
	s_load_b256 s[52:59], s[0:1], 0x190
	v_mov_b64_e32 v[22:23], s[64:65]
	v_mov_b64_e32 v[24:25], s[66:67]
	;; [unrolled: 1-line block ×3, first 2 shown]
	s_clause 0x3
	scratch_store_b128 off, v[10:13], off offset:236
	scratch_store_b128 off, v[14:17], off offset:252
	;; [unrolled: 1-line block ×4, first 2 shown]
	s_wait_xcnt 0x3
	v_mov_b64_e32 v[10:11], s[24:25]
	v_mov_b64_e32 v[8:9], s[22:23]
	s_load_b32 s2, s[0:1], 0x1b0
	v_mov_b64_e32 v[12:13], s[26:27]
	v_mov_b64_e32 v[14:15], s[28:29]
	s_load_b256 s[20:27], s[0:1], 0x30
	v_mov_b64_e32 v[16:17], s[30:31]
	v_mov_b64_e32 v[18:19], s[36:37]
	;; [unrolled: 1-line block ×5, first 2 shown]
	s_clause 0x1
	s_load_b256 s[36:43], s[0:1], 0x50
	s_load_b256 s[60:67], s[0:1], 0x70
	s_clause 0x3
	scratch_store_b128 off, v[10:13], off offset:300
	scratch_store_b128 off, v[14:17], off offset:316
	;; [unrolled: 1-line block ×4, first 2 shown]
	s_wait_xcnt 0x3
	v_mov_b64_e32 v[10:11], s[44:45]
	s_wait_xcnt 0x2
	v_mov_b64_e32 v[14:15], s[48:49]
	v_mov_b64_e32 v[12:13], s[46:47]
	;; [unrolled: 1-line block ×3, first 2 shown]
	s_load_b256 s[44:51], s[0:1], 0x90
	s_wait_kmcnt 0x0
	v_mov_b64_e32 v[18:19], s[52:53]
	v_mov_b64_e32 v[20:21], s[54:55]
	;; [unrolled: 1-line block ×4, first 2 shown]
	v_mov_b32_e32 v1, s2
	s_clause 0x5
	scratch_store_b128 off, v[10:13], off offset:364
	scratch_store_b128 off, v[14:17], off offset:380
	scratch_store_b128 off, v[18:21], off offset:396
	scratch_store_b128 off, v[22:25], off offset:412
	scratch_store_b128 off, v[2:5], off offset:432
	scratch_store_b32 off, v1, off offset:428
	s_wait_xcnt 0x1
	v_mov_b64_e32 v[2:3], s[20:21]
	v_mov_b64_e32 v[4:5], s[22:23]
	;; [unrolled: 1-line block ×12, first 2 shown]
	s_clause 0x5
	scratch_store_b128 off, v[2:5], off offset:44
	scratch_store_b128 off, v[10:13], off offset:60
	;; [unrolled: 1-line block ×6, first 2 shown]
	s_wait_xcnt 0x5
	v_mov_b64_e32 v[2:3], s[44:45]
	v_mov_b64_e32 v[4:5], s[46:47]
	s_wait_xcnt 0x4
	v_mov_b64_e32 v[10:11], s[48:49]
	v_mov_b64_e32 v[12:13], s[50:51]
	s_wait_xcnt 0x3
	v_mov_b64_e32 v[14:15], s[16:17]
	v_cmp_le_i32_e64 s0, s33, v0
	v_or_b32_e32 v1, 0x100, v0
	v_mov_b64_e32 v[16:17], s[18:19]
	v_cmp_gt_i32_e32 vcc_lo, s33, v0
	s_clause 0x3
	scratch_store_b128 off, v[2:5], off offset:140
	scratch_store_b128 off, v[10:13], off offset:156
	;; [unrolled: 1-line block ×4, first 2 shown]
	s_wait_xcnt 0x0
	s_and_saveexec_b32 s1, s0
	s_delay_alu instid0(SALU_CYCLE_1)
	s_xor_b32 s0, exec_lo, s1
; %bb.1:
	v_or_b32_e32 v1, 0x100, v0
; %bb.2:
	s_or_saveexec_b32 s12, s0
	v_dual_mov_b32 v32, 0 :: v_dual_bitop2_b32 v14, s3, v0 bitop3:0x54
	v_dual_mov_b32 v34, 0 :: v_dual_mov_b32 v33, 0
	v_dual_mov_b32 v29, 0 :: v_dual_mov_b32 v31, 0
	;; [unrolled: 1-line block ×5, first 2 shown]
	v_mov_b32_e32 v25, 0
	s_xor_b32 exec_lo, exec_lo, s12
	s_cbranch_execz .LBB60_58
; %bb.3:
	s_clause 0x3
	scratch_load_b128 v[6:9], off, off offset:44
	scratch_load_b96 v[10:12], off, off offset:60
	scratch_load_b128 v[2:5], off, off offset:240
	scratch_load_b64 v[16:17], off, off offset:256
	v_dual_mov_b32 v21, 0 :: v_dual_bitop2_b32 v22, s3, v0 bitop3:0x54
                                        ; implicit-def: $vgpr15
	s_wait_loadcnt 0x3
	v_sub_co_u32 v13, s2, v6, 1
	v_cmp_lt_u32_e64 s0, 1, v6
	s_wait_loadcnt 0x2
	v_mov_b32_e32 v18, v11
	s_xor_b32 s14, s2, -1
	v_cmp_lt_u32_e64 s1, 1, v13
	v_min_u32_e32 v6, 15, v13
                                        ; implicit-def: $vgpr11
                                        ; implicit-def: $vgpr13
	s_wait_xcnt 0x0
	s_and_saveexec_b32 s2, s1
	s_delay_alu instid0(SALU_CYCLE_1)
	s_xor_b32 s13, exec_lo, s2
	s_cbranch_execz .LBB60_11
; %bb.4:
	v_dual_mov_b32 v11, 0 :: v_dual_mov_b32 v15, 0
	v_mov_b32_e32 v13, 0
	s_and_saveexec_b32 s15, s14
	s_cbranch_execz .LBB60_10
; %bb.5:
	v_dual_add_nc_u32 v11, 1, v6 :: v_dual_mov_b32 v13, 0
	v_mov_b32_e32 v15, 0
	s_sub_co_i32 s17, 0, 24
	s_mov_b32 s16, 0
	s_delay_alu instid0(VALU_DEP_2)
	v_dual_mov_b32 v11, 0 :: v_dual_bitop2_b32 v19, 30, v11 bitop3:0x40
.LBB60_6:                               ; =>This Inner Loop Header: Depth=1
	s_clause 0x3
	scratch_load_b128 v[24:27], off, s17 offset:72
	scratch_load_b64 v[32:33], off, s17 offset:88
	scratch_load_b128 v[28:31], off, s17 offset:264
	scratch_load_b64 v[34:35], off, s17 offset:280
	s_wait_xcnt 0x0
	s_add_co_i32 s17, s17, 24
	v_add_nc_u32_e32 v19, -2, v19
	s_delay_alu instid0(VALU_DEP_1) | instskip(SKIP_3) | instid1(VALU_DEP_1)
	v_cmp_eq_u32_e64 s2, 0, v19
	s_or_b32 s16, s2, s16
	s_wait_loadcnt 0x3
	v_mul_hi_u32 v20, v25, v22
	v_add_nc_u32_e32 v20, v22, v20
	s_delay_alu instid0(VALU_DEP_1) | instskip(SKIP_1) | instid1(VALU_DEP_1)
	v_lshrrev_b32_e32 v20, v26, v20
	s_wait_loadcnt 0x2
	v_mul_hi_u32 v23, v32, v20
	v_mul_lo_u32 v24, v20, v24
	s_delay_alu instid0(VALU_DEP_1) | instskip(NEXT) | instid1(VALU_DEP_1)
	v_dual_add_nc_u32 v23, v20, v23 :: v_dual_sub_nc_u32 v24, v22, v24
	v_lshrrev_b32_e32 v22, v33, v23
	s_wait_loadcnt 0x1
	s_delay_alu instid0(VALU_DEP_2) | instskip(SKIP_3) | instid1(VALU_DEP_1)
	v_mad_u32 v13, v24, v28, v13
	v_mad_u32 v11, v24, v30, v11
	;; [unrolled: 1-line block ×3, first 2 shown]
	v_mul_lo_u32 v23, v22, v27
	v_sub_nc_u32_e32 v20, v20, v23
	s_delay_alu instid0(VALU_DEP_1)
	v_mad_u32 v13, v20, v31, v13
	s_wait_loadcnt 0x0
	v_mad_u32 v11, v20, v35, v11
	v_mad_u32 v15, v20, v34, v15
	v_mov_b32_e32 v20, s17
	s_and_not1_b32 exec_lo, exec_lo, s16
	s_cbranch_execnz .LBB60_6
; %bb.7:
	s_or_b32 exec_lo, exec_lo, s16
	v_and_b32_e32 v19, 1, v6
	s_mov_b32 s16, exec_lo
	s_delay_alu instid0(VALU_DEP_1)
	v_cmpx_eq_u32_e32 0, v19
	s_cbranch_execz .LBB60_9
; %bb.8:
	s_clause 0x1
	scratch_load_b96 v[24:26], v20, off offset:72
	scratch_load_b96 v[28:30], v20, off offset:264
	s_wait_loadcnt 0x1
	v_mul_hi_u32 v19, v25, v22
	s_delay_alu instid0(VALU_DEP_1) | instskip(NEXT) | instid1(VALU_DEP_1)
	v_add_nc_u32_e32 v19, v22, v19
	v_lshrrev_b32_e32 v19, v26, v19
	s_delay_alu instid0(VALU_DEP_1) | instskip(NEXT) | instid1(VALU_DEP_1)
	v_mul_lo_u32 v19, v19, v24
	v_sub_nc_u32_e32 v19, v22, v19
	s_wait_loadcnt 0x0
	s_delay_alu instid0(VALU_DEP_1)
	v_mad_u32 v13, v19, v28, v13
	v_mad_u32 v15, v19, v29, v15
	;; [unrolled: 1-line block ×3, first 2 shown]
.LBB60_9:
	s_wait_xcnt 0x0
	s_or_b32 exec_lo, exec_lo, s16
.LBB60_10:
	s_delay_alu instid0(SALU_CYCLE_1)
	s_or_b32 exec_lo, exec_lo, s15
                                        ; implicit-def: $vgpr22
.LBB60_11:
	s_or_saveexec_b32 s2, s13
	v_dual_mov_b32 v20, v8 :: v_dual_mov_b32 v19, v21
	s_xor_b32 exec_lo, exec_lo, s2
	s_cbranch_execz .LBB60_15
; %bb.12:
	v_mov_b32_e32 v23, 0
	s_delay_alu instid0(VALU_DEP_1) | instskip(NEXT) | instid1(VALU_DEP_1)
	v_mul_u64_e32 v[24:25], v[20:21], v[22:23]
	v_add_nc_u32_e32 v8, v22, v25
	s_delay_alu instid0(VALU_DEP_1) | instskip(NEXT) | instid1(VALU_DEP_1)
	v_lshrrev_b32_e32 v24, v9, v8
	v_mul_lo_u32 v8, v24, v7
	s_delay_alu instid0(VALU_DEP_1) | instskip(SKIP_1) | instid1(VALU_DEP_1)
	v_sub_nc_u32_e32 v8, v22, v8
	s_wait_loadcnt 0x1
	v_mul_lo_u32 v13, v8, v2
	v_mul_lo_u32 v11, v8, v4
	;; [unrolled: 1-line block ×3, first 2 shown]
	s_and_saveexec_b32 s13, s0
	s_cbranch_execz .LBB60_14
; %bb.13:
	v_mov_b32_e32 v25, v23
	s_delay_alu instid0(VALU_DEP_1) | instskip(NEXT) | instid1(VALU_DEP_1)
	v_mul_u64_e32 v[22:23], v[18:19], v[24:25]
	v_add_nc_u32_e32 v8, v24, v23
	s_delay_alu instid0(VALU_DEP_1) | instskip(NEXT) | instid1(VALU_DEP_1)
	v_lshrrev_b32_e32 v8, v12, v8
	v_mul_lo_u32 v8, v8, v10
	s_delay_alu instid0(VALU_DEP_1) | instskip(NEXT) | instid1(VALU_DEP_1)
	v_sub_nc_u32_e32 v8, v24, v8
	v_mad_u32 v13, v8, v5, v13
	s_wait_loadcnt 0x0
	v_mad_u32 v15, v8, v16, v15
	v_mad_u32 v11, v8, v17, v11
.LBB60_14:
	s_or_b32 exec_lo, exec_lo, s13
.LBB60_15:
	s_delay_alu instid0(SALU_CYCLE_1)
	s_or_b32 exec_lo, exec_lo, s2
	global_load_b32 v33, v13, s[8:9] scale_offset
	global_load_b32 v34, v15, s[10:11] scale_offset
	;; [unrolled: 1-line block ×3, first 2 shown]
	v_dual_mov_b32 v29, 0 :: v_dual_mov_b32 v31, 0
	v_dual_mov_b32 v30, 0 :: v_dual_mov_b32 v26, 0
	;; [unrolled: 1-line block ×3, first 2 shown]
	s_wait_xcnt 0x2
	v_dual_mov_b32 v13, 0 :: v_dual_mov_b32 v24, 0
	v_mov_b32_e32 v25, 0
	s_mov_b32 s13, exec_lo
	s_wait_xcnt 0x0
	v_cmpx_gt_u32_e64 s33, v1
	s_cbranch_execz .LBB60_57
; %bb.16:
	v_add_nc_u32_e32 v22, s3, v1
                                        ; implicit-def: $vgpr13
                                        ; implicit-def: $vgpr11
                                        ; implicit-def: $vgpr8
	s_and_saveexec_b32 s2, s1
	s_delay_alu instid0(SALU_CYCLE_1)
	s_xor_b32 s15, exec_lo, s2
	s_cbranch_execz .LBB60_24
; %bb.17:
	v_dual_mov_b32 v13, 0 :: v_dual_mov_b32 v11, 0
	v_mov_b32_e32 v8, 0
	s_and_saveexec_b32 s16, s14
	s_cbranch_execz .LBB60_23
; %bb.18:
	v_dual_mov_b32 v8, 0 :: v_dual_add_nc_u32 v13, 1, v6
	v_mov_b32_e32 v11, 0
	s_sub_co_i32 s18, 0, 24
	s_mov_b32 s17, 0
	s_delay_alu instid0(VALU_DEP_2)
	v_dual_mov_b32 v13, 0 :: v_dual_bitop2_b32 v15, 30, v13 bitop3:0x40
.LBB60_19:                              ; =>This Inner Loop Header: Depth=1
	s_clause 0x3
	scratch_load_b128 v[24:27], off, s18 offset:72
	scratch_load_b64 v[36:37], off, s18 offset:88
	scratch_load_b128 v[28:31], off, s18 offset:264
	scratch_load_b64 v[38:39], off, s18 offset:280
	s_wait_xcnt 0x0
	s_add_co_i32 s18, s18, 24
	v_add_nc_u32_e32 v15, -2, v15
	s_delay_alu instid0(VALU_DEP_1) | instskip(SKIP_3) | instid1(VALU_DEP_1)
	v_cmp_eq_u32_e64 s2, 0, v15
	s_or_b32 s17, s2, s17
	s_wait_loadcnt 0x3
	v_mul_hi_u32 v23, v25, v22
	v_add_nc_u32_e32 v23, v22, v23
	s_delay_alu instid0(VALU_DEP_1) | instskip(SKIP_1) | instid1(VALU_DEP_1)
	v_lshrrev_b32_e32 v23, v26, v23
	s_wait_loadcnt 0x2
	v_mul_hi_u32 v25, v36, v23
	v_mul_lo_u32 v24, v23, v24
	s_delay_alu instid0(VALU_DEP_1) | instskip(NEXT) | instid1(VALU_DEP_1)
	v_dual_add_nc_u32 v25, v23, v25 :: v_dual_sub_nc_u32 v24, v22, v24
	v_lshrrev_b32_e32 v22, v37, v25
	s_wait_loadcnt 0x1
	s_delay_alu instid0(VALU_DEP_2) | instskip(SKIP_3) | instid1(VALU_DEP_1)
	v_mad_u32 v8, v24, v28, v8
	v_mad_u32 v13, v24, v30, v13
	;; [unrolled: 1-line block ×3, first 2 shown]
	v_mul_lo_u32 v25, v22, v27
	v_sub_nc_u32_e32 v23, v23, v25
	s_delay_alu instid0(VALU_DEP_1)
	v_mad_u32 v8, v23, v31, v8
	s_wait_loadcnt 0x0
	v_mad_u32 v13, v23, v39, v13
	v_mad_u32 v11, v23, v38, v11
	v_mov_b32_e32 v23, s18
	s_and_not1_b32 exec_lo, exec_lo, s17
	s_cbranch_execnz .LBB60_19
; %bb.20:
	s_or_b32 exec_lo, exec_lo, s17
	v_and_b32_e32 v15, 1, v6
	s_mov_b32 s17, exec_lo
	s_delay_alu instid0(VALU_DEP_1)
	v_cmpx_eq_u32_e32 0, v15
	s_cbranch_execz .LBB60_22
; %bb.21:
	s_clause 0x1
	scratch_load_b96 v[24:26], v23, off offset:72
	scratch_load_b96 v[28:30], v23, off offset:264
	s_wait_loadcnt 0x1
	v_mul_hi_u32 v15, v25, v22
	s_delay_alu instid0(VALU_DEP_1) | instskip(NEXT) | instid1(VALU_DEP_1)
	v_add_nc_u32_e32 v15, v22, v15
	v_lshrrev_b32_e32 v15, v26, v15
	s_delay_alu instid0(VALU_DEP_1) | instskip(NEXT) | instid1(VALU_DEP_1)
	v_mul_lo_u32 v15, v15, v24
	v_sub_nc_u32_e32 v15, v22, v15
	s_wait_loadcnt 0x0
	s_delay_alu instid0(VALU_DEP_1)
	v_mad_u32 v8, v15, v28, v8
	v_mad_u32 v11, v15, v29, v11
	;; [unrolled: 1-line block ×3, first 2 shown]
.LBB60_22:
	s_wait_xcnt 0x0
	s_or_b32 exec_lo, exec_lo, s17
.LBB60_23:
	s_delay_alu instid0(SALU_CYCLE_1)
	s_or_b32 exec_lo, exec_lo, s16
                                        ; implicit-def: $vgpr22
.LBB60_24:
	s_and_not1_saveexec_b32 s2, s15
	s_cbranch_execz .LBB60_28
; %bb.25:
	v_mov_b32_e32 v23, 0
	s_delay_alu instid0(VALU_DEP_1) | instskip(NEXT) | instid1(VALU_DEP_1)
	v_mul_u64_e32 v[24:25], v[20:21], v[22:23]
	v_add_nc_u32_e32 v8, v22, v25
	s_delay_alu instid0(VALU_DEP_1) | instskip(NEXT) | instid1(VALU_DEP_1)
	v_lshrrev_b32_e32 v24, v9, v8
	v_mul_lo_u32 v8, v24, v7
	s_delay_alu instid0(VALU_DEP_1) | instskip(SKIP_1) | instid1(VALU_DEP_1)
	v_sub_nc_u32_e32 v11, v22, v8
	s_wait_loadcnt 0x4
	v_mul_lo_u32 v8, v11, v2
	v_mul_lo_u32 v13, v11, v4
	;; [unrolled: 1-line block ×3, first 2 shown]
	s_and_saveexec_b32 s15, s0
	s_cbranch_execz .LBB60_27
; %bb.26:
	v_mov_b32_e32 v25, v23
	s_delay_alu instid0(VALU_DEP_1) | instskip(NEXT) | instid1(VALU_DEP_1)
	v_mul_u64_e32 v[22:23], v[18:19], v[24:25]
	v_add_nc_u32_e32 v15, v24, v23
	s_delay_alu instid0(VALU_DEP_1) | instskip(NEXT) | instid1(VALU_DEP_1)
	v_lshrrev_b32_e32 v15, v12, v15
	v_mul_lo_u32 v15, v15, v10
	s_delay_alu instid0(VALU_DEP_1) | instskip(NEXT) | instid1(VALU_DEP_1)
	v_sub_nc_u32_e32 v15, v24, v15
	v_mad_u32 v8, v15, v5, v8
	s_wait_loadcnt 0x3
	v_mad_u32 v11, v15, v16, v11
	v_mad_u32 v13, v15, v17, v13
.LBB60_27:
	s_or_b32 exec_lo, exec_lo, s15
.LBB60_28:
	s_delay_alu instid0(SALU_CYCLE_1)
	s_or_b32 exec_lo, exec_lo, s2
	global_load_b32 v30, v8, s[8:9] scale_offset
	global_load_b32 v31, v11, s[10:11] scale_offset
	global_load_b32 v29, v13, s[34:35] scale_offset
	s_wait_xcnt 0x2
	v_or_b32_e32 v8, 0x200, v0
	v_dual_mov_b32 v26, 0 :: v_dual_mov_b32 v28, 0
	s_wait_xcnt 0x0
	v_dual_mov_b32 v27, 0 :: v_dual_mov_b32 v13, 0
	v_dual_mov_b32 v24, 0 :: v_dual_mov_b32 v25, 0
	s_mov_b32 s15, exec_lo
	v_cmpx_gt_u32_e64 s33, v8
	s_cbranch_execz .LBB60_56
; %bb.29:
	v_add_nc_u32_e32 v22, s3, v8
                                        ; implicit-def: $vgpr11
                                        ; implicit-def: $vgpr13
                                        ; implicit-def: $vgpr8
	s_and_saveexec_b32 s2, s1
	s_delay_alu instid0(SALU_CYCLE_1)
	s_xor_b32 s16, exec_lo, s2
	s_cbranch_execz .LBB60_37
; %bb.30:
	v_dual_mov_b32 v11, 0 :: v_dual_mov_b32 v13, 0
	v_mov_b32_e32 v8, 0
	s_and_saveexec_b32 s17, s14
	s_cbranch_execz .LBB60_36
; %bb.31:
	v_dual_mov_b32 v8, 0 :: v_dual_add_nc_u32 v11, 1, v6
	v_mov_b32_e32 v13, 0
	s_sub_co_i32 s19, 0, 24
	s_mov_b32 s18, 0
	s_delay_alu instid0(VALU_DEP_2)
	v_dual_mov_b32 v11, 0 :: v_dual_bitop2_b32 v15, 30, v11 bitop3:0x40
.LBB60_32:                              ; =>This Inner Loop Header: Depth=1
	s_clause 0x3
	scratch_load_b128 v[24:27], off, s19 offset:72
	scratch_load_b64 v[40:41], off, s19 offset:88
	scratch_load_b128 v[36:39], off, s19 offset:264
	scratch_load_b64 v[42:43], off, s19 offset:280
	s_wait_xcnt 0x0
	s_add_co_i32 s19, s19, 24
	v_add_nc_u32_e32 v15, -2, v15
	s_delay_alu instid0(VALU_DEP_1) | instskip(SKIP_3) | instid1(VALU_DEP_1)
	v_cmp_eq_u32_e64 s2, 0, v15
	s_or_b32 s18, s2, s18
	s_wait_loadcnt 0x3
	v_mul_hi_u32 v23, v25, v22
	v_add_nc_u32_e32 v23, v22, v23
	s_delay_alu instid0(VALU_DEP_1) | instskip(SKIP_1) | instid1(VALU_DEP_1)
	v_lshrrev_b32_e32 v23, v26, v23
	s_wait_loadcnt 0x2
	v_mul_hi_u32 v25, v40, v23
	v_mul_lo_u32 v24, v23, v24
	s_delay_alu instid0(VALU_DEP_1) | instskip(NEXT) | instid1(VALU_DEP_1)
	v_dual_add_nc_u32 v25, v23, v25 :: v_dual_sub_nc_u32 v24, v22, v24
	v_lshrrev_b32_e32 v22, v41, v25
	s_wait_loadcnt 0x1
	s_delay_alu instid0(VALU_DEP_2) | instskip(SKIP_3) | instid1(VALU_DEP_1)
	v_mad_u32 v8, v24, v36, v8
	v_mad_u32 v11, v24, v38, v11
	;; [unrolled: 1-line block ×3, first 2 shown]
	v_mul_lo_u32 v25, v22, v27
	v_sub_nc_u32_e32 v23, v23, v25
	s_delay_alu instid0(VALU_DEP_1)
	v_mad_u32 v8, v23, v39, v8
	s_wait_loadcnt 0x0
	v_mad_u32 v11, v23, v43, v11
	v_mad_u32 v13, v23, v42, v13
	v_mov_b32_e32 v23, s19
	s_and_not1_b32 exec_lo, exec_lo, s18
	s_cbranch_execnz .LBB60_32
; %bb.33:
	s_or_b32 exec_lo, exec_lo, s18
	v_and_b32_e32 v15, 1, v6
	s_mov_b32 s18, exec_lo
	s_delay_alu instid0(VALU_DEP_1)
	v_cmpx_eq_u32_e32 0, v15
	s_cbranch_execz .LBB60_35
; %bb.34:
	s_clause 0x1
	scratch_load_b96 v[24:26], v23, off offset:72
	scratch_load_b96 v[36:38], v23, off offset:264
	s_wait_loadcnt 0x1
	v_mul_hi_u32 v15, v25, v22
	s_delay_alu instid0(VALU_DEP_1) | instskip(NEXT) | instid1(VALU_DEP_1)
	v_add_nc_u32_e32 v15, v22, v15
	v_lshrrev_b32_e32 v15, v26, v15
	s_delay_alu instid0(VALU_DEP_1) | instskip(NEXT) | instid1(VALU_DEP_1)
	v_mul_lo_u32 v15, v15, v24
	v_sub_nc_u32_e32 v15, v22, v15
	s_wait_loadcnt 0x0
	s_delay_alu instid0(VALU_DEP_1)
	v_mad_u32 v8, v15, v36, v8
	v_mad_u32 v13, v15, v37, v13
	;; [unrolled: 1-line block ×3, first 2 shown]
.LBB60_35:
	s_wait_xcnt 0x0
	s_or_b32 exec_lo, exec_lo, s18
.LBB60_36:
	s_delay_alu instid0(SALU_CYCLE_1)
	s_or_b32 exec_lo, exec_lo, s17
                                        ; implicit-def: $vgpr22
.LBB60_37:
	s_and_not1_saveexec_b32 s2, s16
	s_cbranch_execz .LBB60_41
; %bb.38:
	v_mov_b32_e32 v23, 0
	s_delay_alu instid0(VALU_DEP_1) | instskip(NEXT) | instid1(VALU_DEP_1)
	v_mul_u64_e32 v[24:25], v[20:21], v[22:23]
	v_add_nc_u32_e32 v8, v22, v25
	s_delay_alu instid0(VALU_DEP_1) | instskip(NEXT) | instid1(VALU_DEP_1)
	v_lshrrev_b32_e32 v24, v9, v8
	v_mul_lo_u32 v8, v24, v7
	s_delay_alu instid0(VALU_DEP_1) | instskip(SKIP_1) | instid1(VALU_DEP_1)
	v_sub_nc_u32_e32 v13, v22, v8
	s_wait_loadcnt 0x7
	v_mul_lo_u32 v8, v13, v2
	v_mul_lo_u32 v11, v13, v4
	;; [unrolled: 1-line block ×3, first 2 shown]
	s_and_saveexec_b32 s16, s0
	s_cbranch_execz .LBB60_40
; %bb.39:
	v_mov_b32_e32 v25, v23
	s_delay_alu instid0(VALU_DEP_1) | instskip(NEXT) | instid1(VALU_DEP_1)
	v_mul_u64_e32 v[22:23], v[18:19], v[24:25]
	v_add_nc_u32_e32 v15, v24, v23
	s_delay_alu instid0(VALU_DEP_1) | instskip(NEXT) | instid1(VALU_DEP_1)
	v_lshrrev_b32_e32 v15, v12, v15
	v_mul_lo_u32 v15, v15, v10
	s_delay_alu instid0(VALU_DEP_1) | instskip(NEXT) | instid1(VALU_DEP_1)
	v_sub_nc_u32_e32 v15, v24, v15
	v_mad_u32 v8, v15, v5, v8
	s_wait_loadcnt 0x6
	v_mad_u32 v13, v15, v16, v13
	v_mad_u32 v11, v15, v17, v11
.LBB60_40:
	s_or_b32 exec_lo, exec_lo, s16
.LBB60_41:
	s_delay_alu instid0(SALU_CYCLE_1)
	s_or_b32 exec_lo, exec_lo, s2
	global_load_b32 v27, v8, s[8:9] scale_offset
	global_load_b32 v28, v13, s[10:11] scale_offset
	;; [unrolled: 1-line block ×3, first 2 shown]
	s_wait_xcnt 0x2
	v_or_b32_e32 v8, 0x300, v0
	s_wait_xcnt 0x1
	v_dual_mov_b32 v13, 0 :: v_dual_mov_b32 v24, 0
	v_mov_b32_e32 v25, 0
	s_mov_b32 s16, exec_lo
	s_wait_xcnt 0x0
	v_cmpx_gt_u32_e64 s33, v8
	s_cbranch_execz .LBB60_55
; %bb.42:
	v_add_nc_u32_e32 v22, s3, v8
                                        ; implicit-def: $vgpr36
                                        ; implicit-def: $vgpr35
                                        ; implicit-def: $vgpr15
	s_and_saveexec_b32 s2, s1
	s_delay_alu instid0(SALU_CYCLE_1)
	s_xor_b32 s2, exec_lo, s2
	s_cbranch_execz .LBB60_50
; %bb.43:
	v_dual_mov_b32 v36, 0 :: v_dual_mov_b32 v35, 0
	v_mov_b32_e32 v15, 0
	s_and_saveexec_b32 s17, s14
	s_cbranch_execz .LBB60_49
; %bb.44:
	s_wait_loadcnt 0xa
	v_dual_mov_b32 v15, 0 :: v_dual_add_nc_u32 v2, 1, v6
	v_dual_mov_b32 v35, 0 :: v_dual_mov_b32 v36, 0
	s_sub_co_i32 s18, 0, 24
	s_delay_alu instid0(VALU_DEP_2)
	v_and_b32_e32 v2, 30, v2
	s_mov_b32 s14, 0
.LBB60_45:                              ; =>This Inner Loop Header: Depth=1
	s_clause 0x1
	scratch_load_b128 v[8:11], off, s18 offset:72
	scratch_load_b64 v[4:5], off, s18 offset:88
	s_wait_loadcnt 0xb
	s_clause 0x1
	scratch_load_b128 v[16:19], off, s18 offset:264
	scratch_load_b64 v[12:13], off, s18 offset:280
	s_wait_xcnt 0x0
	s_add_co_i32 s18, s18, 24
	v_add_nc_u32_e32 v2, -2, v2
	s_delay_alu instid0(VALU_DEP_1) | instskip(SKIP_3) | instid1(VALU_DEP_1)
	v_cmp_eq_u32_e64 s1, 0, v2
	s_or_b32 s14, s1, s14
	s_wait_loadcnt 0x3
	v_mul_hi_u32 v3, v9, v22
	v_add_nc_u32_e32 v3, v22, v3
	s_delay_alu instid0(VALU_DEP_1) | instskip(SKIP_1) | instid1(VALU_DEP_1)
	v_lshrrev_b32_e32 v3, v10, v3
	s_wait_loadcnt 0x2
	v_mul_hi_u32 v4, v4, v3
	v_mul_lo_u32 v7, v3, v8
	s_delay_alu instid0(VALU_DEP_1) | instskip(NEXT) | instid1(VALU_DEP_1)
	v_dual_add_nc_u32 v4, v3, v4 :: v_dual_sub_nc_u32 v7, v22, v7
	v_lshrrev_b32_e32 v22, v5, v4
	s_wait_loadcnt 0x1
	s_delay_alu instid0(VALU_DEP_2) | instskip(SKIP_3) | instid1(VALU_DEP_1)
	v_mad_u32 v5, v7, v16, v15
	v_mad_u32 v8, v7, v18, v36
	;; [unrolled: 1-line block ×3, first 2 shown]
	v_mul_lo_u32 v4, v22, v11
	v_sub_nc_u32_e32 v3, v3, v4
	s_delay_alu instid0(VALU_DEP_1)
	v_mad_u32 v15, v3, v19, v5
	s_wait_loadcnt 0x0
	v_mad_u32 v36, v3, v13, v8
	v_mad_u32 v35, v3, v12, v7
	v_mov_b32_e32 v3, s18
	s_and_not1_b32 exec_lo, exec_lo, s14
	s_cbranch_execnz .LBB60_45
; %bb.46:
	s_or_b32 exec_lo, exec_lo, s14
	v_and_b32_e32 v2, 1, v6
	s_mov_b32 s14, exec_lo
	s_delay_alu instid0(VALU_DEP_1)
	v_cmpx_eq_u32_e32 0, v2
	s_cbranch_execz .LBB60_48
; %bb.47:
	s_clause 0x1
	scratch_load_b96 v[4:6], v3, off offset:72
	scratch_load_b96 v[8:10], v3, off offset:264
	s_wait_loadcnt 0x1
	v_mul_hi_u32 v2, v5, v22
	s_delay_alu instid0(VALU_DEP_1) | instskip(NEXT) | instid1(VALU_DEP_1)
	v_add_nc_u32_e32 v2, v22, v2
	v_lshrrev_b32_e32 v2, v6, v2
	s_delay_alu instid0(VALU_DEP_1) | instskip(NEXT) | instid1(VALU_DEP_1)
	v_mul_lo_u32 v2, v2, v4
	v_sub_nc_u32_e32 v2, v22, v2
	s_wait_loadcnt 0x0
	s_delay_alu instid0(VALU_DEP_1)
	v_mad_u32 v15, v2, v8, v15
	v_mad_u32 v35, v2, v9, v35
	;; [unrolled: 1-line block ×3, first 2 shown]
.LBB60_48:
	s_wait_xcnt 0x0
	s_or_b32 exec_lo, exec_lo, s14
.LBB60_49:
	s_delay_alu instid0(SALU_CYCLE_1)
	s_or_b32 exec_lo, exec_lo, s17
                                        ; implicit-def: $vgpr22
                                        ; implicit-def: $vgpr20_vgpr21
                                        ; implicit-def: $vgpr6_vgpr7_vgpr8_vgpr9
                                        ; implicit-def: $vgpr2_vgpr3_vgpr4_vgpr5
                                        ; implicit-def: $vgpr18_vgpr19
                                        ; implicit-def: $vgpr10_vgpr11_vgpr12
                                        ; implicit-def: $vgpr16_vgpr17
.LBB60_50:
	s_and_not1_saveexec_b32 s1, s2
	s_cbranch_execz .LBB60_54
; %bb.51:
	v_mov_b32_e32 v23, 0
	s_delay_alu instid0(VALU_DEP_1) | instskip(NEXT) | instid1(VALU_DEP_1)
	v_mul_u64_e32 v[20:21], v[20:21], v[22:23]
	v_add_nc_u32_e32 v6, v22, v21
	s_delay_alu instid0(VALU_DEP_1) | instskip(NEXT) | instid1(VALU_DEP_1)
	v_lshrrev_b32_e32 v6, v9, v6
	v_mul_lo_u32 v7, v6, v7
	s_delay_alu instid0(VALU_DEP_1) | instskip(SKIP_1) | instid1(VALU_DEP_1)
	v_sub_nc_u32_e32 v7, v22, v7
	s_wait_loadcnt 0xa
	v_mul_lo_u32 v15, v7, v2
	v_mul_lo_u32 v36, v7, v4
	;; [unrolled: 1-line block ×3, first 2 shown]
	s_and_saveexec_b32 s2, s0
	s_cbranch_execz .LBB60_53
; %bb.52:
	v_mov_b32_e32 v7, v23
	s_delay_alu instid0(VALU_DEP_1) | instskip(NEXT) | instid1(VALU_DEP_1)
	v_mul_u64_e32 v[2:3], v[18:19], v[6:7]
	v_add_nc_u32_e32 v2, v6, v3
	s_delay_alu instid0(VALU_DEP_1) | instskip(NEXT) | instid1(VALU_DEP_1)
	v_lshrrev_b32_e32 v2, v12, v2
	v_mul_lo_u32 v2, v2, v10
	s_delay_alu instid0(VALU_DEP_1) | instskip(NEXT) | instid1(VALU_DEP_1)
	v_sub_nc_u32_e32 v2, v6, v2
	v_mad_u32 v15, v2, v5, v15
	s_wait_loadcnt 0x9
	v_mad_u32 v35, v2, v16, v35
	v_mad_u32 v36, v2, v17, v36
.LBB60_53:
	s_or_b32 exec_lo, exec_lo, s2
.LBB60_54:
	s_delay_alu instid0(SALU_CYCLE_1)
	s_or_b32 exec_lo, exec_lo, s1
	global_load_b32 v25, v15, s[8:9] scale_offset
	global_load_b32 v24, v35, s[10:11] scale_offset
	;; [unrolled: 1-line block ×3, first 2 shown]
.LBB60_55:
	s_wait_xcnt 0x0
	s_or_b32 exec_lo, exec_lo, s16
.LBB60_56:
	s_delay_alu instid0(SALU_CYCLE_1)
	s_or_b32 exec_lo, exec_lo, s15
.LBB60_57:
	s_delay_alu instid0(SALU_CYCLE_1)
	s_or_b32 exec_lo, exec_lo, s13
.LBB60_58:
	s_delay_alu instid0(SALU_CYCLE_1)
	s_or_b32 exec_lo, exec_lo, s12
	s_and_saveexec_b32 s0, vcc_lo
	s_cbranch_execz .LBB60_127
; %bb.59:
	s_clause 0x1
	scratch_load_b128 v[6:9], off, off offset:432
	scratch_load_b96 v[10:12], off, off offset:448
	s_wait_loadcnt 0x6
	scratch_load_b128 v[2:5], off, off offset:628
	v_mov_b32_e32 v19, 0
                                        ; implicit-def: $vgpr21
	s_wait_loadcnt 0x2
	v_sub_co_u32 v35, s1, v6, 1
	v_cmp_lt_u32_e32 vcc_lo, 1, v6
	s_wait_loadcnt 0x1
	v_mov_b32_e32 v16, v11
	s_xor_b32 s2, s1, -1
	v_cmp_lt_u32_e64 s0, 1, v35
	v_min_u32_e32 v6, 15, v35
	s_wait_xcnt 0x0
	s_and_saveexec_b32 s1, s0
	s_delay_alu instid0(SALU_CYCLE_1)
	s_xor_b32 s8, exec_lo, s1
	s_cbranch_execz .LBB60_71
; %bb.60:
	v_dual_mov_b32 v21, 0 :: v_dual_mov_b32 v20, 0
	s_and_saveexec_b32 s9, s2
	s_cbranch_execz .LBB60_70
; %bb.61:
	v_mov_b64_e32 v[20:21], 0
	v_dual_add_nc_u32 v15, 1, v6 :: v_dual_mov_b32 v11, 0
	s_mov_b32 s10, exec_lo
	v_cmpx_ne_u32_e32 2, v35
	s_cbranch_execz .LBB60_65
; %bb.62:
	s_delay_alu instid0(VALU_DEP_2)
	v_dual_mov_b32 v20, 0 :: v_dual_bitop2_b32 v11, 28, v15 bitop3:0x40
	v_mov_b32_e32 v21, 0
	s_mov_b32 s11, 0
	s_mov_b32 s12, 0
	;; [unrolled: 1-line block ×4, first 2 shown]
.LBB60_63:                              ; =>This Inner Loop Header: Depth=1
	s_clause 0x4
	scratch_load_b128 v[36:39], off, s13 offset:436
	scratch_load_b128 v[40:43], off, s13 offset:452
	;; [unrolled: 1-line block ×5, first 2 shown]
	s_add_co_i32 s14, s14, 4
	s_mov_b32 s1, s13
                                        ; kill: killed $sgpr1
	v_cmp_eq_u32_e64 s1, s14, v11
	s_mov_b32 s15, s12
	s_wait_xcnt 0x2
	s_add_co_i32 s13, s13, 48
	s_wait_xcnt 0x0
	s_add_co_i32 s12, s12, 32
                                        ; kill: killed $sgpr15
	s_or_b32 s11, s1, s11
	s_wait_loadcnt 0x4
	v_mul_hi_u32 v17, v37, v14
	s_delay_alu instid0(VALU_DEP_1) | instskip(NEXT) | instid1(VALU_DEP_1)
	v_add_nc_u32_e32 v17, v14, v17
	v_lshrrev_b32_e32 v17, v38, v17
	s_wait_loadcnt 0x3
	s_delay_alu instid0(VALU_DEP_1) | instskip(NEXT) | instid1(VALU_DEP_1)
	v_mul_hi_u32 v18, v40, v17
	v_add_nc_u32_e32 v18, v17, v18
	s_delay_alu instid0(VALU_DEP_1) | instskip(NEXT) | instid1(VALU_DEP_1)
	v_lshrrev_b32_e32 v18, v41, v18
	v_mul_hi_u32 v22, v43, v18
	s_delay_alu instid0(VALU_DEP_1) | instskip(SKIP_1) | instid1(VALU_DEP_1)
	v_add_nc_u32_e32 v22, v18, v22
	s_wait_loadcnt 0x2
	v_lshrrev_b32_e32 v22, v44, v22
	v_mul_lo_u32 v23, v17, v36
	s_delay_alu instid0(VALU_DEP_2) | instskip(NEXT) | instid1(VALU_DEP_2)
	v_mul_hi_u32 v36, v46, v22
	v_sub_nc_u32_e32 v14, v14, v23
	v_mul_lo_u32 v23, v18, v39
	s_wait_loadcnt 0x1
	s_delay_alu instid0(VALU_DEP_2) | instskip(SKIP_2) | instid1(VALU_DEP_4)
	v_mad_u32 v21, v14, v49, v21
	v_mad_u32 v14, v14, v48, v20
	v_mul_lo_u32 v20, v22, v42
	v_dual_sub_nc_u32 v17, v17, v23 :: v_dual_add_nc_u32 v23, v22, v36
	s_delay_alu instid0(VALU_DEP_1) | instskip(NEXT) | instid1(VALU_DEP_4)
	v_mad_u32 v21, v17, v51, v21
	v_mad_u32 v17, v17, v50, v14
	s_delay_alu instid0(VALU_DEP_3) | instskip(NEXT) | instid1(VALU_DEP_1)
	v_dual_lshrrev_b32 v14, v47, v23 :: v_dual_sub_nc_u32 v18, v18, v20
	v_mul_lo_u32 v20, v14, v45
	s_wait_loadcnt 0x0
	s_delay_alu instid0(VALU_DEP_2) | instskip(NEXT) | instid1(VALU_DEP_4)
	v_mad_u32 v21, v18, v53, v21
	v_mad_u32 v17, v18, v52, v17
	s_delay_alu instid0(VALU_DEP_3) | instskip(NEXT) | instid1(VALU_DEP_1)
	v_sub_nc_u32_e32 v18, v22, v20
	v_mad_u32 v21, v18, v55, v21
	s_delay_alu instid0(VALU_DEP_3)
	v_mad_u32 v20, v18, v54, v17
	s_and_not1_b32 exec_lo, exec_lo, s11
	s_cbranch_execnz .LBB60_63
; %bb.64:
	s_or_b32 exec_lo, exec_lo, s11
.LBB60_65:
	s_delay_alu instid0(SALU_CYCLE_1) | instskip(SKIP_3) | instid1(VALU_DEP_1)
	s_or_b32 exec_lo, exec_lo, s10
	v_and_b32_e32 v15, 3, v15
	s_mov_b32 s11, 0
	s_mov_b32 s10, exec_lo
	v_cmpx_ne_u32_e32 0, v15
	s_cbranch_execz .LBB60_69
; %bb.66:
	v_lshlrev_b32_e32 v17, 3, v11
	s_mov_b32 s1, 0
	v_mad_u32_u24 v11, v11, 12, 0
	s_delay_alu instid0(VALU_DEP_2)
	v_add3_u32 v17, v17, s1, 0x274
.LBB60_67:                              ; =>This Inner Loop Header: Depth=1
	scratch_load_b96 v[36:38], v11, off offset:436
	scratch_load_b64 v[22:23], v17, off
	s_wait_xcnt 0x0
	v_dual_add_nc_u32 v17, 8, v17 :: v_dual_add_nc_u32 v11, 12, v11
	v_add_nc_u32_e32 v15, -1, v15
	s_delay_alu instid0(VALU_DEP_1) | instskip(SKIP_3) | instid1(VALU_DEP_1)
	v_cmp_eq_u32_e64 s1, 0, v15
	s_or_b32 s11, s1, s11
	s_wait_loadcnt 0x1
	v_mul_hi_u32 v18, v37, v14
	v_add_nc_u32_e32 v18, v14, v18
	s_delay_alu instid0(VALU_DEP_1) | instskip(NEXT) | instid1(VALU_DEP_1)
	v_lshrrev_b32_e32 v18, v38, v18
	v_mul_lo_u32 v36, v18, v36
	s_delay_alu instid0(VALU_DEP_1) | instskip(SKIP_1) | instid1(VALU_DEP_1)
	v_sub_nc_u32_e32 v14, v14, v36
	s_wait_loadcnt 0x0
	v_mad_u32 v21, v14, v23, v21
	v_mad_u32 v20, v14, v22, v20
	v_mov_b32_e32 v14, v18
	s_and_not1_b32 exec_lo, exec_lo, s11
	s_cbranch_execnz .LBB60_67
; %bb.68:
	s_or_b32 exec_lo, exec_lo, s11
.LBB60_69:
	s_delay_alu instid0(SALU_CYCLE_1)
	s_or_b32 exec_lo, exec_lo, s10
.LBB60_70:
	s_delay_alu instid0(SALU_CYCLE_1)
	s_or_b32 exec_lo, exec_lo, s9
                                        ; implicit-def: $vgpr14
.LBB60_71:
	s_or_saveexec_b32 s1, s8
	v_dual_mov_b32 v18, v8 :: v_dual_mov_b32 v17, v19
	s_xor_b32 exec_lo, exec_lo, s1
	s_cbranch_execz .LBB60_75
; %bb.72:
	v_mov_b32_e32 v15, 0
	s_delay_alu instid0(VALU_DEP_1) | instskip(NEXT) | instid1(VALU_DEP_1)
	v_mul_u64_e32 v[20:21], v[18:19], v[14:15]
	v_add_nc_u32_e32 v8, v14, v21
	s_delay_alu instid0(VALU_DEP_1) | instskip(NEXT) | instid1(VALU_DEP_1)
	v_lshrrev_b32_e32 v22, v9, v8
	v_mul_lo_u32 v8, v22, v7
	s_delay_alu instid0(VALU_DEP_1) | instskip(SKIP_1) | instid1(VALU_DEP_1)
	v_sub_nc_u32_e32 v8, v14, v8
	s_wait_loadcnt 0x0
	v_mul_lo_u32 v21, v8, v3
	v_mul_lo_u32 v20, v8, v2
	s_and_saveexec_b32 s8, vcc_lo
	s_cbranch_execz .LBB60_74
; %bb.73:
	v_mov_b32_e32 v23, v15
	s_delay_alu instid0(VALU_DEP_1) | instskip(NEXT) | instid1(VALU_DEP_1)
	v_mul_u64_e32 v[14:15], v[22:23], v[16:17]
	v_add_nc_u32_e32 v8, v22, v15
	s_delay_alu instid0(VALU_DEP_1) | instskip(NEXT) | instid1(VALU_DEP_1)
	v_lshrrev_b32_e32 v8, v12, v8
	v_mul_lo_u32 v8, v8, v10
	s_delay_alu instid0(VALU_DEP_1) | instskip(NEXT) | instid1(VALU_DEP_1)
	v_sub_nc_u32_e32 v8, v22, v8
	v_mad_u32 v20, v8, v4, v20
	v_mad_u32 v21, v8, v5, v21
.LBB60_74:
	s_or_b32 exec_lo, exec_lo, s8
.LBB60_75:
	s_delay_alu instid0(SALU_CYCLE_1) | instskip(SKIP_2) | instid1(VALU_DEP_1)
	s_or_b32 exec_lo, exec_lo, s1
	v_dual_mul_f32 v8, v34, v32 :: v_dual_mul_f32 v11, v33, v32
	v_cmp_lt_f32_e64 s1, 0, v33
	v_cndmask_b32_e64 v8, v8, v32, s1
	s_delay_alu instid0(VALU_DEP_3)
	v_cndmask_b32_e64 v11, v11, 0, s1
	v_cmp_gt_i32_e64 s1, s33, v1
	global_store_b32 v20, v8, s[4:5] scale_offset
	global_store_b32 v21, v11, s[6:7] scale_offset
	s_wait_xcnt 0x0
	s_and_b32 exec_lo, exec_lo, s1
	s_cbranch_execz .LBB60_127
; %bb.76:
	v_add_nc_u32_e32 v20, s3, v1
                                        ; implicit-def: $vgpr15
	s_and_saveexec_b32 s1, s0
	s_delay_alu instid0(SALU_CYCLE_1)
	s_xor_b32 s8, exec_lo, s1
	s_cbranch_execz .LBB60_88
; %bb.77:
	v_dual_mov_b32 v15, 0 :: v_dual_mov_b32 v14, 0
	s_and_saveexec_b32 s9, s2
	s_cbranch_execz .LBB60_87
; %bb.78:
	v_mov_b64_e32 v[14:15], 0
	v_dual_mov_b32 v1, 0 :: v_dual_add_nc_u32 v8, 1, v6
	s_mov_b32 s10, exec_lo
	v_cmpx_ne_u32_e32 2, v35
	s_cbranch_execz .LBB60_82
; %bb.79:
	s_delay_alu instid0(VALU_DEP_2)
	v_dual_mov_b32 v14, 0 :: v_dual_bitop2_b32 v1, 28, v8 bitop3:0x40
	v_mov_b32_e32 v15, 0
	s_mov_b32 s11, 0
	s_mov_b32 s12, 0
	;; [unrolled: 1-line block ×4, first 2 shown]
.LBB60_80:                              ; =>This Inner Loop Header: Depth=1
	s_clause 0x4
	scratch_load_b128 v[36:39], off, s13 offset:436
	scratch_load_b128 v[40:43], off, s13 offset:452
	;; [unrolled: 1-line block ×5, first 2 shown]
	s_add_co_i32 s14, s14, 4
	s_mov_b32 s1, s13
                                        ; kill: killed $sgpr1
	v_cmp_eq_u32_e64 s1, s14, v1
	s_mov_b32 s15, s12
	s_wait_xcnt 0x2
	s_add_co_i32 s13, s13, 48
	s_wait_xcnt 0x0
	s_add_co_i32 s12, s12, 32
                                        ; kill: killed $sgpr15
	s_or_b32 s11, s1, s11
	s_wait_loadcnt 0x4
	v_mul_hi_u32 v11, v37, v20
	s_delay_alu instid0(VALU_DEP_1) | instskip(NEXT) | instid1(VALU_DEP_1)
	v_add_nc_u32_e32 v11, v20, v11
	v_lshrrev_b32_e32 v11, v38, v11
	s_wait_loadcnt 0x3
	s_delay_alu instid0(VALU_DEP_1) | instskip(NEXT) | instid1(VALU_DEP_1)
	v_mul_hi_u32 v21, v40, v11
	v_add_nc_u32_e32 v21, v11, v21
	s_delay_alu instid0(VALU_DEP_1) | instskip(NEXT) | instid1(VALU_DEP_1)
	v_lshrrev_b32_e32 v21, v41, v21
	v_mul_hi_u32 v22, v43, v21
	s_delay_alu instid0(VALU_DEP_1) | instskip(SKIP_1) | instid1(VALU_DEP_1)
	v_add_nc_u32_e32 v22, v21, v22
	v_mul_lo_u32 v23, v11, v36
	v_sub_nc_u32_e32 v20, v20, v23
	v_mul_lo_u32 v23, v21, v39
	s_wait_loadcnt 0x2
	v_lshrrev_b32_e32 v22, v44, v22
	s_wait_loadcnt 0x1
	v_mad_u32 v15, v20, v49, v15
	v_mad_u32 v14, v20, v48, v14
	s_delay_alu instid0(VALU_DEP_4) | instskip(SKIP_2) | instid1(VALU_DEP_3)
	v_sub_nc_u32_e32 v11, v11, v23
	v_mul_hi_u32 v32, v46, v22
	v_mul_lo_u32 v23, v22, v42
	v_mad_u32 v15, v11, v51, v15
	v_mad_u32 v11, v11, v50, v14
	s_delay_alu instid0(VALU_DEP_3) | instskip(NEXT) | instid1(VALU_DEP_1)
	v_dual_add_nc_u32 v20, v22, v32 :: v_dual_sub_nc_u32 v14, v21, v23
	v_lshrrev_b32_e32 v20, v47, v20
	s_wait_loadcnt 0x0
	s_delay_alu instid0(VALU_DEP_2) | instskip(NEXT) | instid1(VALU_DEP_4)
	v_mad_u32 v15, v14, v53, v15
	v_mad_u32 v11, v14, v52, v11
	s_delay_alu instid0(VALU_DEP_3) | instskip(NEXT) | instid1(VALU_DEP_1)
	v_mul_lo_u32 v21, v20, v45
	v_sub_nc_u32_e32 v14, v22, v21
	s_delay_alu instid0(VALU_DEP_1) | instskip(NEXT) | instid1(VALU_DEP_4)
	v_mad_u32 v15, v14, v55, v15
	v_mad_u32 v14, v14, v54, v11
	s_and_not1_b32 exec_lo, exec_lo, s11
	s_cbranch_execnz .LBB60_80
; %bb.81:
	s_or_b32 exec_lo, exec_lo, s11
.LBB60_82:
	s_delay_alu instid0(SALU_CYCLE_1) | instskip(SKIP_3) | instid1(VALU_DEP_1)
	s_or_b32 exec_lo, exec_lo, s10
	v_and_b32_e32 v8, 3, v8
	s_mov_b32 s11, 0
	s_mov_b32 s10, exec_lo
	v_cmpx_ne_u32_e32 0, v8
	s_cbranch_execz .LBB60_86
; %bb.83:
	v_lshlrev_b32_e32 v11, 3, v1
	s_mov_b32 s1, 0
	v_mad_u32_u24 v1, v1, 12, 0
	s_delay_alu instid0(VALU_DEP_2)
	v_add3_u32 v11, v11, s1, 0x274
.LBB60_84:                              ; =>This Inner Loop Header: Depth=1
	scratch_load_b96 v[32:34], v1, off offset:436
	scratch_load_b64 v[22:23], v11, off
	s_wait_xcnt 0x0
	v_dual_add_nc_u32 v11, 8, v11 :: v_dual_add_nc_u32 v1, 12, v1
	v_add_nc_u32_e32 v8, -1, v8
	s_delay_alu instid0(VALU_DEP_1) | instskip(SKIP_3) | instid1(VALU_DEP_1)
	v_cmp_eq_u32_e64 s1, 0, v8
	s_or_b32 s11, s1, s11
	s_wait_loadcnt 0x1
	v_mul_hi_u32 v21, v33, v20
	v_add_nc_u32_e32 v21, v20, v21
	s_delay_alu instid0(VALU_DEP_1) | instskip(NEXT) | instid1(VALU_DEP_1)
	v_lshrrev_b32_e32 v21, v34, v21
	v_mul_lo_u32 v32, v21, v32
	s_delay_alu instid0(VALU_DEP_1) | instskip(SKIP_1) | instid1(VALU_DEP_1)
	v_sub_nc_u32_e32 v20, v20, v32
	s_wait_loadcnt 0x0
	v_mad_u32 v15, v20, v23, v15
	v_mad_u32 v14, v20, v22, v14
	v_mov_b32_e32 v20, v21
	s_and_not1_b32 exec_lo, exec_lo, s11
	s_cbranch_execnz .LBB60_84
; %bb.85:
	s_or_b32 exec_lo, exec_lo, s11
.LBB60_86:
	s_delay_alu instid0(SALU_CYCLE_1)
	s_or_b32 exec_lo, exec_lo, s10
.LBB60_87:
	s_delay_alu instid0(SALU_CYCLE_1)
	s_or_b32 exec_lo, exec_lo, s9
                                        ; implicit-def: $vgpr20
.LBB60_88:
	s_and_not1_saveexec_b32 s1, s8
	s_cbranch_execz .LBB60_92
; %bb.89:
	v_mov_b32_e32 v21, 0
	s_delay_alu instid0(VALU_DEP_1) | instskip(NEXT) | instid1(VALU_DEP_1)
	v_mul_u64_e32 v[14:15], v[18:19], v[20:21]
	v_add_nc_u32_e32 v1, v20, v15
	s_delay_alu instid0(VALU_DEP_1) | instskip(NEXT) | instid1(VALU_DEP_1)
	v_lshrrev_b32_e32 v22, v9, v1
	v_mul_lo_u32 v1, v22, v7
	s_delay_alu instid0(VALU_DEP_1) | instskip(SKIP_1) | instid1(VALU_DEP_1)
	v_sub_nc_u32_e32 v1, v20, v1
	s_wait_loadcnt 0x0
	v_mul_lo_u32 v15, v1, v3
	v_mul_lo_u32 v14, v1, v2
	s_and_saveexec_b32 s8, vcc_lo
	s_cbranch_execz .LBB60_91
; %bb.90:
	v_mov_b32_e32 v23, v21
	s_delay_alu instid0(VALU_DEP_1) | instskip(NEXT) | instid1(VALU_DEP_1)
	v_mul_u64_e32 v[20:21], v[22:23], v[16:17]
	v_add_nc_u32_e32 v1, v22, v21
	s_delay_alu instid0(VALU_DEP_1) | instskip(NEXT) | instid1(VALU_DEP_1)
	v_lshrrev_b32_e32 v1, v12, v1
	v_mul_lo_u32 v1, v1, v10
	s_delay_alu instid0(VALU_DEP_1) | instskip(NEXT) | instid1(VALU_DEP_1)
	v_sub_nc_u32_e32 v1, v22, v1
	v_mad_u32 v14, v1, v4, v14
	v_mad_u32 v15, v1, v5, v15
.LBB60_91:
	s_or_b32 exec_lo, exec_lo, s8
.LBB60_92:
	s_delay_alu instid0(SALU_CYCLE_1) | instskip(SKIP_3) | instid1(VALU_DEP_2)
	s_or_b32 exec_lo, exec_lo, s1
	v_dual_mul_f32 v8, v31, v29 :: v_dual_mul_f32 v11, v30, v29
	v_cmp_lt_f32_e64 s1, 0, v30
	v_or_b32_e32 v1, 0x200, v0
	v_cndmask_b32_e64 v8, v8, v29, s1
	s_delay_alu instid0(VALU_DEP_4) | instskip(NEXT) | instid1(VALU_DEP_3)
	v_cndmask_b32_e64 v11, v11, 0, s1
	v_cmp_gt_i32_e64 s1, s33, v1
	global_store_b32 v14, v8, s[4:5] scale_offset
	global_store_b32 v15, v11, s[6:7] scale_offset
	s_wait_xcnt 0x0
	s_and_b32 exec_lo, exec_lo, s1
	s_cbranch_execz .LBB60_127
; %bb.93:
	v_add_nc_u32_e32 v20, s3, v1
                                        ; implicit-def: $vgpr15
	s_and_saveexec_b32 s1, s0
	s_delay_alu instid0(SALU_CYCLE_1)
	s_xor_b32 s8, exec_lo, s1
	s_cbranch_execz .LBB60_105
; %bb.94:
	v_dual_mov_b32 v15, 0 :: v_dual_mov_b32 v14, 0
	s_and_saveexec_b32 s9, s2
	s_cbranch_execz .LBB60_104
; %bb.95:
	v_mov_b64_e32 v[14:15], 0
	v_dual_mov_b32 v1, 0 :: v_dual_add_nc_u32 v8, 1, v6
	s_mov_b32 s10, exec_lo
	v_cmpx_ne_u32_e32 2, v35
	s_cbranch_execz .LBB60_99
; %bb.96:
	s_delay_alu instid0(VALU_DEP_2)
	v_dual_mov_b32 v14, 0 :: v_dual_bitop2_b32 v1, 28, v8 bitop3:0x40
	v_mov_b32_e32 v15, 0
	s_mov_b32 s11, 0
	s_mov_b32 s12, 0
	;; [unrolled: 1-line block ×4, first 2 shown]
.LBB60_97:                              ; =>This Inner Loop Header: Depth=1
	s_clause 0x4
	scratch_load_b128 v[30:33], off, s13 offset:436
	scratch_load_b128 v[36:39], off, s13 offset:452
	;; [unrolled: 1-line block ×5, first 2 shown]
	s_add_co_i32 s14, s14, 4
	s_mov_b32 s1, s13
                                        ; kill: killed $sgpr1
	v_cmp_eq_u32_e64 s1, s14, v1
	s_mov_b32 s15, s12
	s_wait_xcnt 0x2
	s_add_co_i32 s13, s13, 48
	s_wait_xcnt 0x0
	s_add_co_i32 s12, s12, 32
                                        ; kill: killed $sgpr15
	s_or_b32 s11, s1, s11
	s_wait_loadcnt 0x4
	v_mul_hi_u32 v11, v31, v20
	s_delay_alu instid0(VALU_DEP_1) | instskip(NEXT) | instid1(VALU_DEP_1)
	v_add_nc_u32_e32 v11, v20, v11
	v_lshrrev_b32_e32 v11, v32, v11
	s_wait_loadcnt 0x3
	s_delay_alu instid0(VALU_DEP_1) | instskip(NEXT) | instid1(VALU_DEP_1)
	v_mul_hi_u32 v21, v36, v11
	v_add_nc_u32_e32 v21, v11, v21
	s_delay_alu instid0(VALU_DEP_1) | instskip(NEXT) | instid1(VALU_DEP_1)
	v_lshrrev_b32_e32 v21, v37, v21
	v_mul_hi_u32 v22, v39, v21
	s_delay_alu instid0(VALU_DEP_1) | instskip(SKIP_1) | instid1(VALU_DEP_1)
	v_add_nc_u32_e32 v22, v21, v22
	v_mul_lo_u32 v23, v11, v30
	v_sub_nc_u32_e32 v20, v20, v23
	v_mul_lo_u32 v23, v21, v33
	s_wait_loadcnt 0x2
	v_lshrrev_b32_e32 v22, v40, v22
	s_wait_loadcnt 0x1
	v_mad_u32 v15, v20, v45, v15
	v_mad_u32 v14, v20, v44, v14
	s_delay_alu instid0(VALU_DEP_4) | instskip(SKIP_2) | instid1(VALU_DEP_3)
	v_sub_nc_u32_e32 v11, v11, v23
	v_mul_hi_u32 v29, v42, v22
	v_mul_lo_u32 v23, v22, v38
	v_mad_u32 v15, v11, v47, v15
	v_mad_u32 v11, v11, v46, v14
	s_delay_alu instid0(VALU_DEP_3) | instskip(NEXT) | instid1(VALU_DEP_1)
	v_dual_add_nc_u32 v20, v22, v29 :: v_dual_sub_nc_u32 v14, v21, v23
	v_lshrrev_b32_e32 v20, v43, v20
	s_wait_loadcnt 0x0
	s_delay_alu instid0(VALU_DEP_2) | instskip(NEXT) | instid1(VALU_DEP_4)
	v_mad_u32 v15, v14, v49, v15
	v_mad_u32 v11, v14, v48, v11
	s_delay_alu instid0(VALU_DEP_3) | instskip(NEXT) | instid1(VALU_DEP_1)
	v_mul_lo_u32 v21, v20, v41
	v_sub_nc_u32_e32 v14, v22, v21
	s_delay_alu instid0(VALU_DEP_1) | instskip(NEXT) | instid1(VALU_DEP_4)
	v_mad_u32 v15, v14, v51, v15
	v_mad_u32 v14, v14, v50, v11
	s_and_not1_b32 exec_lo, exec_lo, s11
	s_cbranch_execnz .LBB60_97
; %bb.98:
	s_or_b32 exec_lo, exec_lo, s11
.LBB60_99:
	s_delay_alu instid0(SALU_CYCLE_1) | instskip(SKIP_3) | instid1(VALU_DEP_1)
	s_or_b32 exec_lo, exec_lo, s10
	v_and_b32_e32 v8, 3, v8
	s_mov_b32 s11, 0
	s_mov_b32 s10, exec_lo
	v_cmpx_ne_u32_e32 0, v8
	s_cbranch_execz .LBB60_103
; %bb.100:
	v_lshlrev_b32_e32 v11, 3, v1
	s_mov_b32 s1, 0
	v_mad_u32_u24 v1, v1, 12, 0
	s_delay_alu instid0(VALU_DEP_2)
	v_add3_u32 v11, v11, s1, 0x274
.LBB60_101:                             ; =>This Inner Loop Header: Depth=1
	scratch_load_b96 v[30:32], v1, off offset:436
	scratch_load_b64 v[22:23], v11, off
	s_wait_xcnt 0x0
	v_dual_add_nc_u32 v8, -1, v8 :: v_dual_add_nc_u32 v11, 8, v11
	s_delay_alu instid0(VALU_DEP_1) | instskip(SKIP_3) | instid1(VALU_DEP_1)
	v_cmp_eq_u32_e64 s1, 0, v8
	s_or_b32 s11, s1, s11
	s_wait_loadcnt 0x1
	v_mul_hi_u32 v21, v31, v20
	v_add_nc_u32_e32 v21, v20, v21
	s_delay_alu instid0(VALU_DEP_1) | instskip(SKIP_1) | instid1(VALU_DEP_2)
	v_lshrrev_b32_e32 v21, v32, v21
	v_add_nc_u32_e32 v1, 12, v1
	v_mul_lo_u32 v29, v21, v30
	s_delay_alu instid0(VALU_DEP_1) | instskip(SKIP_1) | instid1(VALU_DEP_1)
	v_sub_nc_u32_e32 v20, v20, v29
	s_wait_loadcnt 0x0
	v_mad_u32 v15, v20, v23, v15
	v_mad_u32 v14, v20, v22, v14
	v_mov_b32_e32 v20, v21
	s_and_not1_b32 exec_lo, exec_lo, s11
	s_cbranch_execnz .LBB60_101
; %bb.102:
	s_or_b32 exec_lo, exec_lo, s11
.LBB60_103:
	s_delay_alu instid0(SALU_CYCLE_1)
	s_or_b32 exec_lo, exec_lo, s10
.LBB60_104:
	s_delay_alu instid0(SALU_CYCLE_1)
	s_or_b32 exec_lo, exec_lo, s9
                                        ; implicit-def: $vgpr20
.LBB60_105:
	s_and_not1_saveexec_b32 s1, s8
	s_cbranch_execz .LBB60_109
; %bb.106:
	v_mov_b32_e32 v21, 0
	s_delay_alu instid0(VALU_DEP_1) | instskip(NEXT) | instid1(VALU_DEP_1)
	v_mul_u64_e32 v[14:15], v[18:19], v[20:21]
	v_add_nc_u32_e32 v1, v20, v15
	s_delay_alu instid0(VALU_DEP_1) | instskip(NEXT) | instid1(VALU_DEP_1)
	v_lshrrev_b32_e32 v22, v9, v1
	v_mul_lo_u32 v1, v22, v7
	s_delay_alu instid0(VALU_DEP_1) | instskip(SKIP_1) | instid1(VALU_DEP_1)
	v_sub_nc_u32_e32 v1, v20, v1
	s_wait_loadcnt 0x0
	v_mul_lo_u32 v15, v1, v3
	v_mul_lo_u32 v14, v1, v2
	s_and_saveexec_b32 s8, vcc_lo
	s_cbranch_execz .LBB60_108
; %bb.107:
	v_mov_b32_e32 v23, v21
	s_delay_alu instid0(VALU_DEP_1) | instskip(NEXT) | instid1(VALU_DEP_1)
	v_mul_u64_e32 v[20:21], v[22:23], v[16:17]
	v_add_nc_u32_e32 v1, v22, v21
	s_delay_alu instid0(VALU_DEP_1) | instskip(NEXT) | instid1(VALU_DEP_1)
	v_lshrrev_b32_e32 v1, v12, v1
	v_mul_lo_u32 v1, v1, v10
	s_delay_alu instid0(VALU_DEP_1) | instskip(NEXT) | instid1(VALU_DEP_1)
	v_sub_nc_u32_e32 v1, v22, v1
	v_mad_u32 v14, v1, v4, v14
	v_mad_u32 v15, v1, v5, v15
.LBB60_108:
	s_or_b32 exec_lo, exec_lo, s8
.LBB60_109:
	s_delay_alu instid0(SALU_CYCLE_1) | instskip(SKIP_3) | instid1(VALU_DEP_2)
	s_or_b32 exec_lo, exec_lo, s1
	v_dual_mul_f32 v1, v28, v26 :: v_dual_mul_f32 v8, v27, v26
	v_cmp_lt_f32_e64 s1, 0, v27
	v_or_b32_e32 v0, 0x300, v0
	v_cndmask_b32_e64 v1, v1, v26, s1
	s_delay_alu instid0(VALU_DEP_4) | instskip(NEXT) | instid1(VALU_DEP_3)
	v_cndmask_b32_e64 v8, v8, 0, s1
	v_cmp_gt_i32_e64 s1, s33, v0
	global_store_b32 v14, v1, s[4:5] scale_offset
	global_store_b32 v15, v8, s[6:7] scale_offset
	s_wait_xcnt 0x0
	s_and_b32 exec_lo, exec_lo, s1
	s_cbranch_execz .LBB60_127
; %bb.110:
	v_add_nc_u32_e32 v14, s3, v0
                                        ; implicit-def: $vgpr1
	s_and_saveexec_b32 s1, s0
	s_delay_alu instid0(SALU_CYCLE_1)
	s_xor_b32 s1, exec_lo, s1
	s_cbranch_execz .LBB60_122
; %bb.111:
	v_dual_mov_b32 v1, 0 :: v_dual_mov_b32 v0, 0
	s_and_saveexec_b32 s3, s2
	s_cbranch_execz .LBB60_121
; %bb.112:
	v_mov_b64_e32 v[0:1], 0
	s_wait_loadcnt 0x0
	v_dual_mov_b32 v2, 0 :: v_dual_add_nc_u32 v3, 1, v6
	s_mov_b32 s2, exec_lo
	v_cmpx_ne_u32_e32 2, v35
	s_cbranch_execz .LBB60_116
; %bb.113:
	s_delay_alu instid0(VALU_DEP_2)
	v_dual_mov_b32 v0, 0 :: v_dual_bitop2_b32 v2, 28, v3 bitop3:0x40
	v_mov_b32_e32 v1, 0
	s_mov_b32 s8, 0
	s_mov_b32 s9, 0
	;; [unrolled: 1-line block ×4, first 2 shown]
.LBB60_114:                             ; =>This Inner Loop Header: Depth=1
	s_clause 0x4
	scratch_load_b128 v[4:7], off, s10 offset:436
	scratch_load_b128 v[8:11], off, s10 offset:452
	;; [unrolled: 1-line block ×5, first 2 shown]
	s_add_co_i32 s11, s11, 4
	s_mov_b32 s0, s10
                                        ; kill: killed $sgpr0
	v_cmp_eq_u32_e64 s0, s11, v2
	s_mov_b32 s12, s9
	s_wait_xcnt 0x2
	s_add_co_i32 s10, s10, 48
	s_wait_xcnt 0x0
	s_add_co_i32 s9, s9, 32
                                        ; kill: killed $sgpr12
	s_or_b32 s8, s0, s8
	s_wait_loadcnt 0x4
	v_mul_hi_u32 v5, v5, v14
	s_delay_alu instid0(VALU_DEP_1) | instskip(NEXT) | instid1(VALU_DEP_1)
	v_add_nc_u32_e32 v5, v14, v5
	v_lshrrev_b32_e32 v5, v6, v5
	s_wait_loadcnt 0x3
	s_delay_alu instid0(VALU_DEP_1) | instskip(NEXT) | instid1(VALU_DEP_1)
	v_mul_hi_u32 v6, v8, v5
	v_add_nc_u32_e32 v6, v5, v6
	s_delay_alu instid0(VALU_DEP_1) | instskip(NEXT) | instid1(VALU_DEP_1)
	v_lshrrev_b32_e32 v6, v9, v6
	v_mul_hi_u32 v8, v11, v6
	v_mul_lo_u32 v7, v6, v7
	s_delay_alu instid0(VALU_DEP_2) | instskip(SKIP_2) | instid1(VALU_DEP_2)
	v_add_nc_u32_e32 v8, v6, v8
	v_mul_lo_u32 v4, v5, v4
	s_wait_loadcnt 0x2
	v_lshrrev_b32_e32 v8, v16, v8
	s_delay_alu instid0(VALU_DEP_2) | instskip(SKIP_1) | instid1(VALU_DEP_1)
	v_sub_nc_u32_e32 v4, v14, v4
	s_wait_loadcnt 0x1
	v_mad_u32 v1, v4, v21, v1
	v_mad_u32 v0, v4, v20, v0
	v_sub_nc_u32_e32 v4, v5, v7
	v_mul_hi_u32 v9, v18, v8
	v_mul_lo_u32 v5, v8, v10
	s_delay_alu instid0(VALU_DEP_3) | instskip(SKIP_1) | instid1(VALU_DEP_4)
	v_mad_u32 v1, v4, v23, v1
	v_mad_u32 v0, v4, v22, v0
	v_add_nc_u32_e32 v7, v8, v9
	s_delay_alu instid0(VALU_DEP_1) | instskip(SKIP_1) | instid1(VALU_DEP_1)
	v_dual_sub_nc_u32 v4, v6, v5 :: v_dual_lshrrev_b32 v14, v19, v7
	s_wait_loadcnt 0x0
	v_mad_u32 v1, v4, v27, v1
	s_delay_alu instid0(VALU_DEP_4) | instskip(NEXT) | instid1(VALU_DEP_3)
	v_mad_u32 v0, v4, v26, v0
	v_mul_lo_u32 v5, v14, v17
	s_delay_alu instid0(VALU_DEP_1) | instskip(NEXT) | instid1(VALU_DEP_1)
	v_sub_nc_u32_e32 v4, v8, v5
	v_mad_u32 v1, v4, v29, v1
	s_delay_alu instid0(VALU_DEP_4)
	v_mad_u32 v0, v4, v28, v0
	s_and_not1_b32 exec_lo, exec_lo, s8
	s_cbranch_execnz .LBB60_114
; %bb.115:
	s_or_b32 exec_lo, exec_lo, s8
.LBB60_116:
	s_delay_alu instid0(SALU_CYCLE_1) | instskip(SKIP_3) | instid1(VALU_DEP_1)
	s_or_b32 exec_lo, exec_lo, s2
	v_and_b32_e32 v3, 3, v3
	s_mov_b32 s8, 0
	s_mov_b32 s2, exec_lo
	v_cmpx_ne_u32_e32 0, v3
	s_cbranch_execz .LBB60_120
; %bb.117:
	v_lshlrev_b32_e32 v4, 3, v2
	s_mov_b32 s0, 0
	v_mad_u32_u24 v2, v2, 12, 0
	s_delay_alu instid0(VALU_DEP_2)
	v_add3_u32 v4, v4, s0, 0x274
.LBB60_118:                             ; =>This Inner Loop Header: Depth=1
	scratch_load_b96 v[6:8], v2, off offset:436
	scratch_load_b64 v[10:11], v4, off
	s_wait_xcnt 0x0
	v_dual_add_nc_u32 v4, 8, v4 :: v_dual_add_nc_u32 v2, 12, v2
	v_add_nc_u32_e32 v3, -1, v3
	s_delay_alu instid0(VALU_DEP_1) | instskip(SKIP_3) | instid1(VALU_DEP_1)
	v_cmp_eq_u32_e64 s0, 0, v3
	s_or_b32 s8, s0, s8
	s_wait_loadcnt 0x1
	v_mul_hi_u32 v5, v7, v14
	v_add_nc_u32_e32 v5, v14, v5
	s_delay_alu instid0(VALU_DEP_1) | instskip(NEXT) | instid1(VALU_DEP_1)
	v_lshrrev_b32_e32 v5, v8, v5
	v_mul_lo_u32 v6, v5, v6
	s_delay_alu instid0(VALU_DEP_1) | instskip(SKIP_1) | instid1(VALU_DEP_1)
	v_dual_sub_nc_u32 v6, v14, v6 :: v_dual_mov_b32 v14, v5
	s_wait_loadcnt 0x0
	v_mad_u32 v1, v6, v11, v1
	v_mad_u32 v0, v6, v10, v0
	s_and_not1_b32 exec_lo, exec_lo, s8
	s_cbranch_execnz .LBB60_118
; %bb.119:
	s_or_b32 exec_lo, exec_lo, s8
.LBB60_120:
	s_delay_alu instid0(SALU_CYCLE_1)
	s_or_b32 exec_lo, exec_lo, s2
.LBB60_121:
	s_delay_alu instid0(SALU_CYCLE_1)
	s_or_b32 exec_lo, exec_lo, s3
                                        ; implicit-def: $vgpr14
                                        ; implicit-def: $vgpr18_vgpr19
                                        ; implicit-def: $vgpr6_vgpr7_vgpr8_vgpr9
                                        ; implicit-def: $vgpr2_vgpr3_vgpr4_vgpr5
                                        ; implicit-def: $vgpr16_vgpr17
                                        ; implicit-def: $vgpr10_vgpr11_vgpr12
.LBB60_122:
	s_and_not1_saveexec_b32 s0, s1
	s_cbranch_execz .LBB60_126
; %bb.123:
	v_mov_b32_e32 v15, 0
	s_delay_alu instid0(VALU_DEP_1) | instskip(NEXT) | instid1(VALU_DEP_1)
	v_mul_u64_e32 v[0:1], v[18:19], v[14:15]
	v_add_nc_u32_e32 v0, v14, v1
	s_delay_alu instid0(VALU_DEP_1) | instskip(NEXT) | instid1(VALU_DEP_1)
	v_lshrrev_b32_e32 v6, v9, v0
	v_mul_lo_u32 v0, v6, v7
	s_delay_alu instid0(VALU_DEP_1) | instskip(SKIP_1) | instid1(VALU_DEP_1)
	v_sub_nc_u32_e32 v0, v14, v0
	s_wait_loadcnt 0x0
	v_mul_lo_u32 v1, v0, v3
	v_mul_lo_u32 v0, v0, v2
	s_and_saveexec_b32 s1, vcc_lo
	s_cbranch_execz .LBB60_125
; %bb.124:
	v_mov_b32_e32 v7, v15
	s_delay_alu instid0(VALU_DEP_1) | instskip(NEXT) | instid1(VALU_DEP_1)
	v_mul_u64_e32 v[2:3], v[6:7], v[16:17]
	v_add_nc_u32_e32 v2, v6, v3
	s_delay_alu instid0(VALU_DEP_1) | instskip(NEXT) | instid1(VALU_DEP_1)
	v_lshrrev_b32_e32 v2, v12, v2
	v_mul_lo_u32 v2, v2, v10
	s_delay_alu instid0(VALU_DEP_1) | instskip(NEXT) | instid1(VALU_DEP_1)
	v_sub_nc_u32_e32 v2, v6, v2
	v_mad_u32 v0, v2, v4, v0
	v_mad_u32 v1, v2, v5, v1
.LBB60_125:
	s_or_b32 exec_lo, exec_lo, s1
.LBB60_126:
	s_delay_alu instid0(SALU_CYCLE_1) | instskip(SKIP_3) | instid1(VALU_DEP_2)
	s_or_b32 exec_lo, exec_lo, s0
	s_wait_loadcnt 0x0
	v_dual_mul_f32 v2, v24, v13 :: v_dual_mul_f32 v3, v25, v13
	v_cmp_lt_f32_e32 vcc_lo, 0, v25
	v_cndmask_b32_e32 v2, v2, v13, vcc_lo
	s_delay_alu instid0(VALU_DEP_3)
	v_cndmask_b32_e64 v3, v3, 0, vcc_lo
	global_store_b32 v0, v2, s[4:5] scale_offset
	global_store_b32 v1, v3, s[6:7] scale_offset
.LBB60_127:
	s_endpgm
	.section	.rodata,"a",@progbits
	.p2align	6, 0x0
	.amdhsa_kernel _ZN2at6native12_GLOBAL__N_145unrolled_elementwise_kernel_for_multi_outputsILi2EZZZNS0_21prelu_backward_kernelERNS_14TensorIteratorEENKUlvE_clEvENKUlvE0_clEvEUlfffE_St5arrayIPcLm5EE16OffsetCalculatorILi3EjLb0EESB_ILi2EjLb0EEEEviT0_T1_T2_T3_
		.amdhsa_group_segment_fixed_size 0
		.amdhsa_private_segment_fixed_size 768
		.amdhsa_kernarg_size 760
		.amdhsa_user_sgpr_count 2
		.amdhsa_user_sgpr_dispatch_ptr 0
		.amdhsa_user_sgpr_queue_ptr 0
		.amdhsa_user_sgpr_kernarg_segment_ptr 1
		.amdhsa_user_sgpr_dispatch_id 0
		.amdhsa_user_sgpr_kernarg_preload_length 0
		.amdhsa_user_sgpr_kernarg_preload_offset 0
		.amdhsa_user_sgpr_private_segment_size 0
		.amdhsa_wavefront_size32 1
		.amdhsa_uses_dynamic_stack 0
		.amdhsa_enable_private_segment 1
		.amdhsa_system_sgpr_workgroup_id_x 1
		.amdhsa_system_sgpr_workgroup_id_y 0
		.amdhsa_system_sgpr_workgroup_id_z 0
		.amdhsa_system_sgpr_workgroup_info 0
		.amdhsa_system_vgpr_workitem_id 0
		.amdhsa_next_free_vgpr 56
		.amdhsa_next_free_sgpr 84
		.amdhsa_named_barrier_count 0
		.amdhsa_reserve_vcc 1
		.amdhsa_float_round_mode_32 0
		.amdhsa_float_round_mode_16_64 0
		.amdhsa_float_denorm_mode_32 3
		.amdhsa_float_denorm_mode_16_64 3
		.amdhsa_fp16_overflow 0
		.amdhsa_memory_ordered 1
		.amdhsa_forward_progress 1
		.amdhsa_inst_pref_size 63
		.amdhsa_round_robin_scheduling 0
		.amdhsa_exception_fp_ieee_invalid_op 0
		.amdhsa_exception_fp_denorm_src 0
		.amdhsa_exception_fp_ieee_div_zero 0
		.amdhsa_exception_fp_ieee_overflow 0
		.amdhsa_exception_fp_ieee_underflow 0
		.amdhsa_exception_fp_ieee_inexact 0
		.amdhsa_exception_int_div_zero 0
	.end_amdhsa_kernel
	.section	.text._ZN2at6native12_GLOBAL__N_145unrolled_elementwise_kernel_for_multi_outputsILi2EZZZNS0_21prelu_backward_kernelERNS_14TensorIteratorEENKUlvE_clEvENKUlvE0_clEvEUlfffE_St5arrayIPcLm5EE16OffsetCalculatorILi3EjLb0EESB_ILi2EjLb0EEEEviT0_T1_T2_T3_,"axG",@progbits,_ZN2at6native12_GLOBAL__N_145unrolled_elementwise_kernel_for_multi_outputsILi2EZZZNS0_21prelu_backward_kernelERNS_14TensorIteratorEENKUlvE_clEvENKUlvE0_clEvEUlfffE_St5arrayIPcLm5EE16OffsetCalculatorILi3EjLb0EESB_ILi2EjLb0EEEEviT0_T1_T2_T3_,comdat
.Lfunc_end60:
	.size	_ZN2at6native12_GLOBAL__N_145unrolled_elementwise_kernel_for_multi_outputsILi2EZZZNS0_21prelu_backward_kernelERNS_14TensorIteratorEENKUlvE_clEvENKUlvE0_clEvEUlfffE_St5arrayIPcLm5EE16OffsetCalculatorILi3EjLb0EESB_ILi2EjLb0EEEEviT0_T1_T2_T3_, .Lfunc_end60-_ZN2at6native12_GLOBAL__N_145unrolled_elementwise_kernel_for_multi_outputsILi2EZZZNS0_21prelu_backward_kernelERNS_14TensorIteratorEENKUlvE_clEvENKUlvE0_clEvEUlfffE_St5arrayIPcLm5EE16OffsetCalculatorILi3EjLb0EESB_ILi2EjLb0EEEEviT0_T1_T2_T3_
                                        ; -- End function
	.set _ZN2at6native12_GLOBAL__N_145unrolled_elementwise_kernel_for_multi_outputsILi2EZZZNS0_21prelu_backward_kernelERNS_14TensorIteratorEENKUlvE_clEvENKUlvE0_clEvEUlfffE_St5arrayIPcLm5EE16OffsetCalculatorILi3EjLb0EESB_ILi2EjLb0EEEEviT0_T1_T2_T3_.num_vgpr, 56
	.set _ZN2at6native12_GLOBAL__N_145unrolled_elementwise_kernel_for_multi_outputsILi2EZZZNS0_21prelu_backward_kernelERNS_14TensorIteratorEENKUlvE_clEvENKUlvE0_clEvEUlfffE_St5arrayIPcLm5EE16OffsetCalculatorILi3EjLb0EESB_ILi2EjLb0EEEEviT0_T1_T2_T3_.num_agpr, 0
	.set _ZN2at6native12_GLOBAL__N_145unrolled_elementwise_kernel_for_multi_outputsILi2EZZZNS0_21prelu_backward_kernelERNS_14TensorIteratorEENKUlvE_clEvENKUlvE0_clEvEUlfffE_St5arrayIPcLm5EE16OffsetCalculatorILi3EjLb0EESB_ILi2EjLb0EEEEviT0_T1_T2_T3_.numbered_sgpr, 84
	.set _ZN2at6native12_GLOBAL__N_145unrolled_elementwise_kernel_for_multi_outputsILi2EZZZNS0_21prelu_backward_kernelERNS_14TensorIteratorEENKUlvE_clEvENKUlvE0_clEvEUlfffE_St5arrayIPcLm5EE16OffsetCalculatorILi3EjLb0EESB_ILi2EjLb0EEEEviT0_T1_T2_T3_.num_named_barrier, 0
	.set _ZN2at6native12_GLOBAL__N_145unrolled_elementwise_kernel_for_multi_outputsILi2EZZZNS0_21prelu_backward_kernelERNS_14TensorIteratorEENKUlvE_clEvENKUlvE0_clEvEUlfffE_St5arrayIPcLm5EE16OffsetCalculatorILi3EjLb0EESB_ILi2EjLb0EEEEviT0_T1_T2_T3_.private_seg_size, 768
	.set _ZN2at6native12_GLOBAL__N_145unrolled_elementwise_kernel_for_multi_outputsILi2EZZZNS0_21prelu_backward_kernelERNS_14TensorIteratorEENKUlvE_clEvENKUlvE0_clEvEUlfffE_St5arrayIPcLm5EE16OffsetCalculatorILi3EjLb0EESB_ILi2EjLb0EEEEviT0_T1_T2_T3_.uses_vcc, 1
	.set _ZN2at6native12_GLOBAL__N_145unrolled_elementwise_kernel_for_multi_outputsILi2EZZZNS0_21prelu_backward_kernelERNS_14TensorIteratorEENKUlvE_clEvENKUlvE0_clEvEUlfffE_St5arrayIPcLm5EE16OffsetCalculatorILi3EjLb0EESB_ILi2EjLb0EEEEviT0_T1_T2_T3_.uses_flat_scratch, 1
	.set _ZN2at6native12_GLOBAL__N_145unrolled_elementwise_kernel_for_multi_outputsILi2EZZZNS0_21prelu_backward_kernelERNS_14TensorIteratorEENKUlvE_clEvENKUlvE0_clEvEUlfffE_St5arrayIPcLm5EE16OffsetCalculatorILi3EjLb0EESB_ILi2EjLb0EEEEviT0_T1_T2_T3_.has_dyn_sized_stack, 0
	.set _ZN2at6native12_GLOBAL__N_145unrolled_elementwise_kernel_for_multi_outputsILi2EZZZNS0_21prelu_backward_kernelERNS_14TensorIteratorEENKUlvE_clEvENKUlvE0_clEvEUlfffE_St5arrayIPcLm5EE16OffsetCalculatorILi3EjLb0EESB_ILi2EjLb0EEEEviT0_T1_T2_T3_.has_recursion, 0
	.set _ZN2at6native12_GLOBAL__N_145unrolled_elementwise_kernel_for_multi_outputsILi2EZZZNS0_21prelu_backward_kernelERNS_14TensorIteratorEENKUlvE_clEvENKUlvE0_clEvEUlfffE_St5arrayIPcLm5EE16OffsetCalculatorILi3EjLb0EESB_ILi2EjLb0EEEEviT0_T1_T2_T3_.has_indirect_call, 0
	.section	.AMDGPU.csdata,"",@progbits
; Kernel info:
; codeLenInByte = 8044
; TotalNumSgprs: 86
; NumVgprs: 56
; ScratchSize: 768
; MemoryBound: 0
; FloatMode: 240
; IeeeMode: 1
; LDSByteSize: 0 bytes/workgroup (compile time only)
; SGPRBlocks: 0
; VGPRBlocks: 3
; NumSGPRsForWavesPerEU: 86
; NumVGPRsForWavesPerEU: 56
; NamedBarCnt: 0
; Occupancy: 16
; WaveLimiterHint : 1
; COMPUTE_PGM_RSRC2:SCRATCH_EN: 1
; COMPUTE_PGM_RSRC2:USER_SGPR: 2
; COMPUTE_PGM_RSRC2:TRAP_HANDLER: 0
; COMPUTE_PGM_RSRC2:TGID_X_EN: 1
; COMPUTE_PGM_RSRC2:TGID_Y_EN: 0
; COMPUTE_PGM_RSRC2:TGID_Z_EN: 0
; COMPUTE_PGM_RSRC2:TIDIG_COMP_CNT: 0
	.section	.text._ZN2at6native12_GLOBAL__N_145unrolled_elementwise_kernel_for_multi_outputsILi2EZZZNS0_21prelu_backward_kernelERNS_14TensorIteratorEENKUlvE_clEvENKUlvE1_clEvEUlN3c108BFloat16ES8_S8_E_St5arrayIPcLm5EE23TrivialOffsetCalculatorILi3EjESD_ILi2EjEEEviT0_T1_T2_T3_,"axG",@progbits,_ZN2at6native12_GLOBAL__N_145unrolled_elementwise_kernel_for_multi_outputsILi2EZZZNS0_21prelu_backward_kernelERNS_14TensorIteratorEENKUlvE_clEvENKUlvE1_clEvEUlN3c108BFloat16ES8_S8_E_St5arrayIPcLm5EE23TrivialOffsetCalculatorILi3EjESD_ILi2EjEEEviT0_T1_T2_T3_,comdat
	.globl	_ZN2at6native12_GLOBAL__N_145unrolled_elementwise_kernel_for_multi_outputsILi2EZZZNS0_21prelu_backward_kernelERNS_14TensorIteratorEENKUlvE_clEvENKUlvE1_clEvEUlN3c108BFloat16ES8_S8_E_St5arrayIPcLm5EE23TrivialOffsetCalculatorILi3EjESD_ILi2EjEEEviT0_T1_T2_T3_ ; -- Begin function _ZN2at6native12_GLOBAL__N_145unrolled_elementwise_kernel_for_multi_outputsILi2EZZZNS0_21prelu_backward_kernelERNS_14TensorIteratorEENKUlvE_clEvENKUlvE1_clEvEUlN3c108BFloat16ES8_S8_E_St5arrayIPcLm5EE23TrivialOffsetCalculatorILi3EjESD_ILi2EjEEEviT0_T1_T2_T3_
	.p2align	8
	.type	_ZN2at6native12_GLOBAL__N_145unrolled_elementwise_kernel_for_multi_outputsILi2EZZZNS0_21prelu_backward_kernelERNS_14TensorIteratorEENKUlvE_clEvENKUlvE1_clEvEUlN3c108BFloat16ES8_S8_E_St5arrayIPcLm5EE23TrivialOffsetCalculatorILi3EjESD_ILi2EjEEEviT0_T1_T2_T3_,@function
_ZN2at6native12_GLOBAL__N_145unrolled_elementwise_kernel_for_multi_outputsILi2EZZZNS0_21prelu_backward_kernelERNS_14TensorIteratorEENKUlvE_clEvENKUlvE1_clEvEUlN3c108BFloat16ES8_S8_E_St5arrayIPcLm5EE23TrivialOffsetCalculatorILi3EjESD_ILi2EjEEEviT0_T1_T2_T3_: ; @_ZN2at6native12_GLOBAL__N_145unrolled_elementwise_kernel_for_multi_outputsILi2EZZZNS0_21prelu_backward_kernelERNS_14TensorIteratorEENKUlvE_clEvENKUlvE1_clEvEUlN3c108BFloat16ES8_S8_E_St5arrayIPcLm5EE23TrivialOffsetCalculatorILi3EjESD_ILi2EjEEEviT0_T1_T2_T3_
; %bb.0:
	s_load_b32 s4, s[0:1], 0x0
	s_bfe_u32 s2, ttmp6, 0x4000c
	s_load_b256 s[8:15], s[0:1], 0x8
	s_add_co_i32 s2, s2, 1
	s_and_b32 s5, ttmp6, 15
	s_mul_i32 s7, ttmp9, s2
	s_load_b64 s[2:3], s[0:1], 0x28
	s_getreg_b32 s6, hwreg(HW_REG_IB_STS2, 6, 4)
	s_add_co_i32 s5, s5, s7
	s_cmp_eq_u32 s6, 0
	v_dual_mov_b32 v5, 0 :: v_dual_mov_b32 v3, 0
	s_wait_xcnt 0x0
	s_cselect_b32 s0, ttmp9, s5
	v_dual_mov_b32 v4, 0 :: v_dual_mov_b32 v9, 0
	s_lshl_b32 s5, s0, 10
	v_dual_mov_b32 v8, 0 :: v_dual_mov_b32 v7, 0
	v_dual_mov_b32 v12, 0 :: v_dual_bitop2_b32 v2, s5, v0 bitop3:0x54
	s_wait_kmcnt 0x0
	s_sub_co_i32 s4, s4, s5
	v_or_b32_e32 v1, 0x100, v0
	v_cmp_gt_i32_e32 vcc_lo, s4, v0
	v_dual_mov_b32 v11, 0 :: v_dual_mov_b32 v10, 0
	v_dual_mov_b32 v15, 0 :: v_dual_mov_b32 v14, 0
	;; [unrolled: 1-line block ×3, first 2 shown]
	s_and_saveexec_b32 s1, vcc_lo
	s_cbranch_execz .LBB61_8
; %bb.1:
	s_clause 0x2
	global_load_u16 v15, v2, s[12:13] scale_offset
	global_load_u16 v14, v2, s[14:15] scale_offset
	;; [unrolled: 1-line block ×3, first 2 shown]
	v_dual_mov_b32 v10, 0 :: v_dual_mov_b32 v6, 0
	v_dual_mov_b32 v5, 0 :: v_dual_mov_b32 v11, 0
	;; [unrolled: 1-line block ×4, first 2 shown]
	v_mov_b32_e32 v4, 0
	s_mov_b32 s6, exec_lo
	s_wait_xcnt 0x0
	v_cmpx_gt_u32_e64 s4, v1
	s_cbranch_execz .LBB61_7
; %bb.2:
	v_dual_mov_b32 v7, 0 :: v_dual_add_nc_u32 v4, s5, v1
	v_or_b32_e32 v16, 0x200, v0
	v_dual_mov_b32 v6, 0 :: v_dual_mov_b32 v5, 0
	s_clause 0x2
	global_load_u16 v12, v4, s[12:13] scale_offset
	global_load_u16 v11, v4, s[14:15] scale_offset
	;; [unrolled: 1-line block ×3, first 2 shown]
	v_dual_mov_b32 v8, 0 :: v_dual_mov_b32 v9, 0
	s_wait_xcnt 0x0
	v_mov_b32_e32 v4, 0
	s_mov_b32 s7, exec_lo
	v_cmpx_gt_u32_e64 s4, v16
	s_cbranch_execz .LBB61_6
; %bb.3:
	v_dual_add_nc_u32 v4, s5, v16 :: v_dual_mov_b32 v6, 0
	v_or_b32_e32 v16, 0x300, v0
	s_mov_b32 s16, exec_lo
	s_clause 0x2
	global_load_u16 v9, v4, s[12:13] scale_offset
	global_load_u16 v8, v4, s[14:15] scale_offset
	;; [unrolled: 1-line block ×3, first 2 shown]
	s_wait_xcnt 0x0
	v_dual_mov_b32 v4, 0 :: v_dual_mov_b32 v5, 0
	v_cmpx_gt_u32_e64 s4, v16
	s_cbranch_execz .LBB61_5
; %bb.4:
	v_add_nc_u32_e32 v5, s5, v16
	s_clause 0x2
	global_load_u16 v6, v5, s[14:15] scale_offset
	global_load_u16 v16, v5, s[12:13] scale_offset
	;; [unrolled: 1-line block ×3, first 2 shown]
	s_wait_loadcnt 0x1
	s_wait_xcnt 0x0
	v_dual_lshlrev_b32 v5, 16, v6 :: v_dual_lshlrev_b32 v6, 16, v16
.LBB61_5:
	s_or_b32 exec_lo, exec_lo, s16
.LBB61_6:
	s_delay_alu instid0(SALU_CYCLE_1)
	s_or_b32 exec_lo, exec_lo, s7
.LBB61_7:
	s_delay_alu instid0(SALU_CYCLE_1)
	s_or_b32 exec_lo, exec_lo, s6
.LBB61_8:
	s_delay_alu instid0(SALU_CYCLE_1)
	s_or_b32 exec_lo, exec_lo, s1
	s_and_saveexec_b32 s2, vcc_lo
	s_cbranch_execz .LBB61_14
; %bb.9:
	s_wait_loadcnt 0x0
	v_dual_lshlrev_b32 v3, 16, v15 :: v_dual_lshlrev_b32 v15, 16, v13
	s_delay_alu instid0(VALU_DEP_1)
	v_cmp_nlt_f32_e64 s0, 0, v3
	s_and_saveexec_b32 s3, s0
	s_cbranch_execz .LBB61_11
; %bb.10:
	v_lshlrev_b32_e32 v13, 16, v14
	s_delay_alu instid0(VALU_DEP_1) | instskip(NEXT) | instid1(VALU_DEP_1)
	v_mul_f32_e32 v13, v13, v15
	v_bfe_u32 v14, v13, 16, 1
	v_cmp_o_f32_e64 s1, v13, v13
	s_delay_alu instid0(VALU_DEP_2) | instskip(NEXT) | instid1(VALU_DEP_1)
	v_add3_u32 v14, v13, v14, 0x7fff
	v_lshrrev_b32_e32 v14, 16, v14
	s_delay_alu instid0(VALU_DEP_1)
	v_cndmask_b32_e64 v13, 0x7fc0, v14, s1
.LBB61_11:
	s_or_b32 exec_lo, exec_lo, s3
	v_mov_b32_e32 v14, 0
	s_and_saveexec_b32 s1, s0
; %bb.12:
	v_mul_f32_e32 v3, v3, v15
	s_delay_alu instid0(VALU_DEP_1) | instskip(SKIP_1) | instid1(VALU_DEP_2)
	v_bfe_u32 v14, v3, 16, 1
	v_cmp_o_f32_e64 s0, v3, v3
	v_add3_u32 v14, v3, v14, 0x7fff
	s_delay_alu instid0(VALU_DEP_1) | instskip(NEXT) | instid1(VALU_DEP_1)
	v_and_b32_e32 v14, 0xffff0000, v14
	v_cndmask_b32_e64 v14, 0x7fc00000, v14, s0
; %bb.13:
	s_or_b32 exec_lo, exec_lo, s1
	s_delay_alu instid0(VALU_DEP_1) | instskip(NEXT) | instid1(VALU_DEP_1)
	v_or_b32_e32 v3, v13, v14
	v_and_b32_e32 v3, 0xffff, v3
	s_delay_alu instid0(VALU_DEP_1)
	v_and_or_b32 v3, 0xffff0000, v14, v3
.LBB61_14:
	s_or_b32 exec_lo, exec_lo, s2
	v_cmp_gt_i32_e64 s0, s4, v1
	s_wait_loadcnt 0x0
	v_mov_b32_e32 v13, 0
	s_and_saveexec_b32 s3, s0
	s_cbranch_execz .LBB61_20
; %bb.15:
	v_dual_lshlrev_b32 v12, 16, v12 :: v_dual_lshlrev_b32 v13, 16, v10
	s_delay_alu instid0(VALU_DEP_1)
	v_cmp_nlt_f32_e64 s1, 0, v12
	s_and_saveexec_b32 s6, s1
	s_cbranch_execz .LBB61_17
; %bb.16:
	v_lshlrev_b32_e32 v10, 16, v11
	s_delay_alu instid0(VALU_DEP_1) | instskip(NEXT) | instid1(VALU_DEP_1)
	v_mul_f32_e32 v10, v10, v13
	v_bfe_u32 v11, v10, 16, 1
	v_cmp_o_f32_e64 s2, v10, v10
	s_delay_alu instid0(VALU_DEP_2) | instskip(NEXT) | instid1(VALU_DEP_1)
	v_add3_u32 v11, v10, v11, 0x7fff
	v_lshrrev_b32_e32 v11, 16, v11
	s_delay_alu instid0(VALU_DEP_1)
	v_cndmask_b32_e64 v10, 0x7fc0, v11, s2
.LBB61_17:
	s_or_b32 exec_lo, exec_lo, s6
	v_mov_b32_e32 v11, 0
	s_and_saveexec_b32 s2, s1
; %bb.18:
	v_mul_f32_e32 v11, v12, v13
	s_delay_alu instid0(VALU_DEP_1) | instskip(SKIP_1) | instid1(VALU_DEP_2)
	v_bfe_u32 v12, v11, 16, 1
	v_cmp_o_f32_e64 s1, v11, v11
	v_add3_u32 v12, v11, v12, 0x7fff
	s_delay_alu instid0(VALU_DEP_1) | instskip(NEXT) | instid1(VALU_DEP_1)
	v_and_b32_e32 v12, 0xffff0000, v12
	v_cndmask_b32_e64 v11, 0x7fc00000, v12, s1
; %bb.19:
	s_or_b32 exec_lo, exec_lo, s2
	s_delay_alu instid0(VALU_DEP_1) | instskip(NEXT) | instid1(VALU_DEP_1)
	v_or_b32_e32 v10, v10, v11
	v_and_b32_e32 v10, 0xffff, v10
	s_delay_alu instid0(VALU_DEP_1)
	v_and_or_b32 v13, 0xffff0000, v11, v10
.LBB61_20:
	s_or_b32 exec_lo, exec_lo, s3
	v_or_b32_e32 v10, 0x200, v0
	v_mov_b32_e32 v11, 0
	s_delay_alu instid0(VALU_DEP_2)
	v_cmp_gt_i32_e64 s1, s4, v10
	s_and_saveexec_b32 s6, s1
	s_cbranch_execz .LBB61_26
; %bb.21:
	v_dual_lshlrev_b32 v9, 16, v9 :: v_dual_lshlrev_b32 v11, 16, v7
	s_delay_alu instid0(VALU_DEP_1)
	v_cmp_nlt_f32_e64 s2, 0, v9
	s_and_saveexec_b32 s7, s2
	s_cbranch_execz .LBB61_23
; %bb.22:
	v_lshlrev_b32_e32 v7, 16, v8
	s_delay_alu instid0(VALU_DEP_1) | instskip(NEXT) | instid1(VALU_DEP_1)
	v_mul_f32_e32 v7, v7, v11
	v_bfe_u32 v8, v7, 16, 1
	v_cmp_o_f32_e64 s3, v7, v7
	s_delay_alu instid0(VALU_DEP_2) | instskip(NEXT) | instid1(VALU_DEP_1)
	v_add3_u32 v8, v7, v8, 0x7fff
	v_lshrrev_b32_e32 v8, 16, v8
	s_delay_alu instid0(VALU_DEP_1)
	v_cndmask_b32_e64 v7, 0x7fc0, v8, s3
.LBB61_23:
	s_or_b32 exec_lo, exec_lo, s7
	v_mov_b32_e32 v8, 0
	s_and_saveexec_b32 s3, s2
; %bb.24:
	v_mul_f32_e32 v8, v9, v11
	s_delay_alu instid0(VALU_DEP_1) | instskip(SKIP_1) | instid1(VALU_DEP_2)
	v_bfe_u32 v9, v8, 16, 1
	v_cmp_o_f32_e64 s2, v8, v8
	v_add3_u32 v9, v8, v9, 0x7fff
	s_delay_alu instid0(VALU_DEP_1) | instskip(NEXT) | instid1(VALU_DEP_1)
	v_and_b32_e32 v9, 0xffff0000, v9
	v_cndmask_b32_e64 v8, 0x7fc00000, v9, s2
; %bb.25:
	s_or_b32 exec_lo, exec_lo, s3
	s_delay_alu instid0(VALU_DEP_1) | instskip(NEXT) | instid1(VALU_DEP_1)
	v_or_b32_e32 v7, v7, v8
	v_and_b32_e32 v7, 0xffff, v7
	s_delay_alu instid0(VALU_DEP_1)
	v_and_or_b32 v11, 0xffff0000, v8, v7
.LBB61_26:
	s_or_b32 exec_lo, exec_lo, s6
	v_or_b32_e32 v0, 0x300, v0
	v_mov_b32_e32 v7, 0
	s_delay_alu instid0(VALU_DEP_2)
	v_cmp_gt_i32_e64 s2, s4, v0
	s_and_saveexec_b32 s6, s2
	s_cbranch_execz .LBB61_32
; %bb.27:
	v_cmp_nlt_f32_e64 s3, 0, v6
	v_lshlrev_b32_e32 v7, 16, v4
	s_and_saveexec_b32 s7, s3
; %bb.28:
	s_delay_alu instid0(VALU_DEP_1) | instskip(NEXT) | instid1(VALU_DEP_1)
	v_mul_f32_e32 v4, v5, v7
	v_bfe_u32 v5, v4, 16, 1
	s_delay_alu instid0(VALU_DEP_1) | instskip(NEXT) | instid1(VALU_DEP_1)
	v_add3_u32 v5, v4, v5, 0x7fff
	v_lshrrev_b32_e32 v5, 16, v5
	v_cmp_o_f32_e64 s4, v4, v4
	s_delay_alu instid0(VALU_DEP_1)
	v_cndmask_b32_e64 v4, 0x7fc0, v5, s4
; %bb.29:
	s_or_b32 exec_lo, exec_lo, s7
	v_mov_b32_e32 v5, 0
	s_and_saveexec_b32 s4, s3
; %bb.30:
	v_mul_f32_e32 v5, v6, v7
	s_delay_alu instid0(VALU_DEP_1) | instskip(SKIP_1) | instid1(VALU_DEP_2)
	v_bfe_u32 v6, v5, 16, 1
	v_cmp_o_f32_e64 s3, v5, v5
	v_add3_u32 v6, v5, v6, 0x7fff
	s_delay_alu instid0(VALU_DEP_1) | instskip(NEXT) | instid1(VALU_DEP_1)
	v_and_b32_e32 v6, 0xffff0000, v6
	v_cndmask_b32_e64 v5, 0x7fc00000, v6, s3
; %bb.31:
	s_or_b32 exec_lo, exec_lo, s4
	s_delay_alu instid0(VALU_DEP_1) | instskip(NEXT) | instid1(VALU_DEP_1)
	v_or_b32_e32 v4, v4, v5
	v_and_b32_e32 v4, 0xffff, v4
	s_delay_alu instid0(VALU_DEP_1)
	v_and_or_b32 v7, 0xffff0000, v5, v4
.LBB61_32:
	s_or_b32 exec_lo, exec_lo, s6
	s_and_saveexec_b32 s3, vcc_lo
	s_cbranch_execz .LBB61_37
; %bb.33:
	s_clause 0x1
	global_store_b16 v2, v3, s[8:9] scale_offset
	global_store_d16_hi_b16 v2, v3, s[10:11] scale_offset
	s_wait_xcnt 0x0
	s_and_b32 exec_lo, exec_lo, s0
	s_cbranch_execz .LBB61_37
; %bb.34:
	v_add_nc_u32_e32 v1, s5, v1
	s_clause 0x1
	global_store_b16 v1, v13, s[8:9] scale_offset
	global_store_d16_hi_b16 v1, v13, s[10:11] scale_offset
	s_wait_xcnt 0x0
	s_and_b32 exec_lo, exec_lo, s1
	s_cbranch_execz .LBB61_37
; %bb.35:
	v_add_nc_u32_e32 v1, s5, v10
	;; [unrolled: 8-line block ×3, first 2 shown]
	s_clause 0x1
	global_store_b16 v0, v7, s[8:9] scale_offset
	global_store_d16_hi_b16 v0, v7, s[10:11] scale_offset
.LBB61_37:
	s_endpgm
	.section	.rodata,"a",@progbits
	.p2align	6, 0x0
	.amdhsa_kernel _ZN2at6native12_GLOBAL__N_145unrolled_elementwise_kernel_for_multi_outputsILi2EZZZNS0_21prelu_backward_kernelERNS_14TensorIteratorEENKUlvE_clEvENKUlvE1_clEvEUlN3c108BFloat16ES8_S8_E_St5arrayIPcLm5EE23TrivialOffsetCalculatorILi3EjESD_ILi2EjEEEviT0_T1_T2_T3_
		.amdhsa_group_segment_fixed_size 0
		.amdhsa_private_segment_fixed_size 0
		.amdhsa_kernarg_size 52
		.amdhsa_user_sgpr_count 2
		.amdhsa_user_sgpr_dispatch_ptr 0
		.amdhsa_user_sgpr_queue_ptr 0
		.amdhsa_user_sgpr_kernarg_segment_ptr 1
		.amdhsa_user_sgpr_dispatch_id 0
		.amdhsa_user_sgpr_kernarg_preload_length 0
		.amdhsa_user_sgpr_kernarg_preload_offset 0
		.amdhsa_user_sgpr_private_segment_size 0
		.amdhsa_wavefront_size32 1
		.amdhsa_uses_dynamic_stack 0
		.amdhsa_enable_private_segment 0
		.amdhsa_system_sgpr_workgroup_id_x 1
		.amdhsa_system_sgpr_workgroup_id_y 0
		.amdhsa_system_sgpr_workgroup_id_z 0
		.amdhsa_system_sgpr_workgroup_info 0
		.amdhsa_system_vgpr_workitem_id 0
		.amdhsa_next_free_vgpr 17
		.amdhsa_next_free_sgpr 17
		.amdhsa_named_barrier_count 0
		.amdhsa_reserve_vcc 1
		.amdhsa_float_round_mode_32 0
		.amdhsa_float_round_mode_16_64 0
		.amdhsa_float_denorm_mode_32 3
		.amdhsa_float_denorm_mode_16_64 3
		.amdhsa_fp16_overflow 0
		.amdhsa_memory_ordered 1
		.amdhsa_forward_progress 1
		.amdhsa_inst_pref_size 13
		.amdhsa_round_robin_scheduling 0
		.amdhsa_exception_fp_ieee_invalid_op 0
		.amdhsa_exception_fp_denorm_src 0
		.amdhsa_exception_fp_ieee_div_zero 0
		.amdhsa_exception_fp_ieee_overflow 0
		.amdhsa_exception_fp_ieee_underflow 0
		.amdhsa_exception_fp_ieee_inexact 0
		.amdhsa_exception_int_div_zero 0
	.end_amdhsa_kernel
	.section	.text._ZN2at6native12_GLOBAL__N_145unrolled_elementwise_kernel_for_multi_outputsILi2EZZZNS0_21prelu_backward_kernelERNS_14TensorIteratorEENKUlvE_clEvENKUlvE1_clEvEUlN3c108BFloat16ES8_S8_E_St5arrayIPcLm5EE23TrivialOffsetCalculatorILi3EjESD_ILi2EjEEEviT0_T1_T2_T3_,"axG",@progbits,_ZN2at6native12_GLOBAL__N_145unrolled_elementwise_kernel_for_multi_outputsILi2EZZZNS0_21prelu_backward_kernelERNS_14TensorIteratorEENKUlvE_clEvENKUlvE1_clEvEUlN3c108BFloat16ES8_S8_E_St5arrayIPcLm5EE23TrivialOffsetCalculatorILi3EjESD_ILi2EjEEEviT0_T1_T2_T3_,comdat
.Lfunc_end61:
	.size	_ZN2at6native12_GLOBAL__N_145unrolled_elementwise_kernel_for_multi_outputsILi2EZZZNS0_21prelu_backward_kernelERNS_14TensorIteratorEENKUlvE_clEvENKUlvE1_clEvEUlN3c108BFloat16ES8_S8_E_St5arrayIPcLm5EE23TrivialOffsetCalculatorILi3EjESD_ILi2EjEEEviT0_T1_T2_T3_, .Lfunc_end61-_ZN2at6native12_GLOBAL__N_145unrolled_elementwise_kernel_for_multi_outputsILi2EZZZNS0_21prelu_backward_kernelERNS_14TensorIteratorEENKUlvE_clEvENKUlvE1_clEvEUlN3c108BFloat16ES8_S8_E_St5arrayIPcLm5EE23TrivialOffsetCalculatorILi3EjESD_ILi2EjEEEviT0_T1_T2_T3_
                                        ; -- End function
	.set _ZN2at6native12_GLOBAL__N_145unrolled_elementwise_kernel_for_multi_outputsILi2EZZZNS0_21prelu_backward_kernelERNS_14TensorIteratorEENKUlvE_clEvENKUlvE1_clEvEUlN3c108BFloat16ES8_S8_E_St5arrayIPcLm5EE23TrivialOffsetCalculatorILi3EjESD_ILi2EjEEEviT0_T1_T2_T3_.num_vgpr, 17
	.set _ZN2at6native12_GLOBAL__N_145unrolled_elementwise_kernel_for_multi_outputsILi2EZZZNS0_21prelu_backward_kernelERNS_14TensorIteratorEENKUlvE_clEvENKUlvE1_clEvEUlN3c108BFloat16ES8_S8_E_St5arrayIPcLm5EE23TrivialOffsetCalculatorILi3EjESD_ILi2EjEEEviT0_T1_T2_T3_.num_agpr, 0
	.set _ZN2at6native12_GLOBAL__N_145unrolled_elementwise_kernel_for_multi_outputsILi2EZZZNS0_21prelu_backward_kernelERNS_14TensorIteratorEENKUlvE_clEvENKUlvE1_clEvEUlN3c108BFloat16ES8_S8_E_St5arrayIPcLm5EE23TrivialOffsetCalculatorILi3EjESD_ILi2EjEEEviT0_T1_T2_T3_.numbered_sgpr, 17
	.set _ZN2at6native12_GLOBAL__N_145unrolled_elementwise_kernel_for_multi_outputsILi2EZZZNS0_21prelu_backward_kernelERNS_14TensorIteratorEENKUlvE_clEvENKUlvE1_clEvEUlN3c108BFloat16ES8_S8_E_St5arrayIPcLm5EE23TrivialOffsetCalculatorILi3EjESD_ILi2EjEEEviT0_T1_T2_T3_.num_named_barrier, 0
	.set _ZN2at6native12_GLOBAL__N_145unrolled_elementwise_kernel_for_multi_outputsILi2EZZZNS0_21prelu_backward_kernelERNS_14TensorIteratorEENKUlvE_clEvENKUlvE1_clEvEUlN3c108BFloat16ES8_S8_E_St5arrayIPcLm5EE23TrivialOffsetCalculatorILi3EjESD_ILi2EjEEEviT0_T1_T2_T3_.private_seg_size, 0
	.set _ZN2at6native12_GLOBAL__N_145unrolled_elementwise_kernel_for_multi_outputsILi2EZZZNS0_21prelu_backward_kernelERNS_14TensorIteratorEENKUlvE_clEvENKUlvE1_clEvEUlN3c108BFloat16ES8_S8_E_St5arrayIPcLm5EE23TrivialOffsetCalculatorILi3EjESD_ILi2EjEEEviT0_T1_T2_T3_.uses_vcc, 1
	.set _ZN2at6native12_GLOBAL__N_145unrolled_elementwise_kernel_for_multi_outputsILi2EZZZNS0_21prelu_backward_kernelERNS_14TensorIteratorEENKUlvE_clEvENKUlvE1_clEvEUlN3c108BFloat16ES8_S8_E_St5arrayIPcLm5EE23TrivialOffsetCalculatorILi3EjESD_ILi2EjEEEviT0_T1_T2_T3_.uses_flat_scratch, 0
	.set _ZN2at6native12_GLOBAL__N_145unrolled_elementwise_kernel_for_multi_outputsILi2EZZZNS0_21prelu_backward_kernelERNS_14TensorIteratorEENKUlvE_clEvENKUlvE1_clEvEUlN3c108BFloat16ES8_S8_E_St5arrayIPcLm5EE23TrivialOffsetCalculatorILi3EjESD_ILi2EjEEEviT0_T1_T2_T3_.has_dyn_sized_stack, 0
	.set _ZN2at6native12_GLOBAL__N_145unrolled_elementwise_kernel_for_multi_outputsILi2EZZZNS0_21prelu_backward_kernelERNS_14TensorIteratorEENKUlvE_clEvENKUlvE1_clEvEUlN3c108BFloat16ES8_S8_E_St5arrayIPcLm5EE23TrivialOffsetCalculatorILi3EjESD_ILi2EjEEEviT0_T1_T2_T3_.has_recursion, 0
	.set _ZN2at6native12_GLOBAL__N_145unrolled_elementwise_kernel_for_multi_outputsILi2EZZZNS0_21prelu_backward_kernelERNS_14TensorIteratorEENKUlvE_clEvENKUlvE1_clEvEUlN3c108BFloat16ES8_S8_E_St5arrayIPcLm5EE23TrivialOffsetCalculatorILi3EjESD_ILi2EjEEEviT0_T1_T2_T3_.has_indirect_call, 0
	.section	.AMDGPU.csdata,"",@progbits
; Kernel info:
; codeLenInByte = 1624
; TotalNumSgprs: 19
; NumVgprs: 17
; ScratchSize: 0
; MemoryBound: 0
; FloatMode: 240
; IeeeMode: 1
; LDSByteSize: 0 bytes/workgroup (compile time only)
; SGPRBlocks: 0
; VGPRBlocks: 1
; NumSGPRsForWavesPerEU: 19
; NumVGPRsForWavesPerEU: 17
; NamedBarCnt: 0
; Occupancy: 16
; WaveLimiterHint : 0
; COMPUTE_PGM_RSRC2:SCRATCH_EN: 0
; COMPUTE_PGM_RSRC2:USER_SGPR: 2
; COMPUTE_PGM_RSRC2:TRAP_HANDLER: 0
; COMPUTE_PGM_RSRC2:TGID_X_EN: 1
; COMPUTE_PGM_RSRC2:TGID_Y_EN: 0
; COMPUTE_PGM_RSRC2:TGID_Z_EN: 0
; COMPUTE_PGM_RSRC2:TIDIG_COMP_CNT: 0
	.section	.text._ZN2at6native12_GLOBAL__N_145unrolled_elementwise_kernel_for_multi_outputsILi2EZZZNS0_21prelu_backward_kernelERNS_14TensorIteratorEENKUlvE_clEvENKUlvE1_clEvEUlN3c108BFloat16ES8_S8_E_St5arrayIPcLm5EE16OffsetCalculatorILi3EjLb0EESD_ILi2EjLb0EEEEviT0_T1_T2_T3_,"axG",@progbits,_ZN2at6native12_GLOBAL__N_145unrolled_elementwise_kernel_for_multi_outputsILi2EZZZNS0_21prelu_backward_kernelERNS_14TensorIteratorEENKUlvE_clEvENKUlvE1_clEvEUlN3c108BFloat16ES8_S8_E_St5arrayIPcLm5EE16OffsetCalculatorILi3EjLb0EESD_ILi2EjLb0EEEEviT0_T1_T2_T3_,comdat
	.globl	_ZN2at6native12_GLOBAL__N_145unrolled_elementwise_kernel_for_multi_outputsILi2EZZZNS0_21prelu_backward_kernelERNS_14TensorIteratorEENKUlvE_clEvENKUlvE1_clEvEUlN3c108BFloat16ES8_S8_E_St5arrayIPcLm5EE16OffsetCalculatorILi3EjLb0EESD_ILi2EjLb0EEEEviT0_T1_T2_T3_ ; -- Begin function _ZN2at6native12_GLOBAL__N_145unrolled_elementwise_kernel_for_multi_outputsILi2EZZZNS0_21prelu_backward_kernelERNS_14TensorIteratorEENKUlvE_clEvENKUlvE1_clEvEUlN3c108BFloat16ES8_S8_E_St5arrayIPcLm5EE16OffsetCalculatorILi3EjLb0EESD_ILi2EjLb0EEEEviT0_T1_T2_T3_
	.p2align	8
	.type	_ZN2at6native12_GLOBAL__N_145unrolled_elementwise_kernel_for_multi_outputsILi2EZZZNS0_21prelu_backward_kernelERNS_14TensorIteratorEENKUlvE_clEvENKUlvE1_clEvEUlN3c108BFloat16ES8_S8_E_St5arrayIPcLm5EE16OffsetCalculatorILi3EjLb0EESD_ILi2EjLb0EEEEviT0_T1_T2_T3_,@function
_ZN2at6native12_GLOBAL__N_145unrolled_elementwise_kernel_for_multi_outputsILi2EZZZNS0_21prelu_backward_kernelERNS_14TensorIteratorEENKUlvE_clEvENKUlvE1_clEvEUlN3c108BFloat16ES8_S8_E_St5arrayIPcLm5EE16OffsetCalculatorILi3EjLb0EESD_ILi2EjLb0EEEEviT0_T1_T2_T3_: ; @_ZN2at6native12_GLOBAL__N_145unrolled_elementwise_kernel_for_multi_outputsILi2EZZZNS0_21prelu_backward_kernelERNS_14TensorIteratorEENKUlvE_clEvENKUlvE1_clEvEUlN3c108BFloat16ES8_S8_E_St5arrayIPcLm5EE16OffsetCalculatorILi3EjLb0EESD_ILi2EjLb0EEEEviT0_T1_T2_T3_
; %bb.0:
	s_clause 0x5
	s_load_b256 s[16:23], s[0:1], 0x1f4
	s_load_b256 s[24:31], s[0:1], 0x214
	s_load_b32 s2, s[0:1], 0x0
	s_load_b256 s[36:43], s[0:1], 0x234
	s_load_b256 s[44:51], s[0:1], 0x254
	;; [unrolled: 1-line block ×3, first 2 shown]
	s_bfe_u32 s4, ttmp6, 0x4000c
	s_load_b256 s[60:67], s[0:1], 0x294
	s_add_co_i32 s4, s4, 1
	s_and_b32 s3, ttmp6, 15
	s_mul_i32 s4, ttmp9, s4
	s_getreg_b32 s5, hwreg(HW_REG_IB_STS2, 6, 4)
	s_load_b256 s[68:75], s[0:1], 0x2b4
	s_add_co_i32 s3, s3, s4
	s_cmp_eq_u32 s5, 0
	s_load_b256 s[8:15], s[0:1], 0x8
	s_cselect_b32 s3, ttmp9, s3
	s_load_b64 s[4:5], s[0:1], 0x28
	s_lshl_b32 s6, s3, 10
	v_dual_mov_b32 v26, 0 :: v_dual_mov_b32 v27, 0
	s_wait_kmcnt 0x0
	v_mov_b64_e32 v[2:3], s[20:21]
	v_mov_b64_e32 v[10:11], s[28:29]
	;; [unrolled: 1-line block ×8, first 2 shown]
	s_load_b256 s[24:31], s[0:1], 0x2d4
	s_clause 0x3
	scratch_store_b128 off, v[2:5], off offset:512
	scratch_store_b128 off, v[6:9], off offset:528
	;; [unrolled: 1-line block ×4, first 2 shown]
	s_wait_xcnt 0x3
	v_mov_b64_e32 v[2:3], s[40:41]
	s_wait_xcnt 0x2
	v_mov_b64_e32 v[6:7], s[44:45]
	s_wait_xcnt 0x1
	v_mov_b64_e32 v[10:11], s[48:49]
	s_sub_co_i32 s7, s2, s6
	v_mov_b64_e32 v[4:5], s[42:43]
	v_mov_b64_e32 v[8:9], s[46:47]
	;; [unrolled: 1-line block ×3, first 2 shown]
	s_clause 0x2
	s_load_b32 s2, s[0:1], 0x2f4
	s_load_b256 s[44:51], s[0:1], 0x1b4
	s_load_b256 s[36:43], s[0:1], 0x1d4
	v_mov_b64_e32 v[14:15], s[52:53]
	v_mov_b64_e32 v[16:17], s[54:55]
	v_mov_b64_e32 v[18:19], s[56:57]
	v_mov_b64_e32 v[20:21], s[58:59]
	v_mov_b64_e32 v[22:23], s[60:61]
	v_mov_b64_e32 v[24:25], s[62:63]
	s_clause 0x5
	scratch_store_b128 off, v[2:5], off offset:576
	scratch_store_b128 off, v[6:9], off offset:592
	;; [unrolled: 1-line block ×6, first 2 shown]
	s_wait_xcnt 0x5
	v_mov_b64_e32 v[2:3], s[64:65]
	v_mov_b64_e32 v[4:5], s[66:67]
	s_wait_xcnt 0x4
	v_mov_b64_e32 v[6:7], s[68:69]
	v_mov_b64_e32 v[8:9], s[70:71]
	;; [unrolled: 3-line block ×3, first 2 shown]
	s_wait_kmcnt 0x0
	v_mov_b64_e32 v[14:15], s[24:25]
	s_load_b256 s[52:59], s[0:1], 0xd0
	v_mov_b64_e32 v[16:17], s[26:27]
	s_load_b256 s[20:27], s[0:1], 0xb0
	s_clause 0x3
	scratch_store_b128 off, v[2:5], off offset:672
	scratch_store_b128 off, v[6:9], off offset:688
	;; [unrolled: 1-line block ×4, first 2 shown]
	s_wait_xcnt 0x3
	v_mov_b64_e32 v[2:3], s[28:29]
	s_wait_xcnt 0x2
	v_mov_b64_e32 v[6:7], s[48:49]
	v_mov_b64_e32 v[4:5], s[30:31]
	s_load_b256 s[60:67], s[0:1], 0xf0
	v_mov_b64_e32 v[8:9], s[50:51]
	v_mov_b64_e32 v[10:11], s[36:37]
	;; [unrolled: 1-line block ×3, first 2 shown]
	s_load_b256 s[68:75], s[0:1], 0x110
	v_mov_b32_e32 v1, s2
	s_clause 0x3
	scratch_store_b128 off, v[2:5], off offset:736
	scratch_store_b32 off, v1, off offset:752
	scratch_store_b128 off, v[6:9], off offset:448
	scratch_store_b128 off, v[10:13], off offset:464
	s_wait_xcnt 0x1
	v_mov_b64_e32 v[6:7], s[40:41]
	v_mov_b64_e32 v[8:9], s[42:43]
	s_load_b256 s[36:43], s[0:1], 0x130
	v_mov_b64_e32 v[2:3], s[44:45]
	v_mov_b64_e32 v[4:5], s[46:47]
	s_load_b256 s[44:51], s[0:1], 0x150
	v_mov_b64_e32 v[10:11], s[16:17]
	v_mov_b64_e32 v[12:13], s[18:19]
	s_wait_kmcnt 0x0
	v_mov_b64_e32 v[14:15], s[52:53]
	v_mov_b64_e32 v[16:17], s[54:55]
	;; [unrolled: 1-line block ×6, first 2 shown]
	s_load_b256 s[24:31], s[0:1], 0x170
	s_clause 0x1
	scratch_store_b128 off, v[6:9], off offset:480
	scratch_store_b128 off, v[10:13], off offset:496
	s_wait_xcnt 0x1
	v_mov_b64_e32 v[6:7], s[60:61]
	v_mov_b64_e32 v[8:9], s[62:63]
	s_wait_xcnt 0x0
	v_mov_b64_e32 v[10:11], s[64:65]
	s_clause 0x1
	scratch_store_b128 off, v[14:17], off offset:204
	scratch_store_b128 off, v[18:21], off offset:220
	v_mov_b64_e32 v[12:13], s[66:67]
	s_wait_xcnt 0x1
	v_mov_b64_e32 v[14:15], s[68:69]
	v_mov_b64_e32 v[16:17], s[70:71]
	s_load_b256 s[52:59], s[0:1], 0x190
	v_mov_b64_e32 v[18:19], s[72:73]
	v_mov_b64_e32 v[20:21], s[74:75]
	s_clause 0x3
	scratch_store_b128 off, v[6:9], off offset:236
	scratch_store_b128 off, v[10:13], off offset:252
	;; [unrolled: 1-line block ×4, first 2 shown]
	s_wait_xcnt 0x3
	v_mov_b64_e32 v[6:7], s[36:37]
	s_wait_xcnt 0x2
	v_mov_b64_e32 v[10:11], s[40:41]
	s_load_b32 s2, s[0:1], 0x1b0
	v_mov_b64_e32 v[8:9], s[38:39]
	v_mov_b64_e32 v[12:13], s[42:43]
	s_load_b256 s[36:43], s[0:1], 0x30
	v_mov_b64_e32 v[14:15], s[44:45]
	v_mov_b64_e32 v[16:17], s[46:47]
	;; [unrolled: 1-line block ×4, first 2 shown]
	s_clause 0x1
	s_load_b256 s[44:51], s[0:1], 0x50
	s_load_b256 s[60:67], s[0:1], 0x70
	s_clause 0x3
	scratch_store_b128 off, v[6:9], off offset:300
	scratch_store_b128 off, v[10:13], off offset:316
	;; [unrolled: 1-line block ×4, first 2 shown]
	s_wait_kmcnt 0x0
	v_mov_b64_e32 v[6:7], s[24:25]
	s_wait_xcnt 0x2
	v_mov_b64_e32 v[10:11], s[28:29]
	v_mov_b64_e32 v[8:9], s[26:27]
	;; [unrolled: 1-line block ×3, first 2 shown]
	s_load_b256 s[24:31], s[0:1], 0x90
	v_mov_b64_e32 v[14:15], s[52:53]
	v_mov_b64_e32 v[16:17], s[54:55]
	;; [unrolled: 1-line block ×4, first 2 shown]
	v_mov_b32_e32 v1, s2
	s_clause 0x5
	scratch_store_b128 off, v[6:9], off offset:364
	scratch_store_b128 off, v[10:13], off offset:380
	;; [unrolled: 1-line block ×5, first 2 shown]
	scratch_store_b32 off, v1, off offset:428
	s_wait_xcnt 0x1
	v_mov_b64_e32 v[2:3], s[36:37]
	v_mov_b64_e32 v[4:5], s[38:39]
	;; [unrolled: 1-line block ×12, first 2 shown]
	s_clause 0x5
	scratch_store_b128 off, v[2:5], off offset:44
	scratch_store_b128 off, v[6:9], off offset:60
	;; [unrolled: 1-line block ×6, first 2 shown]
	s_wait_kmcnt 0x0
	v_mov_b64_e32 v[2:3], s[24:25]
	v_mov_b64_e32 v[4:5], s[26:27]
	s_wait_xcnt 0x1
	v_mov_b64_e32 v[16:17], s[28:29]
	v_mov_b64_e32 v[18:19], s[30:31]
	s_wait_xcnt 0x0
	v_mov_b64_e32 v[20:21], s[20:21]
	v_cmp_gt_i32_e32 vcc_lo, s7, v0
	v_dual_mov_b32 v1, 0 :: v_dual_mov_b32 v34, 0
	v_dual_mov_b32 v8, 0 :: v_dual_bitop2_b32 v14, s6, v0 bitop3:0x54
	v_dual_mov_b32 v13, 0 :: v_dual_mov_b32 v15, 0
	v_dual_mov_b32 v28, 0 :: v_dual_mov_b32 v24, 0
	v_dual_mov_b32 v31, 0 :: v_dual_mov_b32 v32, 0
	v_mov_b32_e32 v33, 0
	v_mov_b64_e32 v[22:23], s[22:23]
	s_clause 0x3
	scratch_store_b128 off, v[2:5], off offset:140
	scratch_store_b128 off, v[16:19], off offset:156
	;; [unrolled: 1-line block ×4, first 2 shown]
	s_wait_xcnt 0x0
	s_and_saveexec_b32 s3, vcc_lo
	s_cbranch_execz .LBB62_56
; %bb.1:
	s_clause 0x3
	scratch_load_b128 v[6:9], off, off offset:44
	scratch_load_b96 v[10:12], off, off offset:60
	scratch_load_b128 v[2:5], off, off offset:240
	scratch_load_b64 v[16:17], off, off offset:256
	v_dual_mov_b32 v21, 0 :: v_dual_bitop2_b32 v22, s6, v0 bitop3:0x54
                                        ; implicit-def: $vgpr27
                                        ; implicit-def: $vgpr26
	s_wait_loadcnt 0x3
	v_sub_co_u32 v1, s2, v6, 1
	v_cmp_lt_u32_e64 s0, 1, v6
	s_wait_loadcnt 0x2
	v_mov_b32_e32 v18, v11
	s_xor_b32 s17, s2, -1
	v_cmp_lt_u32_e64 s1, 1, v1
	v_min_u32_e32 v6, 15, v1
                                        ; implicit-def: $vgpr11
	s_wait_xcnt 0x0
	s_and_saveexec_b32 s2, s1
	s_delay_alu instid0(SALU_CYCLE_1)
	s_xor_b32 s16, exec_lo, s2
	s_cbranch_execz .LBB62_9
; %bb.2:
	v_dual_mov_b32 v27, 0 :: v_dual_mov_b32 v26, 0
	v_mov_b32_e32 v11, 0
	s_and_saveexec_b32 s18, s17
	s_cbranch_execz .LBB62_8
; %bb.3:
	v_dual_add_nc_u32 v1, 1, v6 :: v_dual_mov_b32 v11, 0
	v_dual_mov_b32 v26, 0 :: v_dual_mov_b32 v27, 0
	s_sub_co_i32 s20, 0, 24
	s_delay_alu instid0(VALU_DEP_2)
	v_and_b32_e32 v1, 30, v1
	s_mov_b32 s19, 0
.LBB62_4:                               ; =>This Inner Loop Header: Depth=1
	s_clause 0x3
	scratch_load_b128 v[28:31], off, s20 offset:72
	scratch_load_b64 v[24:25], off, s20 offset:88
	scratch_load_b128 v[32:35], off, s20 offset:264
	scratch_load_b64 v[36:37], off, s20 offset:280
	s_wait_xcnt 0x0
	s_add_co_i32 s20, s20, 24
	v_add_nc_u32_e32 v1, -2, v1
	s_delay_alu instid0(VALU_DEP_1) | instskip(SKIP_3) | instid1(VALU_DEP_1)
	v_cmp_eq_u32_e64 s2, 0, v1
	s_or_b32 s19, s2, s19
	s_wait_loadcnt 0x3
	v_mul_hi_u32 v13, v29, v22
	v_add_nc_u32_e32 v13, v22, v13
	s_delay_alu instid0(VALU_DEP_1) | instskip(SKIP_1) | instid1(VALU_DEP_1)
	v_lshrrev_b32_e32 v13, v30, v13
	s_wait_loadcnt 0x2
	v_mul_hi_u32 v15, v24, v13
	v_mul_lo_u32 v19, v13, v28
	s_delay_alu instid0(VALU_DEP_2) | instskip(NEXT) | instid1(VALU_DEP_2)
	v_add_nc_u32_e32 v15, v13, v15
	v_sub_nc_u32_e32 v19, v22, v19
	s_delay_alu instid0(VALU_DEP_2) | instskip(SKIP_1) | instid1(VALU_DEP_2)
	v_lshrrev_b32_e32 v22, v25, v15
	s_wait_loadcnt 0x1
	v_mad_u32 v11, v19, v32, v11
	v_mad_u32 v20, v19, v34, v27
	;; [unrolled: 1-line block ×3, first 2 shown]
	v_mul_lo_u32 v15, v22, v31
	s_delay_alu instid0(VALU_DEP_1) | instskip(NEXT) | instid1(VALU_DEP_1)
	v_sub_nc_u32_e32 v13, v13, v15
	v_mad_u32 v11, v13, v35, v11
	s_wait_loadcnt 0x0
	v_mad_u32 v27, v13, v37, v20
	v_mad_u32 v26, v13, v36, v19
	v_mov_b32_e32 v13, s20
	s_and_not1_b32 exec_lo, exec_lo, s19
	s_cbranch_execnz .LBB62_4
; %bb.5:
	s_or_b32 exec_lo, exec_lo, s19
	v_and_b32_e32 v1, 1, v6
	s_mov_b32 s19, exec_lo
	s_delay_alu instid0(VALU_DEP_1)
	v_cmpx_eq_u32_e32 0, v1
	s_cbranch_execz .LBB62_7
; %bb.6:
	s_clause 0x1
	scratch_load_b96 v[28:30], v13, off offset:72
	scratch_load_b96 v[32:34], v13, off offset:264
	s_wait_loadcnt 0x1
	v_mul_hi_u32 v1, v29, v22
	s_delay_alu instid0(VALU_DEP_1) | instskip(NEXT) | instid1(VALU_DEP_1)
	v_add_nc_u32_e32 v1, v22, v1
	v_lshrrev_b32_e32 v1, v30, v1
	s_delay_alu instid0(VALU_DEP_1) | instskip(NEXT) | instid1(VALU_DEP_1)
	v_mul_lo_u32 v1, v1, v28
	v_sub_nc_u32_e32 v1, v22, v1
	s_wait_loadcnt 0x0
	s_delay_alu instid0(VALU_DEP_1)
	v_mad_u32 v11, v1, v32, v11
	v_mad_u32 v26, v1, v33, v26
	;; [unrolled: 1-line block ×3, first 2 shown]
.LBB62_7:
	s_wait_xcnt 0x0
	s_or_b32 exec_lo, exec_lo, s19
.LBB62_8:
	s_delay_alu instid0(SALU_CYCLE_1)
	s_or_b32 exec_lo, exec_lo, s18
                                        ; implicit-def: $vgpr22
.LBB62_9:
	s_or_saveexec_b32 s2, s16
	v_dual_mov_b32 v20, v8 :: v_dual_mov_b32 v19, v21
	s_xor_b32 exec_lo, exec_lo, s2
	s_cbranch_execz .LBB62_13
; %bb.10:
	v_mov_b32_e32 v23, 0
	s_delay_alu instid0(VALU_DEP_1) | instskip(NEXT) | instid1(VALU_DEP_1)
	v_mul_u64_e32 v[24:25], v[20:21], v[22:23]
	v_add_nc_u32_e32 v1, v22, v25
	s_delay_alu instid0(VALU_DEP_1) | instskip(NEXT) | instid1(VALU_DEP_1)
	v_lshrrev_b32_e32 v24, v9, v1
	v_mul_lo_u32 v1, v24, v7
	s_delay_alu instid0(VALU_DEP_1) | instskip(SKIP_1) | instid1(VALU_DEP_1)
	v_sub_nc_u32_e32 v1, v22, v1
	s_wait_loadcnt 0x1
	v_mul_lo_u32 v11, v1, v2
	v_mul_lo_u32 v27, v1, v4
	v_mul_lo_u32 v26, v1, v3
	s_and_saveexec_b32 s16, s0
	s_cbranch_execz .LBB62_12
; %bb.11:
	v_mov_b32_e32 v25, v23
	s_delay_alu instid0(VALU_DEP_1) | instskip(NEXT) | instid1(VALU_DEP_1)
	v_mul_u64_e32 v[22:23], v[18:19], v[24:25]
	v_add_nc_u32_e32 v1, v24, v23
	s_delay_alu instid0(VALU_DEP_1) | instskip(NEXT) | instid1(VALU_DEP_1)
	v_lshrrev_b32_e32 v1, v12, v1
	v_mul_lo_u32 v1, v1, v10
	s_delay_alu instid0(VALU_DEP_1) | instskip(NEXT) | instid1(VALU_DEP_1)
	v_sub_nc_u32_e32 v1, v24, v1
	v_mad_u32 v11, v1, v5, v11
	s_wait_loadcnt 0x0
	v_mad_u32 v26, v1, v16, v26
	v_mad_u32 v27, v1, v17, v27
.LBB62_12:
	s_or_b32 exec_lo, exec_lo, s16
.LBB62_13:
	s_delay_alu instid0(SALU_CYCLE_1)
	s_or_b32 exec_lo, exec_lo, s2
	global_load_u16 v15, v11, s[12:13] scale_offset
	global_load_u16 v13, v26, s[14:15] scale_offset
	global_load_u16 v1, v27, s[4:5] scale_offset
	s_wait_xcnt 0x2
	v_or_b32_e32 v11, 0x100, v0
	s_wait_xcnt 0x1
	v_dual_mov_b32 v26, 0 :: v_dual_mov_b32 v8, 0
	s_wait_xcnt 0x0
	v_dual_mov_b32 v34, 0 :: v_dual_mov_b32 v27, 0
	v_dual_mov_b32 v28, 0 :: v_dual_mov_b32 v24, 0
	;; [unrolled: 1-line block ×3, first 2 shown]
	v_mov_b32_e32 v33, 0
	s_mov_b32 s16, exec_lo
	v_cmpx_gt_u32_e64 s7, v11
	s_cbranch_execz .LBB62_55
; %bb.14:
	v_add_nc_u32_e32 v22, s6, v11
                                        ; implicit-def: $vgpr11
                                        ; implicit-def: $vgpr29
                                        ; implicit-def: $vgpr8
	s_and_saveexec_b32 s2, s1
	s_delay_alu instid0(SALU_CYCLE_1)
	s_xor_b32 s18, exec_lo, s2
	s_cbranch_execz .LBB62_22
; %bb.15:
	v_dual_mov_b32 v11, 0 :: v_dual_mov_b32 v29, 0
	v_mov_b32_e32 v8, 0
	s_and_saveexec_b32 s19, s17
	s_cbranch_execz .LBB62_21
; %bb.16:
	v_dual_mov_b32 v8, 0 :: v_dual_add_nc_u32 v11, 1, v6
	v_mov_b32_e32 v29, 0
	s_sub_co_i32 s21, 0, 24
	s_mov_b32 s20, 0
	s_delay_alu instid0(VALU_DEP_2)
	v_dual_mov_b32 v11, 0 :: v_dual_bitop2_b32 v23, 30, v11 bitop3:0x40
.LBB62_17:                              ; =>This Inner Loop Header: Depth=1
	s_clause 0x3
	scratch_load_b128 v[24:27], off, s21 offset:72
	scratch_load_b64 v[34:35], off, s21 offset:88
	scratch_load_b128 v[30:33], off, s21 offset:264
	scratch_load_b64 v[36:37], off, s21 offset:280
	s_wait_xcnt 0x0
	s_add_co_i32 s21, s21, 24
	v_add_nc_u32_e32 v23, -2, v23
	s_delay_alu instid0(VALU_DEP_1) | instskip(SKIP_3) | instid1(VALU_DEP_1)
	v_cmp_eq_u32_e64 s2, 0, v23
	s_or_b32 s20, s2, s20
	s_wait_loadcnt 0x3
	v_mul_hi_u32 v25, v25, v22
	v_add_nc_u32_e32 v25, v22, v25
	s_delay_alu instid0(VALU_DEP_1) | instskip(SKIP_1) | instid1(VALU_DEP_1)
	v_lshrrev_b32_e32 v25, v26, v25
	s_wait_loadcnt 0x2
	v_mul_hi_u32 v26, v34, v25
	v_mul_lo_u32 v24, v25, v24
	s_delay_alu instid0(VALU_DEP_1) | instskip(NEXT) | instid1(VALU_DEP_1)
	v_dual_add_nc_u32 v26, v25, v26 :: v_dual_sub_nc_u32 v24, v22, v24
	v_lshrrev_b32_e32 v22, v35, v26
	s_wait_loadcnt 0x1
	s_delay_alu instid0(VALU_DEP_2) | instskip(SKIP_3) | instid1(VALU_DEP_1)
	v_mad_u32 v8, v24, v30, v8
	v_mad_u32 v11, v24, v32, v11
	v_mad_u32 v24, v24, v31, v29
	v_mul_lo_u32 v26, v22, v27
	v_sub_nc_u32_e32 v25, v25, v26
	s_wait_loadcnt 0x0
	s_delay_alu instid0(VALU_DEP_1)
	v_mad_u32 v29, v25, v36, v24
	v_mov_b32_e32 v24, s21
	v_mad_u32 v8, v25, v33, v8
	v_mad_u32 v11, v25, v37, v11
	s_and_not1_b32 exec_lo, exec_lo, s20
	s_cbranch_execnz .LBB62_17
; %bb.18:
	s_or_b32 exec_lo, exec_lo, s20
	v_and_b32_e32 v23, 1, v6
	s_mov_b32 s20, exec_lo
	s_delay_alu instid0(VALU_DEP_1)
	v_cmpx_eq_u32_e32 0, v23
	s_cbranch_execz .LBB62_20
; %bb.19:
	s_clause 0x1
	scratch_load_b96 v[26:28], v24, off offset:72
	scratch_load_b96 v[30:32], v24, off offset:264
	s_wait_loadcnt 0x1
	v_mul_hi_u32 v23, v27, v22
	s_delay_alu instid0(VALU_DEP_1) | instskip(NEXT) | instid1(VALU_DEP_1)
	v_add_nc_u32_e32 v23, v22, v23
	v_lshrrev_b32_e32 v23, v28, v23
	s_delay_alu instid0(VALU_DEP_1) | instskip(NEXT) | instid1(VALU_DEP_1)
	v_mul_lo_u32 v23, v23, v26
	v_sub_nc_u32_e32 v22, v22, v23
	s_wait_loadcnt 0x0
	s_delay_alu instid0(VALU_DEP_1)
	v_mad_u32 v8, v22, v30, v8
	v_mad_u32 v29, v22, v31, v29
	;; [unrolled: 1-line block ×3, first 2 shown]
.LBB62_20:
	s_wait_xcnt 0x0
	s_or_b32 exec_lo, exec_lo, s20
.LBB62_21:
	s_delay_alu instid0(SALU_CYCLE_1)
	s_or_b32 exec_lo, exec_lo, s19
                                        ; implicit-def: $vgpr22
.LBB62_22:
	s_and_not1_saveexec_b32 s2, s18
	s_cbranch_execz .LBB62_26
; %bb.23:
	v_mov_b32_e32 v23, 0
	s_delay_alu instid0(VALU_DEP_1) | instskip(NEXT) | instid1(VALU_DEP_1)
	v_mul_u64_e32 v[24:25], v[20:21], v[22:23]
	v_add_nc_u32_e32 v8, v22, v25
	s_delay_alu instid0(VALU_DEP_1) | instskip(NEXT) | instid1(VALU_DEP_1)
	v_lshrrev_b32_e32 v24, v9, v8
	v_mul_lo_u32 v8, v24, v7
	s_delay_alu instid0(VALU_DEP_1) | instskip(SKIP_1) | instid1(VALU_DEP_1)
	v_sub_nc_u32_e32 v22, v22, v8
	s_wait_loadcnt 0x4
	v_mul_lo_u32 v8, v22, v2
	v_mul_lo_u32 v11, v22, v4
	;; [unrolled: 1-line block ×3, first 2 shown]
	s_and_saveexec_b32 s18, s0
	s_cbranch_execz .LBB62_25
; %bb.24:
	v_mov_b32_e32 v25, v23
	s_delay_alu instid0(VALU_DEP_1) | instskip(NEXT) | instid1(VALU_DEP_1)
	v_mul_u64_e32 v[22:23], v[18:19], v[24:25]
	v_add_nc_u32_e32 v22, v24, v23
	s_delay_alu instid0(VALU_DEP_1) | instskip(NEXT) | instid1(VALU_DEP_1)
	v_lshrrev_b32_e32 v22, v12, v22
	v_mul_lo_u32 v22, v22, v10
	s_delay_alu instid0(VALU_DEP_1) | instskip(NEXT) | instid1(VALU_DEP_1)
	v_sub_nc_u32_e32 v22, v24, v22
	v_mad_u32 v8, v22, v5, v8
	s_wait_loadcnt 0x3
	v_mad_u32 v29, v22, v16, v29
	v_mad_u32 v11, v22, v17, v11
.LBB62_25:
	s_or_b32 exec_lo, exec_lo, s18
.LBB62_26:
	s_delay_alu instid0(SALU_CYCLE_1)
	s_or_b32 exec_lo, exec_lo, s2
	global_load_u16 v28, v8, s[12:13] scale_offset
	global_load_u16 v27, v29, s[14:15] scale_offset
	;; [unrolled: 1-line block ×3, first 2 shown]
	s_wait_xcnt 0x0
	v_or_b32_e32 v11, 0x200, v0
	v_dual_mov_b32 v24, 0 :: v_dual_mov_b32 v8, 0
	v_dual_mov_b32 v34, 0 :: v_dual_mov_b32 v31, 0
	;; [unrolled: 1-line block ×3, first 2 shown]
	s_mov_b32 s18, exec_lo
	v_cmpx_gt_u32_e64 s7, v11
	s_cbranch_execz .LBB62_54
; %bb.27:
	v_add_nc_u32_e32 v22, s6, v11
                                        ; implicit-def: $vgpr11
                                        ; implicit-def: $vgpr29
                                        ; implicit-def: $vgpr8
	s_and_saveexec_b32 s2, s1
	s_delay_alu instid0(SALU_CYCLE_1)
	s_xor_b32 s19, exec_lo, s2
	s_cbranch_execz .LBB62_35
; %bb.28:
	v_dual_mov_b32 v11, 0 :: v_dual_mov_b32 v29, 0
	v_mov_b32_e32 v8, 0
	s_and_saveexec_b32 s20, s17
	s_cbranch_execz .LBB62_34
; %bb.29:
	v_dual_mov_b32 v8, 0 :: v_dual_add_nc_u32 v11, 1, v6
	v_mov_b32_e32 v29, 0
	s_sub_co_i32 s22, 0, 24
	s_mov_b32 s21, 0
	s_delay_alu instid0(VALU_DEP_2)
	v_dual_mov_b32 v11, 0 :: v_dual_bitop2_b32 v23, 30, v11 bitop3:0x40
.LBB62_30:                              ; =>This Inner Loop Header: Depth=1
	s_clause 0x3
	scratch_load_b128 v[30:33], off, s22 offset:72
	scratch_load_b64 v[24:25], off, s22 offset:88
	scratch_load_b128 v[34:37], off, s22 offset:264
	scratch_load_b64 v[38:39], off, s22 offset:280
	s_wait_xcnt 0x0
	s_add_co_i32 s22, s22, 24
	v_add_nc_u32_e32 v23, -2, v23
	s_delay_alu instid0(VALU_DEP_1) | instskip(SKIP_3) | instid1(VALU_DEP_1)
	v_cmp_eq_u32_e64 s2, 0, v23
	s_or_b32 s21, s2, s21
	s_wait_loadcnt 0x3
	v_mul_hi_u32 v31, v31, v22
	v_add_nc_u32_e32 v31, v22, v31
	s_delay_alu instid0(VALU_DEP_1) | instskip(SKIP_1) | instid1(VALU_DEP_1)
	v_lshrrev_b32_e32 v31, v32, v31
	s_wait_loadcnt 0x2
	v_mul_hi_u32 v24, v24, v31
	v_mul_lo_u32 v30, v31, v30
	s_delay_alu instid0(VALU_DEP_1) | instskip(NEXT) | instid1(VALU_DEP_1)
	v_dual_add_nc_u32 v24, v31, v24 :: v_dual_sub_nc_u32 v30, v22, v30
	v_lshrrev_b32_e32 v22, v25, v24
	s_wait_loadcnt 0x1
	s_delay_alu instid0(VALU_DEP_2) | instskip(SKIP_3) | instid1(VALU_DEP_1)
	v_mad_u32 v8, v30, v34, v8
	v_mad_u32 v11, v30, v36, v11
	v_mad_u32 v25, v30, v35, v29
	v_mul_lo_u32 v24, v22, v33
	v_sub_nc_u32_e32 v24, v31, v24
	s_delay_alu instid0(VALU_DEP_1)
	v_mad_u32 v8, v24, v37, v8
	s_wait_loadcnt 0x0
	v_mad_u32 v11, v24, v39, v11
	v_mad_u32 v29, v24, v38, v25
	v_mov_b32_e32 v24, s22
	s_and_not1_b32 exec_lo, exec_lo, s21
	s_cbranch_execnz .LBB62_30
; %bb.31:
	s_or_b32 exec_lo, exec_lo, s21
	v_and_b32_e32 v23, 1, v6
	s_mov_b32 s21, exec_lo
	s_delay_alu instid0(VALU_DEP_1)
	v_cmpx_eq_u32_e32 0, v23
	s_cbranch_execz .LBB62_33
; %bb.32:
	s_clause 0x1
	scratch_load_b96 v[30:32], v24, off offset:72
	scratch_load_b96 v[34:36], v24, off offset:264
	s_wait_loadcnt 0x1
	v_mul_hi_u32 v23, v31, v22
	s_delay_alu instid0(VALU_DEP_1) | instskip(NEXT) | instid1(VALU_DEP_1)
	v_add_nc_u32_e32 v23, v22, v23
	v_lshrrev_b32_e32 v23, v32, v23
	s_delay_alu instid0(VALU_DEP_1) | instskip(NEXT) | instid1(VALU_DEP_1)
	v_mul_lo_u32 v23, v23, v30
	v_sub_nc_u32_e32 v22, v22, v23
	s_wait_loadcnt 0x0
	s_delay_alu instid0(VALU_DEP_1)
	v_mad_u32 v8, v22, v34, v8
	v_mad_u32 v29, v22, v35, v29
	;; [unrolled: 1-line block ×3, first 2 shown]
.LBB62_33:
	s_wait_xcnt 0x0
	s_or_b32 exec_lo, exec_lo, s21
.LBB62_34:
	s_delay_alu instid0(SALU_CYCLE_1)
	s_or_b32 exec_lo, exec_lo, s20
                                        ; implicit-def: $vgpr22
.LBB62_35:
	s_and_not1_saveexec_b32 s2, s19
	s_cbranch_execz .LBB62_39
; %bb.36:
	v_mov_b32_e32 v23, 0
	s_delay_alu instid0(VALU_DEP_1) | instskip(NEXT) | instid1(VALU_DEP_1)
	v_mul_u64_e32 v[24:25], v[20:21], v[22:23]
	v_add_nc_u32_e32 v8, v22, v25
	s_delay_alu instid0(VALU_DEP_1) | instskip(NEXT) | instid1(VALU_DEP_1)
	v_lshrrev_b32_e32 v24, v9, v8
	v_mul_lo_u32 v8, v24, v7
	s_delay_alu instid0(VALU_DEP_1) | instskip(SKIP_1) | instid1(VALU_DEP_1)
	v_sub_nc_u32_e32 v22, v22, v8
	s_wait_loadcnt 0x7
	v_mul_lo_u32 v8, v22, v2
	v_mul_lo_u32 v11, v22, v4
	;; [unrolled: 1-line block ×3, first 2 shown]
	s_and_saveexec_b32 s19, s0
	s_cbranch_execz .LBB62_38
; %bb.37:
	v_mov_b32_e32 v25, v23
	s_delay_alu instid0(VALU_DEP_1) | instskip(NEXT) | instid1(VALU_DEP_1)
	v_mul_u64_e32 v[22:23], v[18:19], v[24:25]
	v_add_nc_u32_e32 v22, v24, v23
	s_delay_alu instid0(VALU_DEP_1) | instskip(NEXT) | instid1(VALU_DEP_1)
	v_lshrrev_b32_e32 v22, v12, v22
	v_mul_lo_u32 v22, v22, v10
	s_delay_alu instid0(VALU_DEP_1) | instskip(NEXT) | instid1(VALU_DEP_1)
	v_sub_nc_u32_e32 v22, v24, v22
	v_mad_u32 v8, v22, v5, v8
	s_wait_loadcnt 0x6
	v_mad_u32 v29, v22, v16, v29
	v_mad_u32 v11, v22, v17, v11
.LBB62_38:
	s_or_b32 exec_lo, exec_lo, s19
.LBB62_39:
	s_delay_alu instid0(SALU_CYCLE_1)
	s_or_b32 exec_lo, exec_lo, s2
	global_load_u16 v32, v8, s[12:13] scale_offset
	global_load_u16 v31, v29, s[14:15] scale_offset
	global_load_u16 v24, v11, s[4:5] scale_offset
	s_wait_xcnt 0x0
	v_or_b32_e32 v11, 0x300, v0
	v_dual_mov_b32 v33, 0 :: v_dual_mov_b32 v8, 0
	v_mov_b32_e32 v34, 0
	s_mov_b32 s19, exec_lo
	s_delay_alu instid0(VALU_DEP_3)
	v_cmpx_gt_u32_e64 s7, v11
	s_cbranch_execz .LBB62_53
; %bb.40:
	v_add_nc_u32_e32 v22, s6, v11
                                        ; implicit-def: $vgpr30
                                        ; implicit-def: $vgpr25
                                        ; implicit-def: $vgpr29
	s_and_saveexec_b32 s2, s1
	s_delay_alu instid0(SALU_CYCLE_1)
	s_xor_b32 s2, exec_lo, s2
	s_cbranch_execz .LBB62_48
; %bb.41:
	v_dual_mov_b32 v30, 0 :: v_dual_mov_b32 v25, 0
	v_mov_b32_e32 v29, 0
	s_and_saveexec_b32 s20, s17
	s_cbranch_execz .LBB62_47
; %bb.42:
	s_wait_loadcnt 0xa
	v_dual_mov_b32 v29, 0 :: v_dual_add_nc_u32 v2, 1, v6
	v_dual_mov_b32 v25, 0 :: v_dual_mov_b32 v30, 0
	s_sub_co_i32 s21, 0, 24
	s_delay_alu instid0(VALU_DEP_2)
	v_and_b32_e32 v2, 30, v2
	s_mov_b32 s17, 0
.LBB62_43:                              ; =>This Inner Loop Header: Depth=1
	s_clause 0x1
	scratch_load_b128 v[8:11], off, s21 offset:72
	scratch_load_b64 v[4:5], off, s21 offset:88
	s_wait_loadcnt 0xb
	s_clause 0x1
	scratch_load_b128 v[16:19], off, s21 offset:264
	scratch_load_b64 v[20:21], off, s21 offset:280
	s_wait_xcnt 0x0
	s_add_co_i32 s21, s21, 24
	v_add_nc_u32_e32 v2, -2, v2
	s_delay_alu instid0(VALU_DEP_1) | instskip(SKIP_3) | instid1(VALU_DEP_1)
	v_cmp_eq_u32_e64 s1, 0, v2
	s_or_b32 s17, s1, s17
	s_wait_loadcnt 0x3
	v_mul_hi_u32 v3, v9, v22
	v_add_nc_u32_e32 v3, v22, v3
	s_delay_alu instid0(VALU_DEP_1) | instskip(SKIP_1) | instid1(VALU_DEP_1)
	v_lshrrev_b32_e32 v3, v10, v3
	s_wait_loadcnt 0x2
	v_mul_hi_u32 v4, v4, v3
	v_mul_lo_u32 v7, v3, v8
	s_delay_alu instid0(VALU_DEP_1) | instskip(NEXT) | instid1(VALU_DEP_1)
	v_dual_add_nc_u32 v4, v3, v4 :: v_dual_sub_nc_u32 v7, v22, v7
	v_lshrrev_b32_e32 v22, v5, v4
	s_wait_loadcnt 0x1
	s_delay_alu instid0(VALU_DEP_2) | instskip(SKIP_3) | instid1(VALU_DEP_1)
	v_mad_u32 v5, v7, v16, v29
	v_mad_u32 v8, v7, v18, v30
	;; [unrolled: 1-line block ×3, first 2 shown]
	v_mul_lo_u32 v4, v22, v11
	v_sub_nc_u32_e32 v3, v3, v4
	s_delay_alu instid0(VALU_DEP_1)
	v_mad_u32 v29, v3, v19, v5
	s_wait_loadcnt 0x0
	v_mad_u32 v30, v3, v21, v8
	v_mad_u32 v25, v3, v20, v7
	v_mov_b32_e32 v3, s21
	s_and_not1_b32 exec_lo, exec_lo, s17
	s_cbranch_execnz .LBB62_43
; %bb.44:
	s_or_b32 exec_lo, exec_lo, s17
	v_and_b32_e32 v2, 1, v6
	s_mov_b32 s17, exec_lo
	s_delay_alu instid0(VALU_DEP_1)
	v_cmpx_eq_u32_e32 0, v2
	s_cbranch_execz .LBB62_46
; %bb.45:
	s_clause 0x1
	scratch_load_b96 v[4:6], v3, off offset:72
	scratch_load_b96 v[8:10], v3, off offset:264
	s_wait_loadcnt 0x1
	v_mul_hi_u32 v2, v5, v22
	s_delay_alu instid0(VALU_DEP_1) | instskip(NEXT) | instid1(VALU_DEP_1)
	v_add_nc_u32_e32 v2, v22, v2
	v_lshrrev_b32_e32 v2, v6, v2
	s_delay_alu instid0(VALU_DEP_1) | instskip(NEXT) | instid1(VALU_DEP_1)
	v_mul_lo_u32 v2, v2, v4
	v_sub_nc_u32_e32 v2, v22, v2
	s_wait_loadcnt 0x0
	s_delay_alu instid0(VALU_DEP_1)
	v_mad_u32 v29, v2, v8, v29
	v_mad_u32 v25, v2, v9, v25
	;; [unrolled: 1-line block ×3, first 2 shown]
.LBB62_46:
	s_wait_xcnt 0x0
	s_or_b32 exec_lo, exec_lo, s17
.LBB62_47:
	s_delay_alu instid0(SALU_CYCLE_1)
	s_or_b32 exec_lo, exec_lo, s20
                                        ; implicit-def: $vgpr22
                                        ; implicit-def: $vgpr20_vgpr21
                                        ; implicit-def: $vgpr6_vgpr7_vgpr8_vgpr9
                                        ; implicit-def: $vgpr2_vgpr3_vgpr4_vgpr5
                                        ; implicit-def: $vgpr18_vgpr19
                                        ; implicit-def: $vgpr10_vgpr11_vgpr12
                                        ; implicit-def: $vgpr16_vgpr17
.LBB62_48:
	s_and_not1_saveexec_b32 s1, s2
	s_cbranch_execz .LBB62_52
; %bb.49:
	v_mov_b32_e32 v23, 0
	s_delay_alu instid0(VALU_DEP_1) | instskip(NEXT) | instid1(VALU_DEP_1)
	v_mul_u64_e32 v[20:21], v[20:21], v[22:23]
	v_add_nc_u32_e32 v6, v22, v21
	s_delay_alu instid0(VALU_DEP_1) | instskip(NEXT) | instid1(VALU_DEP_1)
	v_lshrrev_b32_e32 v6, v9, v6
	v_mul_lo_u32 v7, v6, v7
	s_delay_alu instid0(VALU_DEP_1) | instskip(SKIP_1) | instid1(VALU_DEP_1)
	v_sub_nc_u32_e32 v7, v22, v7
	s_wait_loadcnt 0xa
	v_mul_lo_u32 v29, v7, v2
	v_mul_lo_u32 v30, v7, v4
	;; [unrolled: 1-line block ×3, first 2 shown]
	s_and_saveexec_b32 s2, s0
	s_cbranch_execz .LBB62_51
; %bb.50:
	v_mov_b32_e32 v7, v23
	s_delay_alu instid0(VALU_DEP_1) | instskip(NEXT) | instid1(VALU_DEP_1)
	v_mul_u64_e32 v[2:3], v[18:19], v[6:7]
	v_add_nc_u32_e32 v2, v6, v3
	s_delay_alu instid0(VALU_DEP_1) | instskip(NEXT) | instid1(VALU_DEP_1)
	v_lshrrev_b32_e32 v2, v12, v2
	v_mul_lo_u32 v2, v2, v10
	s_delay_alu instid0(VALU_DEP_1) | instskip(NEXT) | instid1(VALU_DEP_1)
	v_sub_nc_u32_e32 v2, v6, v2
	v_mad_u32 v29, v2, v5, v29
	s_wait_loadcnt 0x9
	v_mad_u32 v25, v2, v16, v25
	v_mad_u32 v30, v2, v17, v30
.LBB62_51:
	s_or_b32 exec_lo, exec_lo, s2
.LBB62_52:
	s_delay_alu instid0(SALU_CYCLE_1)
	s_or_b32 exec_lo, exec_lo, s1
	s_wait_loadcnt 0xa
	global_load_u16 v2, v25, s[14:15] scale_offset
	global_load_u16 v3, v29, s[12:13] scale_offset
	;; [unrolled: 1-line block ×3, first 2 shown]
	s_wait_loadcnt 0x1
	v_dual_lshlrev_b32 v34, 16, v2 :: v_dual_lshlrev_b32 v8, 16, v3
.LBB62_53:
	s_wait_xcnt 0x0
	s_or_b32 exec_lo, exec_lo, s19
.LBB62_54:
	s_delay_alu instid0(SALU_CYCLE_1)
	s_or_b32 exec_lo, exec_lo, s18
.LBB62_55:
	s_delay_alu instid0(SALU_CYCLE_1)
	s_or_b32 exec_lo, exec_lo, s16
.LBB62_56:
	s_delay_alu instid0(SALU_CYCLE_1)
	s_or_b32 exec_lo, exec_lo, s3
	v_mov_b32_e32 v29, 0
	s_and_saveexec_b32 s2, vcc_lo
	s_cbranch_execz .LBB62_62
; %bb.57:
	s_wait_loadcnt 0x0
	v_dual_lshlrev_b32 v2, 16, v15 :: v_dual_lshlrev_b32 v3, 16, v1
	s_delay_alu instid0(VALU_DEP_1)
	v_cmp_nlt_f32_e64 s0, 0, v2
	s_and_saveexec_b32 s3, s0
	s_cbranch_execz .LBB62_59
; %bb.58:
	v_lshlrev_b32_e32 v1, 16, v13
	s_delay_alu instid0(VALU_DEP_1) | instskip(NEXT) | instid1(VALU_DEP_1)
	v_mul_f32_e32 v1, v1, v3
	v_bfe_u32 v4, v1, 16, 1
	v_cmp_o_f32_e64 s1, v1, v1
	s_delay_alu instid0(VALU_DEP_2) | instskip(NEXT) | instid1(VALU_DEP_1)
	v_add3_u32 v4, v1, v4, 0x7fff
	v_lshrrev_b32_e32 v4, 16, v4
	s_delay_alu instid0(VALU_DEP_1)
	v_cndmask_b32_e64 v1, 0x7fc0, v4, s1
.LBB62_59:
	s_or_b32 exec_lo, exec_lo, s3
	v_mov_b32_e32 v4, 0
	s_and_saveexec_b32 s1, s0
; %bb.60:
	v_mul_f32_e32 v2, v2, v3
	s_delay_alu instid0(VALU_DEP_1) | instskip(SKIP_1) | instid1(VALU_DEP_2)
	v_bfe_u32 v3, v2, 16, 1
	v_cmp_o_f32_e64 s0, v2, v2
	v_add3_u32 v3, v2, v3, 0x7fff
	s_delay_alu instid0(VALU_DEP_1) | instskip(NEXT) | instid1(VALU_DEP_1)
	v_and_b32_e32 v3, 0xffff0000, v3
	v_cndmask_b32_e64 v4, 0x7fc00000, v3, s0
; %bb.61:
	s_or_b32 exec_lo, exec_lo, s1
	s_delay_alu instid0(VALU_DEP_1) | instskip(NEXT) | instid1(VALU_DEP_1)
	v_or_b32_e32 v1, v1, v4
	v_and_b32_e32 v1, 0xffff, v1
	s_delay_alu instid0(VALU_DEP_1)
	v_and_or_b32 v29, 0xffff0000, v4, v1
.LBB62_62:
	s_or_b32 exec_lo, exec_lo, s2
	v_or_b32_e32 v30, 0x100, v0
	v_mov_b32_e32 v25, 0
	s_delay_alu instid0(VALU_DEP_2)
	v_cmp_gt_i32_e64 s3, s7, v30
	s_and_saveexec_b32 s2, s3
	s_cbranch_execz .LBB62_68
; %bb.63:
	s_wait_loadcnt 0x0
	v_dual_lshlrev_b32 v1, 16, v28 :: v_dual_lshlrev_b32 v2, 16, v26
	s_delay_alu instid0(VALU_DEP_1)
	v_cmp_nlt_f32_e64 s0, 0, v1
	s_and_saveexec_b32 s4, s0
	s_cbranch_execz .LBB62_65
; %bb.64:
	v_lshlrev_b32_e32 v3, 16, v27
	s_delay_alu instid0(VALU_DEP_1) | instskip(NEXT) | instid1(VALU_DEP_1)
	v_mul_f32_e32 v3, v3, v2
	v_bfe_u32 v4, v3, 16, 1
	v_cmp_o_f32_e64 s1, v3, v3
	s_delay_alu instid0(VALU_DEP_2) | instskip(NEXT) | instid1(VALU_DEP_1)
	v_add3_u32 v4, v3, v4, 0x7fff
	v_lshrrev_b32_e32 v4, 16, v4
	s_delay_alu instid0(VALU_DEP_1)
	v_cndmask_b32_e64 v26, 0x7fc0, v4, s1
.LBB62_65:
	s_or_b32 exec_lo, exec_lo, s4
	v_mov_b32_e32 v3, 0
	s_and_saveexec_b32 s1, s0
; %bb.66:
	v_mul_f32_e32 v1, v1, v2
	s_delay_alu instid0(VALU_DEP_1) | instskip(SKIP_1) | instid1(VALU_DEP_2)
	v_bfe_u32 v2, v1, 16, 1
	v_cmp_o_f32_e64 s0, v1, v1
	v_add3_u32 v2, v1, v2, 0x7fff
	s_delay_alu instid0(VALU_DEP_1) | instskip(NEXT) | instid1(VALU_DEP_1)
	v_and_b32_e32 v2, 0xffff0000, v2
	v_cndmask_b32_e64 v3, 0x7fc00000, v2, s0
; %bb.67:
	s_or_b32 exec_lo, exec_lo, s1
	s_delay_alu instid0(VALU_DEP_1) | instskip(NEXT) | instid1(VALU_DEP_1)
	v_or_b32_e32 v1, v26, v3
	v_and_b32_e32 v1, 0xffff, v1
	s_delay_alu instid0(VALU_DEP_1)
	v_and_or_b32 v25, 0xffff0000, v3, v1
.LBB62_68:
	s_or_b32 exec_lo, exec_lo, s2
	s_wait_loadcnt 0x0
	v_or_b32_e32 v26, 0x200, v0
	v_mov_b32_e32 v22, 0
	s_delay_alu instid0(VALU_DEP_2)
	v_cmp_gt_i32_e64 s2, s7, v26
	s_and_saveexec_b32 s4, s2
	s_cbranch_execz .LBB62_74
; %bb.69:
	v_lshlrev_b32_e32 v1, 16, v32
	v_lshlrev_b32_e32 v2, 16, v24
	s_delay_alu instid0(VALU_DEP_2)
	v_cmp_nlt_f32_e64 s0, 0, v1
	s_and_saveexec_b32 s5, s0
	s_cbranch_execz .LBB62_71
; %bb.70:
	v_lshlrev_b32_e32 v3, 16, v31
	s_delay_alu instid0(VALU_DEP_1) | instskip(NEXT) | instid1(VALU_DEP_1)
	v_mul_f32_e32 v3, v3, v2
	v_bfe_u32 v4, v3, 16, 1
	v_cmp_o_f32_e64 s1, v3, v3
	s_delay_alu instid0(VALU_DEP_2) | instskip(NEXT) | instid1(VALU_DEP_1)
	v_add3_u32 v4, v3, v4, 0x7fff
	v_lshrrev_b32_e32 v4, 16, v4
	s_delay_alu instid0(VALU_DEP_1)
	v_cndmask_b32_e64 v24, 0x7fc0, v4, s1
.LBB62_71:
	s_or_b32 exec_lo, exec_lo, s5
	v_mov_b32_e32 v3, 0
	s_and_saveexec_b32 s1, s0
; %bb.72:
	v_mul_f32_e32 v1, v1, v2
	s_delay_alu instid0(VALU_DEP_1) | instskip(SKIP_1) | instid1(VALU_DEP_2)
	v_bfe_u32 v2, v1, 16, 1
	v_cmp_o_f32_e64 s0, v1, v1
	v_add3_u32 v2, v1, v2, 0x7fff
	s_delay_alu instid0(VALU_DEP_1) | instskip(NEXT) | instid1(VALU_DEP_1)
	v_and_b32_e32 v2, 0xffff0000, v2
	v_cndmask_b32_e64 v3, 0x7fc00000, v2, s0
; %bb.73:
	s_or_b32 exec_lo, exec_lo, s1
	s_delay_alu instid0(VALU_DEP_1) | instskip(NEXT) | instid1(VALU_DEP_1)
	v_or_b32_e32 v1, v24, v3
	v_and_b32_e32 v1, 0xffff, v1
	s_delay_alu instid0(VALU_DEP_1)
	v_and_or_b32 v22, 0xffff0000, v3, v1
.LBB62_74:
	s_or_b32 exec_lo, exec_lo, s4
	v_or_b32_e32 v23, 0x300, v0
	v_mov_b32_e32 v11, 0
	s_delay_alu instid0(VALU_DEP_2)
	v_cmp_gt_i32_e64 s0, s7, v23
	s_and_saveexec_b32 s5, s0
	s_cbranch_execz .LBB62_80
; %bb.75:
	v_cmp_nlt_f32_e64 s1, 0, v8
	v_lshlrev_b32_e32 v0, 16, v33
	s_and_saveexec_b32 s7, s1
; %bb.76:
	s_delay_alu instid0(VALU_DEP_1) | instskip(NEXT) | instid1(VALU_DEP_1)
	v_mul_f32_e32 v1, v34, v0
	v_bfe_u32 v2, v1, 16, 1
	s_delay_alu instid0(VALU_DEP_1) | instskip(NEXT) | instid1(VALU_DEP_1)
	v_add3_u32 v2, v1, v2, 0x7fff
	v_lshrrev_b32_e32 v2, 16, v2
	v_cmp_o_f32_e64 s4, v1, v1
	s_delay_alu instid0(VALU_DEP_1)
	v_cndmask_b32_e64 v33, 0x7fc0, v2, s4
; %bb.77:
	s_or_b32 exec_lo, exec_lo, s7
	v_mov_b32_e32 v1, 0
	s_and_saveexec_b32 s4, s1
; %bb.78:
	v_mul_f32_e32 v0, v8, v0
	s_delay_alu instid0(VALU_DEP_1) | instskip(SKIP_1) | instid1(VALU_DEP_2)
	v_bfe_u32 v1, v0, 16, 1
	v_cmp_o_f32_e64 s1, v0, v0
	v_add3_u32 v1, v0, v1, 0x7fff
	s_delay_alu instid0(VALU_DEP_1) | instskip(NEXT) | instid1(VALU_DEP_1)
	v_and_b32_e32 v1, 0xffff0000, v1
	v_cndmask_b32_e64 v1, 0x7fc00000, v1, s1
; %bb.79:
	s_or_b32 exec_lo, exec_lo, s4
	s_delay_alu instid0(VALU_DEP_1) | instskip(NEXT) | instid1(VALU_DEP_1)
	v_or_b32_e32 v0, v33, v1
	v_and_b32_e32 v0, 0xffff, v0
	s_delay_alu instid0(VALU_DEP_1)
	v_and_or_b32 v11, 0xffff0000, v1, v0
.LBB62_80:
	s_or_b32 exec_lo, exec_lo, s5
	s_and_saveexec_b32 s1, vcc_lo
	s_delay_alu instid0(SALU_CYCLE_1)
	s_xor_b32 s1, exec_lo, s1
	s_cbranch_execz .LBB62_149
; %bb.81:
	s_clause 0x2
	scratch_load_b128 v[4:7], off, off offset:432
	scratch_load_b96 v[8:10], off, off offset:448
	scratch_load_b128 v[0:3], off, off offset:628
	v_mov_b32_e32 v17, 0
                                        ; implicit-def: $vgpr19
	s_wait_loadcnt 0x2
	v_sub_co_u32 v24, s4, v4, 1
	v_cmp_lt_u32_e32 vcc_lo, 1, v4
	s_wait_loadcnt 0x1
	v_mov_b32_e32 v12, v9
	s_xor_b32 s5, s4, -1
	v_cmp_lt_u32_e64 s1, 1, v24
	v_min_u32_e32 v4, 15, v24
	s_wait_xcnt 0x0
	s_and_saveexec_b32 s4, s1
	s_delay_alu instid0(SALU_CYCLE_1)
	s_xor_b32 s7, exec_lo, s4
	s_cbranch_execz .LBB62_93
; %bb.82:
	v_dual_mov_b32 v19, 0 :: v_dual_mov_b32 v18, 0
	s_and_saveexec_b32 s12, s5
	s_cbranch_execz .LBB62_92
; %bb.83:
	v_mov_b64_e32 v[18:19], 0
	v_dual_add_nc_u32 v13, 1, v4 :: v_dual_mov_b32 v9, 0
	s_mov_b32 s13, exec_lo
	v_cmpx_ne_u32_e32 2, v24
	s_cbranch_execz .LBB62_87
; %bb.84:
	s_delay_alu instid0(VALU_DEP_2)
	v_dual_mov_b32 v18, 0 :: v_dual_bitop2_b32 v9, 28, v13 bitop3:0x40
	v_mov_b32_e32 v19, 0
	s_mov_b32 s14, 0
	s_mov_b32 s15, 0
	;; [unrolled: 1-line block ×4, first 2 shown]
.LBB62_85:                              ; =>This Inner Loop Header: Depth=1
	s_clause 0x4
	scratch_load_b128 v[32:35], off, s16 offset:436
	scratch_load_b128 v[36:39], off, s16 offset:452
	;; [unrolled: 1-line block ×5, first 2 shown]
	s_add_co_i32 s17, s17, 4
	s_mov_b32 s4, s16
                                        ; kill: killed $sgpr4
	v_cmp_eq_u32_e64 s4, s17, v9
	s_mov_b32 s18, s15
	s_wait_xcnt 0x2
	s_add_co_i32 s16, s16, 48
	s_wait_xcnt 0x0
	s_add_co_i32 s15, s15, 32
                                        ; kill: killed $sgpr18
	s_or_b32 s14, s4, s14
	s_wait_loadcnt 0x4
	v_mul_hi_u32 v15, v33, v14
	s_delay_alu instid0(VALU_DEP_1) | instskip(NEXT) | instid1(VALU_DEP_1)
	v_add_nc_u32_e32 v15, v14, v15
	v_lshrrev_b32_e32 v15, v34, v15
	s_wait_loadcnt 0x3
	s_delay_alu instid0(VALU_DEP_1) | instskip(NEXT) | instid1(VALU_DEP_1)
	v_mul_hi_u32 v16, v36, v15
	v_add_nc_u32_e32 v16, v15, v16
	s_delay_alu instid0(VALU_DEP_1) | instskip(NEXT) | instid1(VALU_DEP_1)
	v_lshrrev_b32_e32 v16, v37, v16
	v_mul_hi_u32 v20, v39, v16
	s_delay_alu instid0(VALU_DEP_1) | instskip(SKIP_1) | instid1(VALU_DEP_1)
	v_add_nc_u32_e32 v20, v16, v20
	v_mul_lo_u32 v21, v15, v32
	v_sub_nc_u32_e32 v14, v14, v21
	v_mul_lo_u32 v21, v16, v35
	s_wait_loadcnt 0x2
	v_lshrrev_b32_e32 v20, v40, v20
	s_wait_loadcnt 0x1
	v_mad_u32 v19, v14, v45, v19
	v_mad_u32 v14, v14, v44, v18
	s_delay_alu instid0(VALU_DEP_4) | instskip(SKIP_2) | instid1(VALU_DEP_3)
	v_sub_nc_u32_e32 v15, v15, v21
	v_mul_hi_u32 v27, v42, v20
	v_mul_lo_u32 v18, v20, v38
	v_mad_u32 v19, v15, v47, v19
	v_mad_u32 v15, v15, v46, v14
	s_delay_alu instid0(VALU_DEP_4) | instskip(NEXT) | instid1(VALU_DEP_1)
	v_add_nc_u32_e32 v21, v20, v27
	v_dual_sub_nc_u32 v16, v16, v18 :: v_dual_lshrrev_b32 v14, v43, v21
	s_wait_loadcnt 0x0
	s_delay_alu instid0(VALU_DEP_1) | instskip(NEXT) | instid1(VALU_DEP_4)
	v_mad_u32 v19, v16, v49, v19
	v_mad_u32 v15, v16, v48, v15
	s_delay_alu instid0(VALU_DEP_3) | instskip(NEXT) | instid1(VALU_DEP_1)
	v_mul_lo_u32 v18, v14, v41
	v_sub_nc_u32_e32 v16, v20, v18
	s_delay_alu instid0(VALU_DEP_1) | instskip(NEXT) | instid1(VALU_DEP_4)
	v_mad_u32 v19, v16, v51, v19
	v_mad_u32 v18, v16, v50, v15
	s_and_not1_b32 exec_lo, exec_lo, s14
	s_cbranch_execnz .LBB62_85
; %bb.86:
	s_or_b32 exec_lo, exec_lo, s14
.LBB62_87:
	s_delay_alu instid0(SALU_CYCLE_1) | instskip(SKIP_3) | instid1(VALU_DEP_1)
	s_or_b32 exec_lo, exec_lo, s13
	v_and_b32_e32 v13, 3, v13
	s_mov_b32 s14, 0
	s_mov_b32 s13, exec_lo
	v_cmpx_ne_u32_e32 0, v13
	s_cbranch_execz .LBB62_91
; %bb.88:
	v_lshlrev_b32_e32 v15, 3, v9
	s_mov_b32 s4, 0
	v_mad_u32_u24 v9, v9, 12, 0
	s_delay_alu instid0(VALU_DEP_2)
	v_add3_u32 v15, v15, s4, 0x274
.LBB62_89:                              ; =>This Inner Loop Header: Depth=1
	scratch_load_b96 v[32:34], v9, off offset:436
	scratch_load_b64 v[20:21], v15, off
	s_wait_xcnt 0x0
	v_dual_add_nc_u32 v15, 8, v15 :: v_dual_add_nc_u32 v9, 12, v9
	v_add_nc_u32_e32 v13, -1, v13
	s_delay_alu instid0(VALU_DEP_1) | instskip(SKIP_3) | instid1(VALU_DEP_1)
	v_cmp_eq_u32_e64 s4, 0, v13
	s_or_b32 s14, s4, s14
	s_wait_loadcnt 0x1
	v_mul_hi_u32 v16, v33, v14
	v_add_nc_u32_e32 v16, v14, v16
	s_delay_alu instid0(VALU_DEP_1) | instskip(NEXT) | instid1(VALU_DEP_1)
	v_lshrrev_b32_e32 v16, v34, v16
	v_mul_lo_u32 v27, v16, v32
	s_delay_alu instid0(VALU_DEP_1) | instskip(SKIP_1) | instid1(VALU_DEP_1)
	v_sub_nc_u32_e32 v14, v14, v27
	s_wait_loadcnt 0x0
	v_mad_u32 v19, v14, v21, v19
	v_mad_u32 v18, v14, v20, v18
	v_mov_b32_e32 v14, v16
	s_and_not1_b32 exec_lo, exec_lo, s14
	s_cbranch_execnz .LBB62_89
; %bb.90:
	s_or_b32 exec_lo, exec_lo, s14
.LBB62_91:
	s_delay_alu instid0(SALU_CYCLE_1)
	s_or_b32 exec_lo, exec_lo, s13
.LBB62_92:
	s_delay_alu instid0(SALU_CYCLE_1)
	s_or_b32 exec_lo, exec_lo, s12
                                        ; implicit-def: $vgpr14
.LBB62_93:
	s_or_saveexec_b32 s4, s7
	v_dual_mov_b32 v16, v6 :: v_dual_mov_b32 v13, v17
	s_xor_b32 exec_lo, exec_lo, s4
	s_cbranch_execz .LBB62_97
; %bb.94:
	v_mov_b32_e32 v15, 0
	s_delay_alu instid0(VALU_DEP_1) | instskip(NEXT) | instid1(VALU_DEP_1)
	v_mul_u64_e32 v[18:19], v[16:17], v[14:15]
	v_add_nc_u32_e32 v6, v14, v19
	s_delay_alu instid0(VALU_DEP_1) | instskip(NEXT) | instid1(VALU_DEP_1)
	v_lshrrev_b32_e32 v20, v7, v6
	v_mul_lo_u32 v6, v20, v5
	s_delay_alu instid0(VALU_DEP_1) | instskip(SKIP_1) | instid1(VALU_DEP_1)
	v_sub_nc_u32_e32 v6, v14, v6
	s_wait_loadcnt 0x0
	v_mul_lo_u32 v19, v6, v1
	v_mul_lo_u32 v18, v6, v0
	s_and_saveexec_b32 s7, vcc_lo
	s_cbranch_execz .LBB62_96
; %bb.95:
	v_mov_b32_e32 v21, v15
	s_delay_alu instid0(VALU_DEP_1) | instskip(NEXT) | instid1(VALU_DEP_1)
	v_mul_u64_e32 v[14:15], v[20:21], v[12:13]
	v_add_nc_u32_e32 v6, v20, v15
	s_delay_alu instid0(VALU_DEP_1) | instskip(NEXT) | instid1(VALU_DEP_1)
	v_lshrrev_b32_e32 v6, v10, v6
	v_mul_lo_u32 v6, v6, v8
	s_delay_alu instid0(VALU_DEP_1) | instskip(NEXT) | instid1(VALU_DEP_1)
	v_sub_nc_u32_e32 v6, v20, v6
	v_mad_u32 v18, v6, v2, v18
	v_mad_u32 v19, v6, v3, v19
.LBB62_96:
	s_or_b32 exec_lo, exec_lo, s7
.LBB62_97:
	s_delay_alu instid0(SALU_CYCLE_1)
	s_or_b32 exec_lo, exec_lo, s4
	global_store_b16 v18, v29, s[8:9] scale_offset
	global_store_d16_hi_b16 v19, v29, s[10:11] scale_offset
	s_wait_xcnt 0x0
	s_and_saveexec_b32 s4, s3
	s_cbranch_execz .LBB62_149
; %bb.98:
	v_add_nc_u32_e32 v18, s6, v30
                                        ; implicit-def: $vgpr15
	s_and_saveexec_b32 s3, s1
	s_delay_alu instid0(SALU_CYCLE_1)
	s_xor_b32 s4, exec_lo, s3
	s_cbranch_execz .LBB62_110
; %bb.99:
	v_dual_mov_b32 v15, 0 :: v_dual_mov_b32 v14, 0
	s_and_saveexec_b32 s7, s5
	s_cbranch_execz .LBB62_109
; %bb.100:
	v_mov_b64_e32 v[14:15], 0
	v_dual_mov_b32 v6, 0 :: v_dual_add_nc_u32 v9, 1, v4
	s_mov_b32 s12, exec_lo
	v_cmpx_ne_u32_e32 2, v24
	s_cbranch_execz .LBB62_104
; %bb.101:
	s_delay_alu instid0(VALU_DEP_2)
	v_dual_mov_b32 v14, 0 :: v_dual_bitop2_b32 v6, 28, v9 bitop3:0x40
	v_mov_b32_e32 v15, 0
	s_mov_b32 s13, 0
	s_mov_b32 s14, 0
	s_mov_b32 s15, 0
	s_mov_b32 s16, 0
.LBB62_102:                             ; =>This Inner Loop Header: Depth=1
	s_clause 0x4
	scratch_load_b128 v[28:31], off, s15 offset:436
	scratch_load_b128 v[32:35], off, s15 offset:452
	;; [unrolled: 1-line block ×5, first 2 shown]
	s_add_co_i32 s16, s16, 4
	s_mov_b32 s3, s15
                                        ; kill: killed $sgpr3
	v_cmp_eq_u32_e64 s3, s16, v6
	s_mov_b32 s17, s14
	s_wait_xcnt 0x2
	s_add_co_i32 s15, s15, 48
	s_wait_xcnt 0x0
	s_add_co_i32 s14, s14, 32
                                        ; kill: killed $sgpr17
	s_or_b32 s13, s3, s13
	s_wait_loadcnt 0x4
	v_mul_hi_u32 v19, v29, v18
	s_delay_alu instid0(VALU_DEP_1) | instskip(NEXT) | instid1(VALU_DEP_1)
	v_add_nc_u32_e32 v19, v18, v19
	v_lshrrev_b32_e32 v19, v30, v19
	s_wait_loadcnt 0x3
	s_delay_alu instid0(VALU_DEP_1) | instskip(NEXT) | instid1(VALU_DEP_1)
	v_mul_hi_u32 v20, v32, v19
	v_add_nc_u32_e32 v20, v19, v20
	s_delay_alu instid0(VALU_DEP_1) | instskip(NEXT) | instid1(VALU_DEP_1)
	v_lshrrev_b32_e32 v20, v33, v20
	v_mul_hi_u32 v21, v35, v20
	s_delay_alu instid0(VALU_DEP_1) | instskip(SKIP_1) | instid1(VALU_DEP_1)
	v_add_nc_u32_e32 v21, v20, v21
	v_mul_lo_u32 v27, v19, v28
	v_sub_nc_u32_e32 v18, v18, v27
	v_mul_lo_u32 v27, v20, v31
	s_wait_loadcnt 0x2
	v_lshrrev_b32_e32 v21, v36, v21
	s_wait_loadcnt 0x1
	v_mad_u32 v15, v18, v41, v15
	v_mad_u32 v14, v18, v40, v14
	s_delay_alu instid0(VALU_DEP_4) | instskip(SKIP_2) | instid1(VALU_DEP_3)
	v_sub_nc_u32_e32 v18, v19, v27
	v_mul_hi_u32 v28, v38, v21
	v_mul_lo_u32 v19, v21, v34
	v_mad_u32 v15, v18, v43, v15
	v_mad_u32 v14, v18, v42, v14
	s_delay_alu instid0(VALU_DEP_3) | instskip(NEXT) | instid1(VALU_DEP_1)
	v_dual_add_nc_u32 v27, v21, v28 :: v_dual_sub_nc_u32 v19, v20, v19
	v_lshrrev_b32_e32 v18, v39, v27
	s_wait_loadcnt 0x0
	s_delay_alu instid0(VALU_DEP_2) | instskip(NEXT) | instid1(VALU_DEP_4)
	v_mad_u32 v15, v19, v45, v15
	v_mad_u32 v14, v19, v44, v14
	s_delay_alu instid0(VALU_DEP_3) | instskip(NEXT) | instid1(VALU_DEP_1)
	v_mul_lo_u32 v20, v18, v37
	v_sub_nc_u32_e32 v19, v21, v20
	s_delay_alu instid0(VALU_DEP_1) | instskip(NEXT) | instid1(VALU_DEP_4)
	v_mad_u32 v15, v19, v47, v15
	v_mad_u32 v14, v19, v46, v14
	s_and_not1_b32 exec_lo, exec_lo, s13
	s_cbranch_execnz .LBB62_102
; %bb.103:
	s_or_b32 exec_lo, exec_lo, s13
.LBB62_104:
	s_delay_alu instid0(SALU_CYCLE_1) | instskip(SKIP_3) | instid1(VALU_DEP_1)
	s_or_b32 exec_lo, exec_lo, s12
	v_and_b32_e32 v9, 3, v9
	s_mov_b32 s13, 0
	s_mov_b32 s12, exec_lo
	v_cmpx_ne_u32_e32 0, v9
	s_cbranch_execz .LBB62_108
; %bb.105:
	v_lshlrev_b32_e32 v19, 3, v6
	s_mov_b32 s3, 0
	v_mad_u32_u24 v6, v6, 12, 0
	s_delay_alu instid0(VALU_DEP_2)
	v_add3_u32 v19, v19, s3, 0x274
.LBB62_106:                             ; =>This Inner Loop Header: Depth=1
	scratch_load_b96 v[28:30], v6, off offset:436
	scratch_load_b64 v[20:21], v19, off
	s_wait_xcnt 0x0
	v_dual_add_nc_u32 v19, 8, v19 :: v_dual_add_nc_u32 v6, 12, v6
	v_add_nc_u32_e32 v9, -1, v9
	s_delay_alu instid0(VALU_DEP_1) | instskip(SKIP_3) | instid1(VALU_DEP_1)
	v_cmp_eq_u32_e64 s3, 0, v9
	s_or_b32 s13, s3, s13
	s_wait_loadcnt 0x1
	v_mul_hi_u32 v27, v29, v18
	v_add_nc_u32_e32 v27, v18, v27
	s_delay_alu instid0(VALU_DEP_1) | instskip(NEXT) | instid1(VALU_DEP_1)
	v_lshrrev_b32_e32 v27, v30, v27
	v_mul_lo_u32 v28, v27, v28
	s_delay_alu instid0(VALU_DEP_1) | instskip(SKIP_1) | instid1(VALU_DEP_1)
	v_sub_nc_u32_e32 v18, v18, v28
	s_wait_loadcnt 0x0
	v_mad_u32 v15, v18, v21, v15
	v_mad_u32 v14, v18, v20, v14
	v_mov_b32_e32 v18, v27
	s_and_not1_b32 exec_lo, exec_lo, s13
	s_cbranch_execnz .LBB62_106
; %bb.107:
	s_or_b32 exec_lo, exec_lo, s13
.LBB62_108:
	s_delay_alu instid0(SALU_CYCLE_1)
	s_or_b32 exec_lo, exec_lo, s12
.LBB62_109:
	s_delay_alu instid0(SALU_CYCLE_1)
	s_or_b32 exec_lo, exec_lo, s7
                                        ; implicit-def: $vgpr18
.LBB62_110:
	s_and_not1_saveexec_b32 s3, s4
	s_cbranch_execz .LBB62_114
; %bb.111:
	v_mov_b32_e32 v19, 0
	s_delay_alu instid0(VALU_DEP_1) | instskip(NEXT) | instid1(VALU_DEP_1)
	v_mul_u64_e32 v[14:15], v[16:17], v[18:19]
	v_add_nc_u32_e32 v6, v18, v15
	s_delay_alu instid0(VALU_DEP_1) | instskip(NEXT) | instid1(VALU_DEP_1)
	v_lshrrev_b32_e32 v20, v7, v6
	v_mul_lo_u32 v6, v20, v5
	s_delay_alu instid0(VALU_DEP_1) | instskip(SKIP_1) | instid1(VALU_DEP_1)
	v_sub_nc_u32_e32 v6, v18, v6
	s_wait_loadcnt 0x0
	v_mul_lo_u32 v15, v6, v1
	v_mul_lo_u32 v14, v6, v0
	s_and_saveexec_b32 s4, vcc_lo
	s_cbranch_execz .LBB62_113
; %bb.112:
	v_mov_b32_e32 v21, v19
	s_delay_alu instid0(VALU_DEP_1) | instskip(NEXT) | instid1(VALU_DEP_1)
	v_mul_u64_e32 v[18:19], v[20:21], v[12:13]
	v_add_nc_u32_e32 v6, v20, v19
	s_delay_alu instid0(VALU_DEP_1) | instskip(NEXT) | instid1(VALU_DEP_1)
	v_lshrrev_b32_e32 v6, v10, v6
	v_mul_lo_u32 v6, v6, v8
	s_delay_alu instid0(VALU_DEP_1) | instskip(NEXT) | instid1(VALU_DEP_1)
	v_sub_nc_u32_e32 v6, v20, v6
	v_mad_u32 v14, v6, v2, v14
	v_mad_u32 v15, v6, v3, v15
.LBB62_113:
	s_or_b32 exec_lo, exec_lo, s4
.LBB62_114:
	s_delay_alu instid0(SALU_CYCLE_1)
	s_or_b32 exec_lo, exec_lo, s3
	global_store_b16 v14, v25, s[8:9] scale_offset
	global_store_d16_hi_b16 v15, v25, s[10:11] scale_offset
	s_wait_xcnt 0x0
	s_and_b32 exec_lo, exec_lo, s2
	s_cbranch_execz .LBB62_149
; %bb.115:
	v_add_nc_u32_e32 v18, s6, v26
                                        ; implicit-def: $vgpr15
	s_and_saveexec_b32 s2, s1
	s_delay_alu instid0(SALU_CYCLE_1)
	s_xor_b32 s3, exec_lo, s2
	s_cbranch_execz .LBB62_127
; %bb.116:
	v_dual_mov_b32 v15, 0 :: v_dual_mov_b32 v14, 0
	s_and_saveexec_b32 s4, s5
	s_cbranch_execz .LBB62_126
; %bb.117:
	v_mov_b64_e32 v[14:15], 0
	v_dual_mov_b32 v6, 0 :: v_dual_add_nc_u32 v9, 1, v4
	s_mov_b32 s7, exec_lo
	v_cmpx_ne_u32_e32 2, v24
	s_cbranch_execz .LBB62_121
; %bb.118:
	s_delay_alu instid0(VALU_DEP_2)
	v_dual_mov_b32 v14, 0 :: v_dual_bitop2_b32 v6, 28, v9 bitop3:0x40
	v_mov_b32_e32 v15, 0
	s_mov_b32 s12, 0
	s_mov_b32 s13, 0
	;; [unrolled: 1-line block ×4, first 2 shown]
.LBB62_119:                             ; =>This Inner Loop Header: Depth=1
	s_clause 0x4
	scratch_load_b128 v[26:29], off, s14 offset:436
	scratch_load_b128 v[30:33], off, s14 offset:452
	;; [unrolled: 1-line block ×5, first 2 shown]
	s_add_co_i32 s15, s15, 4
	s_mov_b32 s2, s14
                                        ; kill: killed $sgpr2
	v_cmp_eq_u32_e64 s2, s15, v6
	s_mov_b32 s16, s13
	s_wait_xcnt 0x2
	s_add_co_i32 s14, s14, 48
	s_wait_xcnt 0x0
	s_add_co_i32 s13, s13, 32
                                        ; kill: killed $sgpr16
	s_or_b32 s12, s2, s12
	s_wait_loadcnt 0x4
	v_mul_hi_u32 v19, v27, v18
	s_delay_alu instid0(VALU_DEP_1) | instskip(NEXT) | instid1(VALU_DEP_1)
	v_add_nc_u32_e32 v19, v18, v19
	v_lshrrev_b32_e32 v19, v28, v19
	s_delay_alu instid0(VALU_DEP_1) | instskip(NEXT) | instid1(VALU_DEP_1)
	v_mul_lo_u32 v25, v19, v26
	v_sub_nc_u32_e32 v18, v18, v25
	s_wait_loadcnt 0x3
	v_mul_hi_u32 v20, v30, v19
	s_wait_loadcnt 0x1
	s_delay_alu instid0(VALU_DEP_2) | instskip(SKIP_1) | instid1(VALU_DEP_3)
	v_mad_u32 v15, v18, v39, v15
	v_mad_u32 v14, v18, v38, v14
	v_add_nc_u32_e32 v20, v19, v20
	s_delay_alu instid0(VALU_DEP_1) | instskip(NEXT) | instid1(VALU_DEP_1)
	v_lshrrev_b32_e32 v20, v31, v20
	v_mul_hi_u32 v21, v33, v20
	v_mul_lo_u32 v25, v20, v29
	s_delay_alu instid0(VALU_DEP_2) | instskip(NEXT) | instid1(VALU_DEP_1)
	v_add_nc_u32_e32 v21, v20, v21
	v_lshrrev_b32_e32 v21, v34, v21
	s_delay_alu instid0(VALU_DEP_1) | instskip(NEXT) | instid1(VALU_DEP_4)
	v_mul_hi_u32 v26, v36, v21
	v_sub_nc_u32_e32 v18, v19, v25
	v_mul_lo_u32 v19, v21, v32
	s_delay_alu instid0(VALU_DEP_3) | instskip(NEXT) | instid1(VALU_DEP_3)
	v_add_nc_u32_e32 v25, v21, v26
	v_mad_u32 v15, v18, v41, v15
	v_mad_u32 v14, v18, v40, v14
	s_delay_alu instid0(VALU_DEP_3) | instskip(NEXT) | instid1(VALU_DEP_1)
	v_dual_sub_nc_u32 v19, v20, v19 :: v_dual_lshrrev_b32 v18, v37, v25
	v_mul_lo_u32 v20, v18, v35
	s_wait_loadcnt 0x0
	s_delay_alu instid0(VALU_DEP_2) | instskip(NEXT) | instid1(VALU_DEP_4)
	v_mad_u32 v15, v19, v43, v15
	v_mad_u32 v14, v19, v42, v14
	s_delay_alu instid0(VALU_DEP_3) | instskip(NEXT) | instid1(VALU_DEP_1)
	v_sub_nc_u32_e32 v19, v21, v20
	v_mad_u32 v15, v19, v45, v15
	s_delay_alu instid0(VALU_DEP_3)
	v_mad_u32 v14, v19, v44, v14
	s_and_not1_b32 exec_lo, exec_lo, s12
	s_cbranch_execnz .LBB62_119
; %bb.120:
	s_or_b32 exec_lo, exec_lo, s12
.LBB62_121:
	s_delay_alu instid0(SALU_CYCLE_1) | instskip(SKIP_3) | instid1(VALU_DEP_1)
	s_or_b32 exec_lo, exec_lo, s7
	v_and_b32_e32 v9, 3, v9
	s_mov_b32 s12, 0
	s_mov_b32 s7, exec_lo
	v_cmpx_ne_u32_e32 0, v9
	s_cbranch_execz .LBB62_125
; %bb.122:
	v_lshlrev_b32_e32 v19, 3, v6
	s_mov_b32 s2, 0
	v_mad_u32_u24 v6, v6, 12, 0
	s_delay_alu instid0(VALU_DEP_2)
	v_add3_u32 v19, v19, s2, 0x274
.LBB62_123:                             ; =>This Inner Loop Header: Depth=1
	scratch_load_b96 v[26:28], v6, off offset:436
	scratch_load_b64 v[20:21], v19, off
	s_wait_xcnt 0x1
	v_dual_add_nc_u32 v9, -1, v9 :: v_dual_add_nc_u32 v6, 12, v6
	s_wait_xcnt 0x0
	v_add_nc_u32_e32 v19, 8, v19
	s_delay_alu instid0(VALU_DEP_2) | instskip(SKIP_3) | instid1(VALU_DEP_1)
	v_cmp_eq_u32_e64 s2, 0, v9
	s_or_b32 s12, s2, s12
	s_wait_loadcnt 0x1
	v_mul_hi_u32 v25, v27, v18
	v_add_nc_u32_e32 v25, v18, v25
	s_delay_alu instid0(VALU_DEP_1) | instskip(NEXT) | instid1(VALU_DEP_1)
	v_lshrrev_b32_e32 v25, v28, v25
	v_mul_lo_u32 v26, v25, v26
	s_delay_alu instid0(VALU_DEP_1) | instskip(SKIP_1) | instid1(VALU_DEP_1)
	v_sub_nc_u32_e32 v18, v18, v26
	s_wait_loadcnt 0x0
	v_mad_u32 v15, v18, v21, v15
	v_mad_u32 v14, v18, v20, v14
	v_mov_b32_e32 v18, v25
	s_and_not1_b32 exec_lo, exec_lo, s12
	s_cbranch_execnz .LBB62_123
; %bb.124:
	s_or_b32 exec_lo, exec_lo, s12
.LBB62_125:
	s_delay_alu instid0(SALU_CYCLE_1)
	s_or_b32 exec_lo, exec_lo, s7
.LBB62_126:
	s_delay_alu instid0(SALU_CYCLE_1)
	s_or_b32 exec_lo, exec_lo, s4
                                        ; implicit-def: $vgpr18
.LBB62_127:
	s_and_not1_saveexec_b32 s2, s3
	s_cbranch_execz .LBB62_131
; %bb.128:
	v_mov_b32_e32 v19, 0
	s_delay_alu instid0(VALU_DEP_1) | instskip(NEXT) | instid1(VALU_DEP_1)
	v_mul_u64_e32 v[14:15], v[16:17], v[18:19]
	v_add_nc_u32_e32 v6, v18, v15
	s_delay_alu instid0(VALU_DEP_1) | instskip(NEXT) | instid1(VALU_DEP_1)
	v_lshrrev_b32_e32 v20, v7, v6
	v_mul_lo_u32 v6, v20, v5
	s_delay_alu instid0(VALU_DEP_1) | instskip(SKIP_1) | instid1(VALU_DEP_1)
	v_sub_nc_u32_e32 v6, v18, v6
	s_wait_loadcnt 0x0
	v_mul_lo_u32 v15, v6, v1
	v_mul_lo_u32 v14, v6, v0
	s_and_saveexec_b32 s3, vcc_lo
	s_cbranch_execz .LBB62_130
; %bb.129:
	v_mov_b32_e32 v21, v19
	s_delay_alu instid0(VALU_DEP_1) | instskip(NEXT) | instid1(VALU_DEP_1)
	v_mul_u64_e32 v[18:19], v[20:21], v[12:13]
	v_add_nc_u32_e32 v6, v20, v19
	s_delay_alu instid0(VALU_DEP_1) | instskip(NEXT) | instid1(VALU_DEP_1)
	v_lshrrev_b32_e32 v6, v10, v6
	v_mul_lo_u32 v6, v6, v8
	s_delay_alu instid0(VALU_DEP_1) | instskip(NEXT) | instid1(VALU_DEP_1)
	v_sub_nc_u32_e32 v6, v20, v6
	v_mad_u32 v14, v6, v2, v14
	v_mad_u32 v15, v6, v3, v15
.LBB62_130:
	s_or_b32 exec_lo, exec_lo, s3
.LBB62_131:
	s_delay_alu instid0(SALU_CYCLE_1)
	s_or_b32 exec_lo, exec_lo, s2
	global_store_b16 v14, v22, s[8:9] scale_offset
	global_store_d16_hi_b16 v15, v22, s[10:11] scale_offset
	s_wait_xcnt 0x0
	s_and_b32 exec_lo, exec_lo, s0
	s_cbranch_execz .LBB62_149
; %bb.132:
	v_add_nc_u32_e32 v18, s6, v23
                                        ; implicit-def: $vgpr15
	s_and_saveexec_b32 s0, s1
	s_delay_alu instid0(SALU_CYCLE_1)
	s_xor_b32 s1, exec_lo, s0
	s_cbranch_execz .LBB62_144
; %bb.133:
	v_dual_mov_b32 v15, 0 :: v_dual_mov_b32 v14, 0
	s_and_saveexec_b32 s2, s5
	s_cbranch_execz .LBB62_143
; %bb.134:
	v_mov_b64_e32 v[14:15], 0
	s_wait_loadcnt 0x0
	v_dual_mov_b32 v0, 0 :: v_dual_add_nc_u32 v1, 1, v4
	s_mov_b32 s3, exec_lo
	v_cmpx_ne_u32_e32 2, v24
	s_cbranch_execz .LBB62_138
; %bb.135:
	s_delay_alu instid0(VALU_DEP_2)
	v_dual_mov_b32 v14, 0 :: v_dual_bitop2_b32 v0, 28, v1 bitop3:0x40
	v_mov_b32_e32 v15, 0
	s_mov_b32 s4, 0
	s_mov_b32 s5, 0
	;; [unrolled: 1-line block ×4, first 2 shown]
.LBB62_136:                             ; =>This Inner Loop Header: Depth=1
	s_clause 0x4
	scratch_load_b128 v[2:5], off, s6 offset:436
	scratch_load_b128 v[6:9], off, s6 offset:452
	;; [unrolled: 1-line block ×5, first 2 shown]
	s_add_co_i32 s7, s7, 4
	s_mov_b32 s0, s6
                                        ; kill: killed $sgpr0
	v_cmp_eq_u32_e64 s0, s7, v0
	s_mov_b32 s12, s5
	s_wait_xcnt 0x2
	s_add_co_i32 s6, s6, 48
	s_wait_xcnt 0x0
	s_add_co_i32 s5, s5, 32
                                        ; kill: killed $sgpr12
	s_or_b32 s4, s0, s4
	s_wait_loadcnt 0x4
	v_mul_hi_u32 v3, v3, v18
	s_delay_alu instid0(VALU_DEP_1) | instskip(NEXT) | instid1(VALU_DEP_1)
	v_add_nc_u32_e32 v3, v18, v3
	v_lshrrev_b32_e32 v3, v4, v3
	s_wait_loadcnt 0x3
	s_delay_alu instid0(VALU_DEP_1) | instskip(NEXT) | instid1(VALU_DEP_1)
	v_mul_hi_u32 v4, v6, v3
	v_add_nc_u32_e32 v4, v3, v4
	s_delay_alu instid0(VALU_DEP_1) | instskip(NEXT) | instid1(VALU_DEP_1)
	v_lshrrev_b32_e32 v4, v7, v4
	v_mul_hi_u32 v6, v9, v4
	v_mul_lo_u32 v5, v4, v5
	s_delay_alu instid0(VALU_DEP_2) | instskip(SKIP_2) | instid1(VALU_DEP_2)
	v_add_nc_u32_e32 v6, v4, v6
	v_mul_lo_u32 v2, v3, v2
	s_wait_loadcnt 0x2
	v_dual_sub_nc_u32 v3, v3, v5 :: v_dual_lshrrev_b32 v6, v20, v6
	s_delay_alu instid0(VALU_DEP_1) | instskip(SKIP_1) | instid1(VALU_DEP_4)
	v_mul_hi_u32 v7, v22, v6
	v_mul_lo_u32 v5, v6, v8
	v_sub_nc_u32_e32 v2, v18, v2
	s_wait_loadcnt 0x1
	s_delay_alu instid0(VALU_DEP_1) | instskip(SKIP_2) | instid1(VALU_DEP_3)
	v_mad_u32 v9, v2, v25, v15
	v_mad_u32 v2, v2, v24, v14
	v_add_nc_u32_e32 v7, v6, v7
	v_mad_u32 v8, v3, v27, v9
	s_delay_alu instid0(VALU_DEP_3) | instskip(NEXT) | instid1(VALU_DEP_3)
	v_mad_u32 v2, v3, v26, v2
	v_dual_sub_nc_u32 v3, v4, v5 :: v_dual_lshrrev_b32 v18, v23, v7
	s_delay_alu instid0(VALU_DEP_1) | instskip(SKIP_1) | instid1(VALU_DEP_2)
	v_mul_lo_u32 v4, v18, v21
	s_wait_loadcnt 0x0
	v_mad_u32 v5, v3, v29, v8
	s_delay_alu instid0(VALU_DEP_4) | instskip(NEXT) | instid1(VALU_DEP_3)
	v_mad_u32 v2, v3, v28, v2
	v_sub_nc_u32_e32 v3, v6, v4
	s_delay_alu instid0(VALU_DEP_1) | instskip(NEXT) | instid1(VALU_DEP_3)
	v_mad_u32 v15, v3, v31, v5
	v_mad_u32 v14, v3, v30, v2
	s_and_not1_b32 exec_lo, exec_lo, s4
	s_cbranch_execnz .LBB62_136
; %bb.137:
	s_or_b32 exec_lo, exec_lo, s4
.LBB62_138:
	s_delay_alu instid0(SALU_CYCLE_1) | instskip(SKIP_3) | instid1(VALU_DEP_1)
	s_or_b32 exec_lo, exec_lo, s3
	v_and_b32_e32 v1, 3, v1
	s_mov_b32 s4, 0
	s_mov_b32 s3, exec_lo
	v_cmpx_ne_u32_e32 0, v1
	s_cbranch_execz .LBB62_142
; %bb.139:
	v_lshlrev_b32_e32 v2, 3, v0
	s_mov_b32 s0, 0
	v_mad_u32_u24 v0, v0, 12, 0
	s_delay_alu instid0(VALU_DEP_2)
	v_add3_u32 v2, v2, s0, 0x274
.LBB62_140:                             ; =>This Inner Loop Header: Depth=1
	scratch_load_b96 v[4:6], v0, off offset:436
	scratch_load_b64 v[8:9], v2, off
	s_wait_xcnt 0x0
	v_dual_add_nc_u32 v2, 8, v2 :: v_dual_add_nc_u32 v0, 12, v0
	v_add_nc_u32_e32 v1, -1, v1
	s_delay_alu instid0(VALU_DEP_1) | instskip(SKIP_3) | instid1(VALU_DEP_1)
	v_cmp_eq_u32_e64 s0, 0, v1
	s_or_b32 s4, s0, s4
	s_wait_loadcnt 0x1
	v_mul_hi_u32 v3, v5, v18
	v_add_nc_u32_e32 v3, v18, v3
	s_delay_alu instid0(VALU_DEP_1) | instskip(NEXT) | instid1(VALU_DEP_1)
	v_lshrrev_b32_e32 v3, v6, v3
	v_mul_lo_u32 v4, v3, v4
	s_delay_alu instid0(VALU_DEP_1) | instskip(SKIP_1) | instid1(VALU_DEP_1)
	v_dual_sub_nc_u32 v4, v18, v4 :: v_dual_mov_b32 v18, v3
	s_wait_loadcnt 0x0
	v_mad_u32 v15, v4, v9, v15
	v_mad_u32 v14, v4, v8, v14
	s_and_not1_b32 exec_lo, exec_lo, s4
	s_cbranch_execnz .LBB62_140
; %bb.141:
	s_or_b32 exec_lo, exec_lo, s4
.LBB62_142:
	s_delay_alu instid0(SALU_CYCLE_1)
	s_or_b32 exec_lo, exec_lo, s3
.LBB62_143:
	s_delay_alu instid0(SALU_CYCLE_1)
	s_or_b32 exec_lo, exec_lo, s2
                                        ; implicit-def: $vgpr18
                                        ; implicit-def: $vgpr16_vgpr17
                                        ; implicit-def: $vgpr4_vgpr5_vgpr6_vgpr7
                                        ; implicit-def: $vgpr0_vgpr1_vgpr2_vgpr3
                                        ; implicit-def: $vgpr12_vgpr13
                                        ; implicit-def: $vgpr8_vgpr9_vgpr10
.LBB62_144:
	s_and_not1_saveexec_b32 s0, s1
	s_cbranch_execz .LBB62_148
; %bb.145:
	v_mov_b32_e32 v19, 0
	s_delay_alu instid0(VALU_DEP_1) | instskip(NEXT) | instid1(VALU_DEP_1)
	v_mul_u64_e32 v[14:15], v[16:17], v[18:19]
	v_add_nc_u32_e32 v4, v18, v15
	s_delay_alu instid0(VALU_DEP_1) | instskip(NEXT) | instid1(VALU_DEP_1)
	v_lshrrev_b32_e32 v4, v7, v4
	v_mul_lo_u32 v5, v4, v5
	s_delay_alu instid0(VALU_DEP_1) | instskip(SKIP_1) | instid1(VALU_DEP_1)
	v_sub_nc_u32_e32 v5, v18, v5
	s_wait_loadcnt 0x0
	v_mul_lo_u32 v15, v5, v1
	v_mul_lo_u32 v14, v5, v0
	s_and_saveexec_b32 s1, vcc_lo
	s_cbranch_execz .LBB62_147
; %bb.146:
	v_mov_b32_e32 v5, v19
	s_delay_alu instid0(VALU_DEP_1) | instskip(NEXT) | instid1(VALU_DEP_1)
	v_mul_u64_e32 v[0:1], v[4:5], v[12:13]
	v_add_nc_u32_e32 v0, v4, v1
	s_delay_alu instid0(VALU_DEP_1) | instskip(NEXT) | instid1(VALU_DEP_1)
	v_lshrrev_b32_e32 v0, v10, v0
	v_mul_lo_u32 v0, v0, v8
	s_delay_alu instid0(VALU_DEP_1) | instskip(NEXT) | instid1(VALU_DEP_1)
	v_sub_nc_u32_e32 v0, v4, v0
	v_mad_u32 v14, v0, v2, v14
	v_mad_u32 v15, v0, v3, v15
.LBB62_147:
	s_or_b32 exec_lo, exec_lo, s1
.LBB62_148:
	s_delay_alu instid0(SALU_CYCLE_1)
	s_or_b32 exec_lo, exec_lo, s0
	global_store_b16 v14, v11, s[8:9] scale_offset
	global_store_d16_hi_b16 v15, v11, s[10:11] scale_offset
.LBB62_149:
	s_endpgm
	.section	.rodata,"a",@progbits
	.p2align	6, 0x0
	.amdhsa_kernel _ZN2at6native12_GLOBAL__N_145unrolled_elementwise_kernel_for_multi_outputsILi2EZZZNS0_21prelu_backward_kernelERNS_14TensorIteratorEENKUlvE_clEvENKUlvE1_clEvEUlN3c108BFloat16ES8_S8_E_St5arrayIPcLm5EE16OffsetCalculatorILi3EjLb0EESD_ILi2EjLb0EEEEviT0_T1_T2_T3_
		.amdhsa_group_segment_fixed_size 0
		.amdhsa_private_segment_fixed_size 768
		.amdhsa_kernarg_size 760
		.amdhsa_user_sgpr_count 2
		.amdhsa_user_sgpr_dispatch_ptr 0
		.amdhsa_user_sgpr_queue_ptr 0
		.amdhsa_user_sgpr_kernarg_segment_ptr 1
		.amdhsa_user_sgpr_dispatch_id 0
		.amdhsa_user_sgpr_kernarg_preload_length 0
		.amdhsa_user_sgpr_kernarg_preload_offset 0
		.amdhsa_user_sgpr_private_segment_size 0
		.amdhsa_wavefront_size32 1
		.amdhsa_uses_dynamic_stack 0
		.amdhsa_enable_private_segment 1
		.amdhsa_system_sgpr_workgroup_id_x 1
		.amdhsa_system_sgpr_workgroup_id_y 0
		.amdhsa_system_sgpr_workgroup_id_z 0
		.amdhsa_system_sgpr_workgroup_info 0
		.amdhsa_system_vgpr_workitem_id 0
		.amdhsa_next_free_vgpr 52
		.amdhsa_next_free_sgpr 76
		.amdhsa_named_barrier_count 0
		.amdhsa_reserve_vcc 1
		.amdhsa_float_round_mode_32 0
		.amdhsa_float_round_mode_16_64 0
		.amdhsa_float_denorm_mode_32 3
		.amdhsa_float_denorm_mode_16_64 3
		.amdhsa_fp16_overflow 0
		.amdhsa_memory_ordered 1
		.amdhsa_forward_progress 1
		.amdhsa_inst_pref_size 69
		.amdhsa_round_robin_scheduling 0
		.amdhsa_exception_fp_ieee_invalid_op 0
		.amdhsa_exception_fp_denorm_src 0
		.amdhsa_exception_fp_ieee_div_zero 0
		.amdhsa_exception_fp_ieee_overflow 0
		.amdhsa_exception_fp_ieee_underflow 0
		.amdhsa_exception_fp_ieee_inexact 0
		.amdhsa_exception_int_div_zero 0
	.end_amdhsa_kernel
	.section	.text._ZN2at6native12_GLOBAL__N_145unrolled_elementwise_kernel_for_multi_outputsILi2EZZZNS0_21prelu_backward_kernelERNS_14TensorIteratorEENKUlvE_clEvENKUlvE1_clEvEUlN3c108BFloat16ES8_S8_E_St5arrayIPcLm5EE16OffsetCalculatorILi3EjLb0EESD_ILi2EjLb0EEEEviT0_T1_T2_T3_,"axG",@progbits,_ZN2at6native12_GLOBAL__N_145unrolled_elementwise_kernel_for_multi_outputsILi2EZZZNS0_21prelu_backward_kernelERNS_14TensorIteratorEENKUlvE_clEvENKUlvE1_clEvEUlN3c108BFloat16ES8_S8_E_St5arrayIPcLm5EE16OffsetCalculatorILi3EjLb0EESD_ILi2EjLb0EEEEviT0_T1_T2_T3_,comdat
.Lfunc_end62:
	.size	_ZN2at6native12_GLOBAL__N_145unrolled_elementwise_kernel_for_multi_outputsILi2EZZZNS0_21prelu_backward_kernelERNS_14TensorIteratorEENKUlvE_clEvENKUlvE1_clEvEUlN3c108BFloat16ES8_S8_E_St5arrayIPcLm5EE16OffsetCalculatorILi3EjLb0EESD_ILi2EjLb0EEEEviT0_T1_T2_T3_, .Lfunc_end62-_ZN2at6native12_GLOBAL__N_145unrolled_elementwise_kernel_for_multi_outputsILi2EZZZNS0_21prelu_backward_kernelERNS_14TensorIteratorEENKUlvE_clEvENKUlvE1_clEvEUlN3c108BFloat16ES8_S8_E_St5arrayIPcLm5EE16OffsetCalculatorILi3EjLb0EESD_ILi2EjLb0EEEEviT0_T1_T2_T3_
                                        ; -- End function
	.set _ZN2at6native12_GLOBAL__N_145unrolled_elementwise_kernel_for_multi_outputsILi2EZZZNS0_21prelu_backward_kernelERNS_14TensorIteratorEENKUlvE_clEvENKUlvE1_clEvEUlN3c108BFloat16ES8_S8_E_St5arrayIPcLm5EE16OffsetCalculatorILi3EjLb0EESD_ILi2EjLb0EEEEviT0_T1_T2_T3_.num_vgpr, 52
	.set _ZN2at6native12_GLOBAL__N_145unrolled_elementwise_kernel_for_multi_outputsILi2EZZZNS0_21prelu_backward_kernelERNS_14TensorIteratorEENKUlvE_clEvENKUlvE1_clEvEUlN3c108BFloat16ES8_S8_E_St5arrayIPcLm5EE16OffsetCalculatorILi3EjLb0EESD_ILi2EjLb0EEEEviT0_T1_T2_T3_.num_agpr, 0
	.set _ZN2at6native12_GLOBAL__N_145unrolled_elementwise_kernel_for_multi_outputsILi2EZZZNS0_21prelu_backward_kernelERNS_14TensorIteratorEENKUlvE_clEvENKUlvE1_clEvEUlN3c108BFloat16ES8_S8_E_St5arrayIPcLm5EE16OffsetCalculatorILi3EjLb0EESD_ILi2EjLb0EEEEviT0_T1_T2_T3_.numbered_sgpr, 76
	.set _ZN2at6native12_GLOBAL__N_145unrolled_elementwise_kernel_for_multi_outputsILi2EZZZNS0_21prelu_backward_kernelERNS_14TensorIteratorEENKUlvE_clEvENKUlvE1_clEvEUlN3c108BFloat16ES8_S8_E_St5arrayIPcLm5EE16OffsetCalculatorILi3EjLb0EESD_ILi2EjLb0EEEEviT0_T1_T2_T3_.num_named_barrier, 0
	.set _ZN2at6native12_GLOBAL__N_145unrolled_elementwise_kernel_for_multi_outputsILi2EZZZNS0_21prelu_backward_kernelERNS_14TensorIteratorEENKUlvE_clEvENKUlvE1_clEvEUlN3c108BFloat16ES8_S8_E_St5arrayIPcLm5EE16OffsetCalculatorILi3EjLb0EESD_ILi2EjLb0EEEEviT0_T1_T2_T3_.private_seg_size, 768
	.set _ZN2at6native12_GLOBAL__N_145unrolled_elementwise_kernel_for_multi_outputsILi2EZZZNS0_21prelu_backward_kernelERNS_14TensorIteratorEENKUlvE_clEvENKUlvE1_clEvEUlN3c108BFloat16ES8_S8_E_St5arrayIPcLm5EE16OffsetCalculatorILi3EjLb0EESD_ILi2EjLb0EEEEviT0_T1_T2_T3_.uses_vcc, 1
	.set _ZN2at6native12_GLOBAL__N_145unrolled_elementwise_kernel_for_multi_outputsILi2EZZZNS0_21prelu_backward_kernelERNS_14TensorIteratorEENKUlvE_clEvENKUlvE1_clEvEUlN3c108BFloat16ES8_S8_E_St5arrayIPcLm5EE16OffsetCalculatorILi3EjLb0EESD_ILi2EjLb0EEEEviT0_T1_T2_T3_.uses_flat_scratch, 1
	.set _ZN2at6native12_GLOBAL__N_145unrolled_elementwise_kernel_for_multi_outputsILi2EZZZNS0_21prelu_backward_kernelERNS_14TensorIteratorEENKUlvE_clEvENKUlvE1_clEvEUlN3c108BFloat16ES8_S8_E_St5arrayIPcLm5EE16OffsetCalculatorILi3EjLb0EESD_ILi2EjLb0EEEEviT0_T1_T2_T3_.has_dyn_sized_stack, 0
	.set _ZN2at6native12_GLOBAL__N_145unrolled_elementwise_kernel_for_multi_outputsILi2EZZZNS0_21prelu_backward_kernelERNS_14TensorIteratorEENKUlvE_clEvENKUlvE1_clEvEUlN3c108BFloat16ES8_S8_E_St5arrayIPcLm5EE16OffsetCalculatorILi3EjLb0EESD_ILi2EjLb0EEEEviT0_T1_T2_T3_.has_recursion, 0
	.set _ZN2at6native12_GLOBAL__N_145unrolled_elementwise_kernel_for_multi_outputsILi2EZZZNS0_21prelu_backward_kernelERNS_14TensorIteratorEENKUlvE_clEvENKUlvE1_clEvEUlN3c108BFloat16ES8_S8_E_St5arrayIPcLm5EE16OffsetCalculatorILi3EjLb0EESD_ILi2EjLb0EEEEviT0_T1_T2_T3_.has_indirect_call, 0
	.section	.AMDGPU.csdata,"",@progbits
; Kernel info:
; codeLenInByte = 8776
; TotalNumSgprs: 78
; NumVgprs: 52
; ScratchSize: 768
; MemoryBound: 0
; FloatMode: 240
; IeeeMode: 1
; LDSByteSize: 0 bytes/workgroup (compile time only)
; SGPRBlocks: 0
; VGPRBlocks: 3
; NumSGPRsForWavesPerEU: 78
; NumVGPRsForWavesPerEU: 52
; NamedBarCnt: 0
; Occupancy: 16
; WaveLimiterHint : 1
; COMPUTE_PGM_RSRC2:SCRATCH_EN: 1
; COMPUTE_PGM_RSRC2:USER_SGPR: 2
; COMPUTE_PGM_RSRC2:TRAP_HANDLER: 0
; COMPUTE_PGM_RSRC2:TGID_X_EN: 1
; COMPUTE_PGM_RSRC2:TGID_Y_EN: 0
; COMPUTE_PGM_RSRC2:TGID_Z_EN: 0
; COMPUTE_PGM_RSRC2:TIDIG_COMP_CNT: 0
	.section	.text._ZN2at6native12_GLOBAL__N_145unrolled_elementwise_kernel_for_multi_outputsILi2EZZZNS0_21prelu_backward_kernelERNS_14TensorIteratorEENKUlvE_clEvENKUlvE2_clEvEUlN3c104HalfES8_S8_E_St5arrayIPcLm5EE23TrivialOffsetCalculatorILi3EjESD_ILi2EjEEEviT0_T1_T2_T3_,"axG",@progbits,_ZN2at6native12_GLOBAL__N_145unrolled_elementwise_kernel_for_multi_outputsILi2EZZZNS0_21prelu_backward_kernelERNS_14TensorIteratorEENKUlvE_clEvENKUlvE2_clEvEUlN3c104HalfES8_S8_E_St5arrayIPcLm5EE23TrivialOffsetCalculatorILi3EjESD_ILi2EjEEEviT0_T1_T2_T3_,comdat
	.globl	_ZN2at6native12_GLOBAL__N_145unrolled_elementwise_kernel_for_multi_outputsILi2EZZZNS0_21prelu_backward_kernelERNS_14TensorIteratorEENKUlvE_clEvENKUlvE2_clEvEUlN3c104HalfES8_S8_E_St5arrayIPcLm5EE23TrivialOffsetCalculatorILi3EjESD_ILi2EjEEEviT0_T1_T2_T3_ ; -- Begin function _ZN2at6native12_GLOBAL__N_145unrolled_elementwise_kernel_for_multi_outputsILi2EZZZNS0_21prelu_backward_kernelERNS_14TensorIteratorEENKUlvE_clEvENKUlvE2_clEvEUlN3c104HalfES8_S8_E_St5arrayIPcLm5EE23TrivialOffsetCalculatorILi3EjESD_ILi2EjEEEviT0_T1_T2_T3_
	.p2align	8
	.type	_ZN2at6native12_GLOBAL__N_145unrolled_elementwise_kernel_for_multi_outputsILi2EZZZNS0_21prelu_backward_kernelERNS_14TensorIteratorEENKUlvE_clEvENKUlvE2_clEvEUlN3c104HalfES8_S8_E_St5arrayIPcLm5EE23TrivialOffsetCalculatorILi3EjESD_ILi2EjEEEviT0_T1_T2_T3_,@function
_ZN2at6native12_GLOBAL__N_145unrolled_elementwise_kernel_for_multi_outputsILi2EZZZNS0_21prelu_backward_kernelERNS_14TensorIteratorEENKUlvE_clEvENKUlvE2_clEvEUlN3c104HalfES8_S8_E_St5arrayIPcLm5EE23TrivialOffsetCalculatorILi3EjESD_ILi2EjEEEviT0_T1_T2_T3_: ; @_ZN2at6native12_GLOBAL__N_145unrolled_elementwise_kernel_for_multi_outputsILi2EZZZNS0_21prelu_backward_kernelERNS_14TensorIteratorEENKUlvE_clEvENKUlvE2_clEvEUlN3c104HalfES8_S8_E_St5arrayIPcLm5EE23TrivialOffsetCalculatorILi3EjESD_ILi2EjEEEviT0_T1_T2_T3_
; %bb.0:
	s_load_b32 s13, s[0:1], 0x0
	s_bfe_u32 s2, ttmp6, 0x4000c
	s_load_b256 s[4:11], s[0:1], 0x8
	s_add_co_i32 s2, s2, 1
	s_and_b32 s12, ttmp6, 15
	s_mul_i32 s15, ttmp9, s2
	s_load_b64 s[2:3], s[0:1], 0x28
	s_getreg_b32 s14, hwreg(HW_REG_IB_STS2, 6, 4)
	s_add_co_i32 s12, s12, s15
	s_cmp_eq_u32 s14, 0
	v_dual_mov_b32 v4, 0 :: v_dual_mov_b32 v2, 0
	s_wait_xcnt 0x0
	s_cselect_b32 s0, ttmp9, s12
	v_dual_mov_b32 v6, 0 :: v_dual_mov_b32 v5, 0
	s_lshl_b32 s12, s0, 10
	v_dual_mov_b32 v7, 0 :: v_dual_mov_b32 v9, 0
	v_dual_mov_b32 v8, 0 :: v_dual_bitop2_b32 v3, s12, v0 bitop3:0x54
	s_wait_kmcnt 0x0
	s_sub_co_i32 s13, s13, s12
	v_or_b32_e32 v1, 0x100, v0
	v_cmp_gt_i32_e32 vcc_lo, s13, v0
	v_dual_mov_b32 v10, 0 :: v_dual_mov_b32 v12, 0
	v_dual_mov_b32 v11, 0 :: v_dual_mov_b32 v13, 0
	;; [unrolled: 1-line block ×3, first 2 shown]
	s_and_saveexec_b32 s1, vcc_lo
	s_cbranch_execz .LBB63_8
; %bb.1:
	s_clause 0x2
	global_load_u16 v13, v3, s[8:9] scale_offset
	global_load_u16 v15, v3, s[10:11] scale_offset
	;; [unrolled: 1-line block ×3, first 2 shown]
	v_dual_mov_b32 v12, 0 :: v_dual_mov_b32 v11, 0
	v_dual_mov_b32 v10, 0 :: v_dual_mov_b32 v8, 0
	;; [unrolled: 1-line block ×4, first 2 shown]
	v_mov_b32_e32 v6, 0
	s_mov_b32 s14, exec_lo
	s_wait_xcnt 0x0
	v_cmpx_gt_u32_e64 s13, v1
	s_cbranch_execz .LBB63_7
; %bb.2:
	v_dual_mov_b32 v9, 0 :: v_dual_add_nc_u32 v4, s12, v1
	v_or_b32_e32 v16, 0x200, v0
	v_dual_mov_b32 v8, 0 :: v_dual_mov_b32 v7, 0
	s_clause 0x2
	global_load_u16 v10, v4, s[8:9] scale_offset
	global_load_u16 v12, v4, s[10:11] scale_offset
	;; [unrolled: 1-line block ×3, first 2 shown]
	s_wait_xcnt 0x0
	v_dual_mov_b32 v4, 0 :: v_dual_mov_b32 v5, 0
	v_mov_b32_e32 v6, 0
	s_mov_b32 s15, exec_lo
	v_cmpx_gt_u32_e64 s13, v16
	s_cbranch_execz .LBB63_6
; %bb.3:
	v_dual_mov_b32 v5, 0 :: v_dual_add_nc_u32 v4, s12, v16
	v_or_b32_e32 v16, 0x300, v0
	s_mov_b32 s16, exec_lo
	s_clause 0x2
	global_load_u16 v7, v4, s[8:9] scale_offset
	global_load_u16 v9, v4, s[10:11] scale_offset
	global_load_u16 v8, v4, s[2:3] scale_offset
	s_wait_xcnt 0x0
	v_dual_mov_b32 v4, 0 :: v_dual_mov_b32 v6, 0
	v_cmpx_gt_u32_e64 s13, v16
	s_cbranch_execz .LBB63_5
; %bb.4:
	v_add_nc_u32_e32 v16, s12, v16
	s_clause 0x2
	global_load_u16 v6, v16, s[8:9] scale_offset
	global_load_u16 v5, v16, s[10:11] scale_offset
	;; [unrolled: 1-line block ×3, first 2 shown]
.LBB63_5:
	s_wait_xcnt 0x0
	s_or_b32 exec_lo, exec_lo, s16
.LBB63_6:
	s_delay_alu instid0(SALU_CYCLE_1)
	s_or_b32 exec_lo, exec_lo, s15
.LBB63_7:
	s_delay_alu instid0(SALU_CYCLE_1)
	s_or_b32 exec_lo, exec_lo, s14
.LBB63_8:
	s_delay_alu instid0(SALU_CYCLE_1)
	s_or_b32 exec_lo, exec_lo, s1
	s_and_saveexec_b32 s1, vcc_lo
	s_cbranch_execz .LBB63_10
; %bb.9:
	s_wait_loadcnt 0x0
	v_mul_f16_e32 v2, v15, v14
	v_mul_f16_e32 v15, v13, v14
	v_cmp_lt_f16_e64 s0, 0, v13
	s_delay_alu instid0(VALU_DEP_1) | instskip(NEXT) | instid1(VALU_DEP_1)
	v_dual_lshlrev_b32 v13, 16, v15 :: v_dual_cndmask_b32 v2, v2, v14, s0
	v_cndmask_b32_e64 v13, v13, 0, s0
	s_delay_alu instid0(VALU_DEP_2) | instskip(NEXT) | instid1(VALU_DEP_1)
	v_and_b32_e32 v2, 0xffff, v2
	v_or_b32_e32 v2, v13, v2
.LBB63_10:
	s_or_b32 exec_lo, exec_lo, s1
	v_cmp_gt_i32_e64 s0, s13, v1
	s_wait_loadcnt 0x0
	v_dual_mov_b32 v13, 0 :: v_dual_mov_b32 v14, 0
	s_and_saveexec_b32 s2, s0
	s_cbranch_execz .LBB63_12
; %bb.11:
	v_mul_f16_e32 v12, v12, v11
	v_mul_f16_e32 v14, v10, v11
	v_cmp_lt_f16_e64 s1, 0, v10
	s_delay_alu instid0(VALU_DEP_1) | instskip(NEXT) | instid1(VALU_DEP_1)
	v_dual_cndmask_b32 v10, v12, v11, s1 :: v_dual_lshlrev_b32 v11, 16, v14
	v_and_b32_e32 v10, 0xffff, v10
	s_delay_alu instid0(VALU_DEP_2) | instskip(NEXT) | instid1(VALU_DEP_1)
	v_cndmask_b32_e64 v11, v11, 0, s1
	v_or_b32_e32 v14, v11, v10
.LBB63_12:
	s_or_b32 exec_lo, exec_lo, s2
	v_or_b32_e32 v10, 0x200, v0
	s_delay_alu instid0(VALU_DEP_1)
	v_cmp_gt_i32_e64 s1, s13, v10
	s_and_saveexec_b32 s3, s1
	s_cbranch_execz .LBB63_14
; %bb.13:
	v_mul_f16_e32 v9, v9, v8
	v_mul_f16_e32 v11, v7, v8
	v_cmp_lt_f16_e64 s2, 0, v7
	s_delay_alu instid0(VALU_DEP_1) | instskip(NEXT) | instid1(VALU_DEP_1)
	v_dual_cndmask_b32 v7, v9, v8, s2 :: v_dual_lshlrev_b32 v8, 16, v11
	v_and_b32_e32 v7, 0xffff, v7
	s_delay_alu instid0(VALU_DEP_2) | instskip(NEXT) | instid1(VALU_DEP_1)
	v_cndmask_b32_e64 v8, v8, 0, s2
	v_or_b32_e32 v13, v8, v7
.LBB63_14:
	s_or_b32 exec_lo, exec_lo, s3
	v_or_b32_e32 v0, 0x300, v0
	v_mov_b32_e32 v7, 0
	s_delay_alu instid0(VALU_DEP_2)
	v_cmp_gt_i32_e64 s2, s13, v0
	s_and_saveexec_b32 s8, s2
	s_cbranch_execz .LBB63_16
; %bb.15:
	v_mul_f16_e32 v5, v5, v4
	v_mul_f16_e32 v7, v6, v4
	v_cmp_lt_f16_e64 s3, 0, v6
	s_delay_alu instid0(VALU_DEP_1) | instskip(NEXT) | instid1(VALU_DEP_1)
	v_dual_cndmask_b32 v4, v5, v4, s3 :: v_dual_lshlrev_b32 v5, 16, v7
	v_and_b32_e32 v4, 0xffff, v4
	s_delay_alu instid0(VALU_DEP_2) | instskip(NEXT) | instid1(VALU_DEP_1)
	v_cndmask_b32_e64 v5, v5, 0, s3
	v_or_b32_e32 v7, v5, v4
.LBB63_16:
	s_or_b32 exec_lo, exec_lo, s8
	s_and_saveexec_b32 s3, vcc_lo
	s_cbranch_execz .LBB63_21
; %bb.17:
	s_clause 0x1
	global_store_b16 v3, v2, s[4:5] scale_offset
	global_store_d16_hi_b16 v3, v2, s[6:7] scale_offset
	s_wait_xcnt 0x0
	s_and_b32 exec_lo, exec_lo, s0
	s_cbranch_execz .LBB63_21
; %bb.18:
	v_add_nc_u32_e32 v1, s12, v1
	s_clause 0x1
	global_store_b16 v1, v14, s[4:5] scale_offset
	global_store_d16_hi_b16 v1, v14, s[6:7] scale_offset
	s_wait_xcnt 0x0
	s_and_b32 exec_lo, exec_lo, s1
	s_cbranch_execz .LBB63_21
; %bb.19:
	v_add_nc_u32_e32 v1, s12, v10
	;; [unrolled: 8-line block ×3, first 2 shown]
	s_clause 0x1
	global_store_b16 v0, v7, s[4:5] scale_offset
	global_store_d16_hi_b16 v0, v7, s[6:7] scale_offset
.LBB63_21:
	s_endpgm
	.section	.rodata,"a",@progbits
	.p2align	6, 0x0
	.amdhsa_kernel _ZN2at6native12_GLOBAL__N_145unrolled_elementwise_kernel_for_multi_outputsILi2EZZZNS0_21prelu_backward_kernelERNS_14TensorIteratorEENKUlvE_clEvENKUlvE2_clEvEUlN3c104HalfES8_S8_E_St5arrayIPcLm5EE23TrivialOffsetCalculatorILi3EjESD_ILi2EjEEEviT0_T1_T2_T3_
		.amdhsa_group_segment_fixed_size 0
		.amdhsa_private_segment_fixed_size 0
		.amdhsa_kernarg_size 52
		.amdhsa_user_sgpr_count 2
		.amdhsa_user_sgpr_dispatch_ptr 0
		.amdhsa_user_sgpr_queue_ptr 0
		.amdhsa_user_sgpr_kernarg_segment_ptr 1
		.amdhsa_user_sgpr_dispatch_id 0
		.amdhsa_user_sgpr_kernarg_preload_length 0
		.amdhsa_user_sgpr_kernarg_preload_offset 0
		.amdhsa_user_sgpr_private_segment_size 0
		.amdhsa_wavefront_size32 1
		.amdhsa_uses_dynamic_stack 0
		.amdhsa_enable_private_segment 0
		.amdhsa_system_sgpr_workgroup_id_x 1
		.amdhsa_system_sgpr_workgroup_id_y 0
		.amdhsa_system_sgpr_workgroup_id_z 0
		.amdhsa_system_sgpr_workgroup_info 0
		.amdhsa_system_vgpr_workitem_id 0
		.amdhsa_next_free_vgpr 17
		.amdhsa_next_free_sgpr 17
		.amdhsa_named_barrier_count 0
		.amdhsa_reserve_vcc 1
		.amdhsa_float_round_mode_32 0
		.amdhsa_float_round_mode_16_64 0
		.amdhsa_float_denorm_mode_32 3
		.amdhsa_float_denorm_mode_16_64 3
		.amdhsa_fp16_overflow 0
		.amdhsa_memory_ordered 1
		.amdhsa_forward_progress 1
		.amdhsa_inst_pref_size 9
		.amdhsa_round_robin_scheduling 0
		.amdhsa_exception_fp_ieee_invalid_op 0
		.amdhsa_exception_fp_denorm_src 0
		.amdhsa_exception_fp_ieee_div_zero 0
		.amdhsa_exception_fp_ieee_overflow 0
		.amdhsa_exception_fp_ieee_underflow 0
		.amdhsa_exception_fp_ieee_inexact 0
		.amdhsa_exception_int_div_zero 0
	.end_amdhsa_kernel
	.section	.text._ZN2at6native12_GLOBAL__N_145unrolled_elementwise_kernel_for_multi_outputsILi2EZZZNS0_21prelu_backward_kernelERNS_14TensorIteratorEENKUlvE_clEvENKUlvE2_clEvEUlN3c104HalfES8_S8_E_St5arrayIPcLm5EE23TrivialOffsetCalculatorILi3EjESD_ILi2EjEEEviT0_T1_T2_T3_,"axG",@progbits,_ZN2at6native12_GLOBAL__N_145unrolled_elementwise_kernel_for_multi_outputsILi2EZZZNS0_21prelu_backward_kernelERNS_14TensorIteratorEENKUlvE_clEvENKUlvE2_clEvEUlN3c104HalfES8_S8_E_St5arrayIPcLm5EE23TrivialOffsetCalculatorILi3EjESD_ILi2EjEEEviT0_T1_T2_T3_,comdat
.Lfunc_end63:
	.size	_ZN2at6native12_GLOBAL__N_145unrolled_elementwise_kernel_for_multi_outputsILi2EZZZNS0_21prelu_backward_kernelERNS_14TensorIteratorEENKUlvE_clEvENKUlvE2_clEvEUlN3c104HalfES8_S8_E_St5arrayIPcLm5EE23TrivialOffsetCalculatorILi3EjESD_ILi2EjEEEviT0_T1_T2_T3_, .Lfunc_end63-_ZN2at6native12_GLOBAL__N_145unrolled_elementwise_kernel_for_multi_outputsILi2EZZZNS0_21prelu_backward_kernelERNS_14TensorIteratorEENKUlvE_clEvENKUlvE2_clEvEUlN3c104HalfES8_S8_E_St5arrayIPcLm5EE23TrivialOffsetCalculatorILi3EjESD_ILi2EjEEEviT0_T1_T2_T3_
                                        ; -- End function
	.set _ZN2at6native12_GLOBAL__N_145unrolled_elementwise_kernel_for_multi_outputsILi2EZZZNS0_21prelu_backward_kernelERNS_14TensorIteratorEENKUlvE_clEvENKUlvE2_clEvEUlN3c104HalfES8_S8_E_St5arrayIPcLm5EE23TrivialOffsetCalculatorILi3EjESD_ILi2EjEEEviT0_T1_T2_T3_.num_vgpr, 17
	.set _ZN2at6native12_GLOBAL__N_145unrolled_elementwise_kernel_for_multi_outputsILi2EZZZNS0_21prelu_backward_kernelERNS_14TensorIteratorEENKUlvE_clEvENKUlvE2_clEvEUlN3c104HalfES8_S8_E_St5arrayIPcLm5EE23TrivialOffsetCalculatorILi3EjESD_ILi2EjEEEviT0_T1_T2_T3_.num_agpr, 0
	.set _ZN2at6native12_GLOBAL__N_145unrolled_elementwise_kernel_for_multi_outputsILi2EZZZNS0_21prelu_backward_kernelERNS_14TensorIteratorEENKUlvE_clEvENKUlvE2_clEvEUlN3c104HalfES8_S8_E_St5arrayIPcLm5EE23TrivialOffsetCalculatorILi3EjESD_ILi2EjEEEviT0_T1_T2_T3_.numbered_sgpr, 17
	.set _ZN2at6native12_GLOBAL__N_145unrolled_elementwise_kernel_for_multi_outputsILi2EZZZNS0_21prelu_backward_kernelERNS_14TensorIteratorEENKUlvE_clEvENKUlvE2_clEvEUlN3c104HalfES8_S8_E_St5arrayIPcLm5EE23TrivialOffsetCalculatorILi3EjESD_ILi2EjEEEviT0_T1_T2_T3_.num_named_barrier, 0
	.set _ZN2at6native12_GLOBAL__N_145unrolled_elementwise_kernel_for_multi_outputsILi2EZZZNS0_21prelu_backward_kernelERNS_14TensorIteratorEENKUlvE_clEvENKUlvE2_clEvEUlN3c104HalfES8_S8_E_St5arrayIPcLm5EE23TrivialOffsetCalculatorILi3EjESD_ILi2EjEEEviT0_T1_T2_T3_.private_seg_size, 0
	.set _ZN2at6native12_GLOBAL__N_145unrolled_elementwise_kernel_for_multi_outputsILi2EZZZNS0_21prelu_backward_kernelERNS_14TensorIteratorEENKUlvE_clEvENKUlvE2_clEvEUlN3c104HalfES8_S8_E_St5arrayIPcLm5EE23TrivialOffsetCalculatorILi3EjESD_ILi2EjEEEviT0_T1_T2_T3_.uses_vcc, 1
	.set _ZN2at6native12_GLOBAL__N_145unrolled_elementwise_kernel_for_multi_outputsILi2EZZZNS0_21prelu_backward_kernelERNS_14TensorIteratorEENKUlvE_clEvENKUlvE2_clEvEUlN3c104HalfES8_S8_E_St5arrayIPcLm5EE23TrivialOffsetCalculatorILi3EjESD_ILi2EjEEEviT0_T1_T2_T3_.uses_flat_scratch, 0
	.set _ZN2at6native12_GLOBAL__N_145unrolled_elementwise_kernel_for_multi_outputsILi2EZZZNS0_21prelu_backward_kernelERNS_14TensorIteratorEENKUlvE_clEvENKUlvE2_clEvEUlN3c104HalfES8_S8_E_St5arrayIPcLm5EE23TrivialOffsetCalculatorILi3EjESD_ILi2EjEEEviT0_T1_T2_T3_.has_dyn_sized_stack, 0
	.set _ZN2at6native12_GLOBAL__N_145unrolled_elementwise_kernel_for_multi_outputsILi2EZZZNS0_21prelu_backward_kernelERNS_14TensorIteratorEENKUlvE_clEvENKUlvE2_clEvEUlN3c104HalfES8_S8_E_St5arrayIPcLm5EE23TrivialOffsetCalculatorILi3EjESD_ILi2EjEEEviT0_T1_T2_T3_.has_recursion, 0
	.set _ZN2at6native12_GLOBAL__N_145unrolled_elementwise_kernel_for_multi_outputsILi2EZZZNS0_21prelu_backward_kernelERNS_14TensorIteratorEENKUlvE_clEvENKUlvE2_clEvEUlN3c104HalfES8_S8_E_St5arrayIPcLm5EE23TrivialOffsetCalculatorILi3EjESD_ILi2EjEEEviT0_T1_T2_T3_.has_indirect_call, 0
	.section	.AMDGPU.csdata,"",@progbits
; Kernel info:
; codeLenInByte = 1048
; TotalNumSgprs: 19
; NumVgprs: 17
; ScratchSize: 0
; MemoryBound: 0
; FloatMode: 240
; IeeeMode: 1
; LDSByteSize: 0 bytes/workgroup (compile time only)
; SGPRBlocks: 0
; VGPRBlocks: 1
; NumSGPRsForWavesPerEU: 19
; NumVGPRsForWavesPerEU: 17
; NamedBarCnt: 0
; Occupancy: 16
; WaveLimiterHint : 0
; COMPUTE_PGM_RSRC2:SCRATCH_EN: 0
; COMPUTE_PGM_RSRC2:USER_SGPR: 2
; COMPUTE_PGM_RSRC2:TRAP_HANDLER: 0
; COMPUTE_PGM_RSRC2:TGID_X_EN: 1
; COMPUTE_PGM_RSRC2:TGID_Y_EN: 0
; COMPUTE_PGM_RSRC2:TGID_Z_EN: 0
; COMPUTE_PGM_RSRC2:TIDIG_COMP_CNT: 0
	.section	.text._ZN2at6native12_GLOBAL__N_145unrolled_elementwise_kernel_for_multi_outputsILi2EZZZNS0_21prelu_backward_kernelERNS_14TensorIteratorEENKUlvE_clEvENKUlvE2_clEvEUlN3c104HalfES8_S8_E_St5arrayIPcLm5EE16OffsetCalculatorILi3EjLb0EESD_ILi2EjLb0EEEEviT0_T1_T2_T3_,"axG",@progbits,_ZN2at6native12_GLOBAL__N_145unrolled_elementwise_kernel_for_multi_outputsILi2EZZZNS0_21prelu_backward_kernelERNS_14TensorIteratorEENKUlvE_clEvENKUlvE2_clEvEUlN3c104HalfES8_S8_E_St5arrayIPcLm5EE16OffsetCalculatorILi3EjLb0EESD_ILi2EjLb0EEEEviT0_T1_T2_T3_,comdat
	.globl	_ZN2at6native12_GLOBAL__N_145unrolled_elementwise_kernel_for_multi_outputsILi2EZZZNS0_21prelu_backward_kernelERNS_14TensorIteratorEENKUlvE_clEvENKUlvE2_clEvEUlN3c104HalfES8_S8_E_St5arrayIPcLm5EE16OffsetCalculatorILi3EjLb0EESD_ILi2EjLb0EEEEviT0_T1_T2_T3_ ; -- Begin function _ZN2at6native12_GLOBAL__N_145unrolled_elementwise_kernel_for_multi_outputsILi2EZZZNS0_21prelu_backward_kernelERNS_14TensorIteratorEENKUlvE_clEvENKUlvE2_clEvEUlN3c104HalfES8_S8_E_St5arrayIPcLm5EE16OffsetCalculatorILi3EjLb0EESD_ILi2EjLb0EEEEviT0_T1_T2_T3_
	.p2align	8
	.type	_ZN2at6native12_GLOBAL__N_145unrolled_elementwise_kernel_for_multi_outputsILi2EZZZNS0_21prelu_backward_kernelERNS_14TensorIteratorEENKUlvE_clEvENKUlvE2_clEvEUlN3c104HalfES8_S8_E_St5arrayIPcLm5EE16OffsetCalculatorILi3EjLb0EESD_ILi2EjLb0EEEEviT0_T1_T2_T3_,@function
_ZN2at6native12_GLOBAL__N_145unrolled_elementwise_kernel_for_multi_outputsILi2EZZZNS0_21prelu_backward_kernelERNS_14TensorIteratorEENKUlvE_clEvENKUlvE2_clEvEUlN3c104HalfES8_S8_E_St5arrayIPcLm5EE16OffsetCalculatorILi3EjLb0EESD_ILi2EjLb0EEEEviT0_T1_T2_T3_: ; @_ZN2at6native12_GLOBAL__N_145unrolled_elementwise_kernel_for_multi_outputsILi2EZZZNS0_21prelu_backward_kernelERNS_14TensorIteratorEENKUlvE_clEvENKUlvE2_clEvEUlN3c104HalfES8_S8_E_St5arrayIPcLm5EE16OffsetCalculatorILi3EjLb0EESD_ILi2EjLb0EEEEviT0_T1_T2_T3_
; %bb.0:
	s_clause 0x5
	s_load_b256 s[16:23], s[0:1], 0x1f4
	s_load_b256 s[24:31], s[0:1], 0x214
	s_load_b32 s2, s[0:1], 0x0
	s_load_b256 s[36:43], s[0:1], 0x234
	s_load_b256 s[44:51], s[0:1], 0x254
	;; [unrolled: 1-line block ×3, first 2 shown]
	s_bfe_u32 s4, ttmp6, 0x4000c
	s_load_b256 s[60:67], s[0:1], 0x294
	s_add_co_i32 s4, s4, 1
	s_and_b32 s3, ttmp6, 15
	s_mul_i32 s4, ttmp9, s4
	s_getreg_b32 s5, hwreg(HW_REG_IB_STS2, 6, 4)
	s_load_b256 s[68:75], s[0:1], 0x2b4
	s_add_co_i32 s3, s3, s4
	s_cmp_eq_u32 s5, 0
	s_load_b256 s[8:15], s[0:1], 0x8
	s_cselect_b32 s3, ttmp9, s3
	s_load_b64 s[4:5], s[0:1], 0x28
	s_lshl_b32 s6, s3, 10
	v_dual_mov_b32 v26, 0 :: v_dual_mov_b32 v27, 0
	s_wait_kmcnt 0x0
	v_mov_b64_e32 v[2:3], s[20:21]
	v_mov_b64_e32 v[10:11], s[28:29]
	;; [unrolled: 1-line block ×8, first 2 shown]
	s_load_b256 s[24:31], s[0:1], 0x2d4
	s_clause 0x3
	scratch_store_b128 off, v[2:5], off offset:512
	scratch_store_b128 off, v[6:9], off offset:528
	;; [unrolled: 1-line block ×4, first 2 shown]
	s_wait_xcnt 0x3
	v_mov_b64_e32 v[2:3], s[40:41]
	s_wait_xcnt 0x2
	v_mov_b64_e32 v[6:7], s[44:45]
	;; [unrolled: 2-line block ×3, first 2 shown]
	s_sub_co_i32 s7, s2, s6
	v_mov_b64_e32 v[4:5], s[42:43]
	v_mov_b64_e32 v[8:9], s[46:47]
	;; [unrolled: 1-line block ×3, first 2 shown]
	s_clause 0x2
	s_load_b32 s2, s[0:1], 0x2f4
	s_load_b256 s[44:51], s[0:1], 0x1b4
	s_load_b256 s[36:43], s[0:1], 0x1d4
	v_mov_b64_e32 v[14:15], s[52:53]
	v_mov_b64_e32 v[16:17], s[54:55]
	;; [unrolled: 1-line block ×6, first 2 shown]
	s_clause 0x5
	scratch_store_b128 off, v[2:5], off offset:576
	scratch_store_b128 off, v[6:9], off offset:592
	;; [unrolled: 1-line block ×6, first 2 shown]
	s_wait_xcnt 0x5
	v_mov_b64_e32 v[2:3], s[64:65]
	v_mov_b64_e32 v[4:5], s[66:67]
	s_wait_xcnt 0x4
	v_mov_b64_e32 v[6:7], s[68:69]
	v_mov_b64_e32 v[8:9], s[70:71]
	;; [unrolled: 3-line block ×3, first 2 shown]
	s_wait_kmcnt 0x0
	v_mov_b64_e32 v[14:15], s[24:25]
	s_load_b256 s[52:59], s[0:1], 0xd0
	v_mov_b64_e32 v[16:17], s[26:27]
	s_load_b256 s[20:27], s[0:1], 0xb0
	s_clause 0x3
	scratch_store_b128 off, v[2:5], off offset:672
	scratch_store_b128 off, v[6:9], off offset:688
	;; [unrolled: 1-line block ×4, first 2 shown]
	s_wait_xcnt 0x3
	v_mov_b64_e32 v[2:3], s[28:29]
	s_wait_xcnt 0x2
	v_mov_b64_e32 v[6:7], s[48:49]
	v_mov_b64_e32 v[4:5], s[30:31]
	s_load_b256 s[60:67], s[0:1], 0xf0
	v_mov_b64_e32 v[8:9], s[50:51]
	v_mov_b64_e32 v[10:11], s[36:37]
	v_mov_b64_e32 v[12:13], s[38:39]
	s_load_b256 s[68:75], s[0:1], 0x110
	v_mov_b32_e32 v1, s2
	s_clause 0x3
	scratch_store_b128 off, v[2:5], off offset:736
	scratch_store_b32 off, v1, off offset:752
	scratch_store_b128 off, v[6:9], off offset:448
	scratch_store_b128 off, v[10:13], off offset:464
	s_wait_xcnt 0x1
	v_mov_b64_e32 v[6:7], s[40:41]
	v_mov_b64_e32 v[8:9], s[42:43]
	s_load_b256 s[36:43], s[0:1], 0x130
	v_mov_b64_e32 v[2:3], s[44:45]
	v_mov_b64_e32 v[4:5], s[46:47]
	s_load_b256 s[44:51], s[0:1], 0x150
	v_mov_b64_e32 v[10:11], s[16:17]
	v_mov_b64_e32 v[12:13], s[18:19]
	s_wait_kmcnt 0x0
	v_mov_b64_e32 v[14:15], s[52:53]
	v_mov_b64_e32 v[16:17], s[54:55]
	;; [unrolled: 1-line block ×6, first 2 shown]
	s_load_b256 s[24:31], s[0:1], 0x170
	s_clause 0x1
	scratch_store_b128 off, v[6:9], off offset:480
	scratch_store_b128 off, v[10:13], off offset:496
	s_wait_xcnt 0x1
	v_mov_b64_e32 v[6:7], s[60:61]
	v_mov_b64_e32 v[8:9], s[62:63]
	s_wait_xcnt 0x0
	v_mov_b64_e32 v[10:11], s[64:65]
	s_clause 0x1
	scratch_store_b128 off, v[14:17], off offset:204
	scratch_store_b128 off, v[18:21], off offset:220
	v_mov_b64_e32 v[12:13], s[66:67]
	s_wait_xcnt 0x1
	v_mov_b64_e32 v[14:15], s[68:69]
	v_mov_b64_e32 v[16:17], s[70:71]
	s_load_b256 s[52:59], s[0:1], 0x190
	v_mov_b64_e32 v[18:19], s[72:73]
	v_mov_b64_e32 v[20:21], s[74:75]
	s_clause 0x3
	scratch_store_b128 off, v[6:9], off offset:236
	scratch_store_b128 off, v[10:13], off offset:252
	;; [unrolled: 1-line block ×4, first 2 shown]
	s_wait_xcnt 0x3
	v_mov_b64_e32 v[6:7], s[36:37]
	s_wait_xcnt 0x2
	v_mov_b64_e32 v[10:11], s[40:41]
	s_load_b32 s2, s[0:1], 0x1b0
	v_mov_b64_e32 v[8:9], s[38:39]
	v_mov_b64_e32 v[12:13], s[42:43]
	s_load_b256 s[36:43], s[0:1], 0x30
	v_mov_b64_e32 v[14:15], s[44:45]
	v_mov_b64_e32 v[16:17], s[46:47]
	;; [unrolled: 1-line block ×4, first 2 shown]
	s_clause 0x1
	s_load_b256 s[44:51], s[0:1], 0x50
	s_load_b256 s[60:67], s[0:1], 0x70
	s_clause 0x3
	scratch_store_b128 off, v[6:9], off offset:300
	scratch_store_b128 off, v[10:13], off offset:316
	;; [unrolled: 1-line block ×4, first 2 shown]
	s_wait_kmcnt 0x0
	v_mov_b64_e32 v[6:7], s[24:25]
	s_wait_xcnt 0x2
	v_mov_b64_e32 v[10:11], s[28:29]
	v_mov_b64_e32 v[8:9], s[26:27]
	;; [unrolled: 1-line block ×3, first 2 shown]
	s_load_b256 s[24:31], s[0:1], 0x90
	v_mov_b64_e32 v[14:15], s[52:53]
	v_mov_b64_e32 v[16:17], s[54:55]
	;; [unrolled: 1-line block ×4, first 2 shown]
	v_mov_b32_e32 v1, s2
	s_clause 0x5
	scratch_store_b128 off, v[6:9], off offset:364
	scratch_store_b128 off, v[10:13], off offset:380
	;; [unrolled: 1-line block ×5, first 2 shown]
	scratch_store_b32 off, v1, off offset:428
	s_wait_xcnt 0x1
	v_mov_b64_e32 v[2:3], s[36:37]
	v_mov_b64_e32 v[4:5], s[38:39]
	;; [unrolled: 1-line block ×12, first 2 shown]
	s_clause 0x5
	scratch_store_b128 off, v[2:5], off offset:44
	scratch_store_b128 off, v[6:9], off offset:60
	;; [unrolled: 1-line block ×6, first 2 shown]
	s_wait_kmcnt 0x0
	v_mov_b64_e32 v[2:3], s[24:25]
	v_mov_b64_e32 v[4:5], s[26:27]
	s_wait_xcnt 0x1
	v_mov_b64_e32 v[16:17], s[28:29]
	v_mov_b64_e32 v[18:19], s[30:31]
	s_wait_xcnt 0x0
	v_mov_b64_e32 v[20:21], s[20:21]
	v_cmp_gt_i32_e32 vcc_lo, s7, v0
	v_dual_mov_b32 v13, 0 :: v_dual_mov_b32 v1, 0
	v_dual_mov_b32 v15, 0 :: v_dual_bitop2_b32 v14, s6, v0 bitop3:0x54
	v_dual_mov_b32 v28, 0 :: v_dual_mov_b32 v24, 0
	v_dual_mov_b32 v29, 0 :: v_dual_mov_b32 v30, 0
	;; [unrolled: 1-line block ×3, first 2 shown]
	v_mov_b32_e32 v34, 0
	v_mov_b64_e32 v[22:23], s[22:23]
	s_clause 0x3
	scratch_store_b128 off, v[2:5], off offset:140
	scratch_store_b128 off, v[16:19], off offset:156
	;; [unrolled: 1-line block ×4, first 2 shown]
	s_wait_xcnt 0x0
	s_and_saveexec_b32 s3, vcc_lo
	s_cbranch_execz .LBB64_56
; %bb.1:
	s_clause 0x3
	scratch_load_b128 v[6:9], off, off offset:44
	scratch_load_b96 v[10:12], off, off offset:60
	scratch_load_b128 v[2:5], off, off offset:240
	scratch_load_b64 v[16:17], off, off offset:256
	v_dual_mov_b32 v21, 0 :: v_dual_bitop2_b32 v22, s6, v0 bitop3:0x54
                                        ; implicit-def: $vgpr27
                                        ; implicit-def: $vgpr26
	s_wait_loadcnt 0x3
	v_sub_co_u32 v1, s2, v6, 1
	v_cmp_lt_u32_e64 s0, 1, v6
	s_wait_loadcnt 0x2
	v_mov_b32_e32 v18, v11
	s_xor_b32 s17, s2, -1
	v_cmp_lt_u32_e64 s1, 1, v1
	v_min_u32_e32 v6, 15, v1
                                        ; implicit-def: $vgpr11
	s_wait_xcnt 0x0
	s_and_saveexec_b32 s2, s1
	s_delay_alu instid0(SALU_CYCLE_1)
	s_xor_b32 s16, exec_lo, s2
	s_cbranch_execz .LBB64_9
; %bb.2:
	v_dual_mov_b32 v27, 0 :: v_dual_mov_b32 v26, 0
	v_mov_b32_e32 v11, 0
	s_and_saveexec_b32 s18, s17
	s_cbranch_execz .LBB64_8
; %bb.3:
	v_dual_add_nc_u32 v1, 1, v6 :: v_dual_mov_b32 v11, 0
	v_dual_mov_b32 v26, 0 :: v_dual_mov_b32 v27, 0
	s_sub_co_i32 s20, 0, 24
	s_delay_alu instid0(VALU_DEP_2)
	v_and_b32_e32 v1, 30, v1
	s_mov_b32 s19, 0
.LBB64_4:                               ; =>This Inner Loop Header: Depth=1
	s_clause 0x3
	scratch_load_b128 v[28:31], off, s20 offset:72
	scratch_load_b64 v[24:25], off, s20 offset:88
	scratch_load_b128 v[32:35], off, s20 offset:264
	scratch_load_b64 v[36:37], off, s20 offset:280
	s_wait_xcnt 0x0
	s_add_co_i32 s20, s20, 24
	v_add_nc_u32_e32 v1, -2, v1
	s_delay_alu instid0(VALU_DEP_1) | instskip(SKIP_3) | instid1(VALU_DEP_1)
	v_cmp_eq_u32_e64 s2, 0, v1
	s_or_b32 s19, s2, s19
	s_wait_loadcnt 0x3
	v_mul_hi_u32 v13, v29, v22
	v_add_nc_u32_e32 v13, v22, v13
	s_delay_alu instid0(VALU_DEP_1) | instskip(SKIP_1) | instid1(VALU_DEP_1)
	v_lshrrev_b32_e32 v13, v30, v13
	s_wait_loadcnt 0x2
	v_mul_hi_u32 v15, v24, v13
	v_mul_lo_u32 v19, v13, v28
	s_delay_alu instid0(VALU_DEP_2) | instskip(NEXT) | instid1(VALU_DEP_2)
	v_add_nc_u32_e32 v15, v13, v15
	v_sub_nc_u32_e32 v19, v22, v19
	s_delay_alu instid0(VALU_DEP_2) | instskip(SKIP_1) | instid1(VALU_DEP_2)
	v_lshrrev_b32_e32 v22, v25, v15
	s_wait_loadcnt 0x1
	v_mad_u32 v11, v19, v32, v11
	v_mad_u32 v20, v19, v34, v27
	;; [unrolled: 1-line block ×3, first 2 shown]
	v_mul_lo_u32 v15, v22, v31
	s_delay_alu instid0(VALU_DEP_1) | instskip(NEXT) | instid1(VALU_DEP_1)
	v_sub_nc_u32_e32 v13, v13, v15
	v_mad_u32 v11, v13, v35, v11
	s_wait_loadcnt 0x0
	v_mad_u32 v27, v13, v37, v20
	v_mad_u32 v26, v13, v36, v19
	v_mov_b32_e32 v13, s20
	s_and_not1_b32 exec_lo, exec_lo, s19
	s_cbranch_execnz .LBB64_4
; %bb.5:
	s_or_b32 exec_lo, exec_lo, s19
	v_and_b32_e32 v1, 1, v6
	s_mov_b32 s19, exec_lo
	s_delay_alu instid0(VALU_DEP_1)
	v_cmpx_eq_u32_e32 0, v1
	s_cbranch_execz .LBB64_7
; %bb.6:
	s_clause 0x1
	scratch_load_b96 v[28:30], v13, off offset:72
	scratch_load_b96 v[32:34], v13, off offset:264
	s_wait_loadcnt 0x1
	v_mul_hi_u32 v1, v29, v22
	s_delay_alu instid0(VALU_DEP_1) | instskip(NEXT) | instid1(VALU_DEP_1)
	v_add_nc_u32_e32 v1, v22, v1
	v_lshrrev_b32_e32 v1, v30, v1
	s_delay_alu instid0(VALU_DEP_1) | instskip(NEXT) | instid1(VALU_DEP_1)
	v_mul_lo_u32 v1, v1, v28
	v_sub_nc_u32_e32 v1, v22, v1
	s_wait_loadcnt 0x0
	s_delay_alu instid0(VALU_DEP_1)
	v_mad_u32 v11, v1, v32, v11
	v_mad_u32 v26, v1, v33, v26
	v_mad_u32 v27, v1, v34, v27
.LBB64_7:
	s_wait_xcnt 0x0
	s_or_b32 exec_lo, exec_lo, s19
.LBB64_8:
	s_delay_alu instid0(SALU_CYCLE_1)
	s_or_b32 exec_lo, exec_lo, s18
                                        ; implicit-def: $vgpr22
.LBB64_9:
	s_or_saveexec_b32 s2, s16
	v_dual_mov_b32 v20, v8 :: v_dual_mov_b32 v19, v21
	s_xor_b32 exec_lo, exec_lo, s2
	s_cbranch_execz .LBB64_13
; %bb.10:
	v_mov_b32_e32 v23, 0
	s_delay_alu instid0(VALU_DEP_1) | instskip(NEXT) | instid1(VALU_DEP_1)
	v_mul_u64_e32 v[24:25], v[20:21], v[22:23]
	v_add_nc_u32_e32 v1, v22, v25
	s_delay_alu instid0(VALU_DEP_1) | instskip(NEXT) | instid1(VALU_DEP_1)
	v_lshrrev_b32_e32 v24, v9, v1
	v_mul_lo_u32 v1, v24, v7
	s_delay_alu instid0(VALU_DEP_1) | instskip(SKIP_1) | instid1(VALU_DEP_1)
	v_sub_nc_u32_e32 v1, v22, v1
	s_wait_loadcnt 0x1
	v_mul_lo_u32 v11, v1, v2
	v_mul_lo_u32 v27, v1, v4
	;; [unrolled: 1-line block ×3, first 2 shown]
	s_and_saveexec_b32 s16, s0
	s_cbranch_execz .LBB64_12
; %bb.11:
	v_mov_b32_e32 v25, v23
	s_delay_alu instid0(VALU_DEP_1) | instskip(NEXT) | instid1(VALU_DEP_1)
	v_mul_u64_e32 v[22:23], v[18:19], v[24:25]
	v_add_nc_u32_e32 v1, v24, v23
	s_delay_alu instid0(VALU_DEP_1) | instskip(NEXT) | instid1(VALU_DEP_1)
	v_lshrrev_b32_e32 v1, v12, v1
	v_mul_lo_u32 v1, v1, v10
	s_delay_alu instid0(VALU_DEP_1) | instskip(NEXT) | instid1(VALU_DEP_1)
	v_sub_nc_u32_e32 v1, v24, v1
	v_mad_u32 v11, v1, v5, v11
	s_wait_loadcnt 0x0
	v_mad_u32 v26, v1, v16, v26
	v_mad_u32 v27, v1, v17, v27
.LBB64_12:
	s_or_b32 exec_lo, exec_lo, s16
.LBB64_13:
	s_delay_alu instid0(SALU_CYCLE_1)
	s_or_b32 exec_lo, exec_lo, s2
	global_load_u16 v15, v11, s[12:13] scale_offset
	global_load_u16 v13, v26, s[14:15] scale_offset
	;; [unrolled: 1-line block ×3, first 2 shown]
	s_wait_xcnt 0x2
	v_or_b32_e32 v11, 0x100, v0
	s_wait_xcnt 0x0
	v_dual_mov_b32 v27, 0 :: v_dual_mov_b32 v26, 0
	v_dual_mov_b32 v28, 0 :: v_dual_mov_b32 v24, 0
	;; [unrolled: 1-line block ×4, first 2 shown]
	v_mov_b32_e32 v34, 0
	s_mov_b32 s16, exec_lo
	v_cmpx_gt_u32_e64 s7, v11
	s_cbranch_execz .LBB64_55
; %bb.14:
	v_add_nc_u32_e32 v22, s6, v11
                                        ; implicit-def: $vgpr8
                                        ; implicit-def: $vgpr29
                                        ; implicit-def: $vgpr11
	s_and_saveexec_b32 s2, s1
	s_delay_alu instid0(SALU_CYCLE_1)
	s_xor_b32 s18, exec_lo, s2
	s_cbranch_execz .LBB64_22
; %bb.15:
	v_dual_mov_b32 v8, 0 :: v_dual_mov_b32 v29, 0
	v_mov_b32_e32 v11, 0
	s_and_saveexec_b32 s19, s17
	s_cbranch_execz .LBB64_21
; %bb.16:
	v_dual_mov_b32 v11, 0 :: v_dual_add_nc_u32 v8, 1, v6
	v_mov_b32_e32 v29, 0
	s_sub_co_i32 s21, 0, 24
	s_mov_b32 s20, 0
	s_delay_alu instid0(VALU_DEP_2)
	v_dual_mov_b32 v8, 0 :: v_dual_bitop2_b32 v23, 30, v8 bitop3:0x40
.LBB64_17:                              ; =>This Inner Loop Header: Depth=1
	s_clause 0x3
	scratch_load_b128 v[24:27], off, s21 offset:72
	scratch_load_b64 v[34:35], off, s21 offset:88
	scratch_load_b128 v[30:33], off, s21 offset:264
	scratch_load_b64 v[36:37], off, s21 offset:280
	s_wait_xcnt 0x0
	s_add_co_i32 s21, s21, 24
	v_add_nc_u32_e32 v23, -2, v23
	s_delay_alu instid0(VALU_DEP_1) | instskip(SKIP_3) | instid1(VALU_DEP_1)
	v_cmp_eq_u32_e64 s2, 0, v23
	s_or_b32 s20, s2, s20
	s_wait_loadcnt 0x3
	v_mul_hi_u32 v25, v25, v22
	v_add_nc_u32_e32 v25, v22, v25
	s_delay_alu instid0(VALU_DEP_1) | instskip(SKIP_1) | instid1(VALU_DEP_1)
	v_lshrrev_b32_e32 v25, v26, v25
	s_wait_loadcnt 0x2
	v_mul_hi_u32 v26, v34, v25
	v_mul_lo_u32 v24, v25, v24
	s_delay_alu instid0(VALU_DEP_1) | instskip(NEXT) | instid1(VALU_DEP_1)
	v_dual_add_nc_u32 v26, v25, v26 :: v_dual_sub_nc_u32 v24, v22, v24
	v_lshrrev_b32_e32 v22, v35, v26
	s_wait_loadcnt 0x1
	s_delay_alu instid0(VALU_DEP_2) | instskip(SKIP_3) | instid1(VALU_DEP_1)
	v_mad_u32 v11, v24, v30, v11
	v_mad_u32 v8, v24, v32, v8
	;; [unrolled: 1-line block ×3, first 2 shown]
	v_mul_lo_u32 v26, v22, v27
	v_sub_nc_u32_e32 v25, v25, v26
	s_wait_loadcnt 0x0
	s_delay_alu instid0(VALU_DEP_1)
	v_mad_u32 v29, v25, v36, v24
	v_mov_b32_e32 v24, s21
	v_mad_u32 v11, v25, v33, v11
	v_mad_u32 v8, v25, v37, v8
	s_and_not1_b32 exec_lo, exec_lo, s20
	s_cbranch_execnz .LBB64_17
; %bb.18:
	s_or_b32 exec_lo, exec_lo, s20
	v_and_b32_e32 v23, 1, v6
	s_mov_b32 s20, exec_lo
	s_delay_alu instid0(VALU_DEP_1)
	v_cmpx_eq_u32_e32 0, v23
	s_cbranch_execz .LBB64_20
; %bb.19:
	s_clause 0x1
	scratch_load_b96 v[26:28], v24, off offset:72
	scratch_load_b96 v[30:32], v24, off offset:264
	s_wait_loadcnt 0x1
	v_mul_hi_u32 v23, v27, v22
	s_delay_alu instid0(VALU_DEP_1) | instskip(NEXT) | instid1(VALU_DEP_1)
	v_add_nc_u32_e32 v23, v22, v23
	v_lshrrev_b32_e32 v23, v28, v23
	s_delay_alu instid0(VALU_DEP_1) | instskip(NEXT) | instid1(VALU_DEP_1)
	v_mul_lo_u32 v23, v23, v26
	v_sub_nc_u32_e32 v22, v22, v23
	s_wait_loadcnt 0x0
	s_delay_alu instid0(VALU_DEP_1)
	v_mad_u32 v11, v22, v30, v11
	v_mad_u32 v29, v22, v31, v29
	;; [unrolled: 1-line block ×3, first 2 shown]
.LBB64_20:
	s_wait_xcnt 0x0
	s_or_b32 exec_lo, exec_lo, s20
.LBB64_21:
	s_delay_alu instid0(SALU_CYCLE_1)
	s_or_b32 exec_lo, exec_lo, s19
                                        ; implicit-def: $vgpr22
.LBB64_22:
	s_and_not1_saveexec_b32 s2, s18
	s_cbranch_execz .LBB64_26
; %bb.23:
	v_mov_b32_e32 v23, 0
	s_delay_alu instid0(VALU_DEP_1) | instskip(NEXT) | instid1(VALU_DEP_1)
	v_mul_u64_e32 v[24:25], v[20:21], v[22:23]
	v_add_nc_u32_e32 v8, v22, v25
	s_delay_alu instid0(VALU_DEP_1) | instskip(NEXT) | instid1(VALU_DEP_1)
	v_lshrrev_b32_e32 v24, v9, v8
	v_mul_lo_u32 v8, v24, v7
	s_delay_alu instid0(VALU_DEP_1) | instskip(SKIP_1) | instid1(VALU_DEP_1)
	v_sub_nc_u32_e32 v22, v22, v8
	s_wait_loadcnt 0x4
	v_mul_lo_u32 v11, v22, v2
	v_mul_lo_u32 v8, v22, v4
	;; [unrolled: 1-line block ×3, first 2 shown]
	s_and_saveexec_b32 s18, s0
	s_cbranch_execz .LBB64_25
; %bb.24:
	v_mov_b32_e32 v25, v23
	s_delay_alu instid0(VALU_DEP_1) | instskip(NEXT) | instid1(VALU_DEP_1)
	v_mul_u64_e32 v[22:23], v[18:19], v[24:25]
	v_add_nc_u32_e32 v22, v24, v23
	s_delay_alu instid0(VALU_DEP_1) | instskip(NEXT) | instid1(VALU_DEP_1)
	v_lshrrev_b32_e32 v22, v12, v22
	v_mul_lo_u32 v22, v22, v10
	s_delay_alu instid0(VALU_DEP_1) | instskip(NEXT) | instid1(VALU_DEP_1)
	v_sub_nc_u32_e32 v22, v24, v22
	v_mad_u32 v11, v22, v5, v11
	s_wait_loadcnt 0x3
	v_mad_u32 v29, v22, v16, v29
	v_mad_u32 v8, v22, v17, v8
.LBB64_25:
	s_or_b32 exec_lo, exec_lo, s18
.LBB64_26:
	s_delay_alu instid0(SALU_CYCLE_1)
	s_or_b32 exec_lo, exec_lo, s2
	global_load_u16 v28, v11, s[12:13] scale_offset
	global_load_u16 v27, v29, s[14:15] scale_offset
	;; [unrolled: 1-line block ×3, first 2 shown]
	s_wait_xcnt 0x2
	v_or_b32_e32 v11, 0x200, v0
	s_wait_xcnt 0x1
	v_dual_mov_b32 v29, 0 :: v_dual_mov_b32 v24, 0
	s_wait_xcnt 0x0
	v_dual_mov_b32 v30, 0 :: v_dual_mov_b32 v8, 0
	v_dual_mov_b32 v33, 0 :: v_dual_mov_b32 v34, 0
	s_mov_b32 s18, exec_lo
	v_cmpx_gt_u32_e64 s7, v11
	s_cbranch_execz .LBB64_54
; %bb.27:
	v_add_nc_u32_e32 v22, s6, v11
                                        ; implicit-def: $vgpr31
                                        ; implicit-def: $vgpr11
                                        ; implicit-def: $vgpr8
	s_and_saveexec_b32 s2, s1
	s_delay_alu instid0(SALU_CYCLE_1)
	s_xor_b32 s19, exec_lo, s2
	s_cbranch_execz .LBB64_35
; %bb.28:
	v_dual_mov_b32 v31, 0 :: v_dual_mov_b32 v11, 0
	v_mov_b32_e32 v8, 0
	s_and_saveexec_b32 s20, s17
	s_cbranch_execz .LBB64_34
; %bb.29:
	v_dual_mov_b32 v8, 0 :: v_dual_add_nc_u32 v23, 1, v6
	v_dual_mov_b32 v11, 0 :: v_dual_mov_b32 v31, 0
	s_sub_co_i32 s22, 0, 24
	s_delay_alu instid0(VALU_DEP_2)
	v_and_b32_e32 v23, 30, v23
	s_mov_b32 s21, 0
.LBB64_30:                              ; =>This Inner Loop Header: Depth=1
	s_clause 0x3
	scratch_load_b128 v[32:35], off, s22 offset:72
	scratch_load_b64 v[24:25], off, s22 offset:88
	scratch_load_b128 v[36:39], off, s22 offset:264
	scratch_load_b64 v[40:41], off, s22 offset:280
	s_wait_xcnt 0x0
	s_add_co_i32 s22, s22, 24
	v_add_nc_u32_e32 v23, -2, v23
	s_delay_alu instid0(VALU_DEP_1) | instskip(SKIP_3) | instid1(VALU_DEP_1)
	v_cmp_eq_u32_e64 s2, 0, v23
	s_or_b32 s21, s2, s21
	s_wait_loadcnt 0x3
	v_mul_hi_u32 v29, v33, v22
	v_add_nc_u32_e32 v29, v22, v29
	s_delay_alu instid0(VALU_DEP_1) | instskip(SKIP_1) | instid1(VALU_DEP_1)
	v_lshrrev_b32_e32 v29, v34, v29
	s_wait_loadcnt 0x2
	v_mul_hi_u32 v24, v24, v29
	v_mul_lo_u32 v30, v29, v32
	s_delay_alu instid0(VALU_DEP_1) | instskip(NEXT) | instid1(VALU_DEP_1)
	v_dual_add_nc_u32 v24, v29, v24 :: v_dual_sub_nc_u32 v30, v22, v30
	v_lshrrev_b32_e32 v22, v25, v24
	s_wait_loadcnt 0x1
	s_delay_alu instid0(VALU_DEP_2) | instskip(SKIP_3) | instid1(VALU_DEP_1)
	v_mad_u32 v8, v30, v36, v8
	v_mad_u32 v25, v30, v38, v31
	;; [unrolled: 1-line block ×3, first 2 shown]
	v_mul_lo_u32 v24, v22, v35
	v_sub_nc_u32_e32 v24, v29, v24
	s_delay_alu instid0(VALU_DEP_1)
	v_mad_u32 v8, v24, v39, v8
	s_wait_loadcnt 0x0
	v_mad_u32 v31, v24, v41, v25
	v_mad_u32 v11, v24, v40, v11
	v_mov_b32_e32 v24, s22
	s_and_not1_b32 exec_lo, exec_lo, s21
	s_cbranch_execnz .LBB64_30
; %bb.31:
	s_or_b32 exec_lo, exec_lo, s21
	v_and_b32_e32 v23, 1, v6
	s_mov_b32 s21, exec_lo
	s_delay_alu instid0(VALU_DEP_1)
	v_cmpx_eq_u32_e32 0, v23
	s_cbranch_execz .LBB64_33
; %bb.32:
	s_clause 0x1
	scratch_load_b96 v[32:34], v24, off offset:72
	scratch_load_b96 v[36:38], v24, off offset:264
	s_wait_loadcnt 0x1
	v_mul_hi_u32 v23, v33, v22
	s_delay_alu instid0(VALU_DEP_1) | instskip(NEXT) | instid1(VALU_DEP_1)
	v_add_nc_u32_e32 v23, v22, v23
	v_lshrrev_b32_e32 v23, v34, v23
	s_delay_alu instid0(VALU_DEP_1) | instskip(NEXT) | instid1(VALU_DEP_1)
	v_mul_lo_u32 v23, v23, v32
	v_sub_nc_u32_e32 v22, v22, v23
	s_wait_loadcnt 0x0
	s_delay_alu instid0(VALU_DEP_1)
	v_mad_u32 v8, v22, v36, v8
	v_mad_u32 v11, v22, v37, v11
	;; [unrolled: 1-line block ×3, first 2 shown]
.LBB64_33:
	s_wait_xcnt 0x0
	s_or_b32 exec_lo, exec_lo, s21
.LBB64_34:
	s_delay_alu instid0(SALU_CYCLE_1)
	s_or_b32 exec_lo, exec_lo, s20
                                        ; implicit-def: $vgpr22
.LBB64_35:
	s_and_not1_saveexec_b32 s2, s19
	s_cbranch_execz .LBB64_39
; %bb.36:
	v_mov_b32_e32 v23, 0
	s_delay_alu instid0(VALU_DEP_1) | instskip(NEXT) | instid1(VALU_DEP_1)
	v_mul_u64_e32 v[24:25], v[20:21], v[22:23]
	v_add_nc_u32_e32 v8, v22, v25
	s_delay_alu instid0(VALU_DEP_1) | instskip(NEXT) | instid1(VALU_DEP_1)
	v_lshrrev_b32_e32 v24, v9, v8
	v_mul_lo_u32 v8, v24, v7
	s_delay_alu instid0(VALU_DEP_1) | instskip(SKIP_1) | instid1(VALU_DEP_1)
	v_sub_nc_u32_e32 v11, v22, v8
	s_wait_loadcnt 0x7
	v_mul_lo_u32 v8, v11, v2
	v_mul_lo_u32 v31, v11, v4
	;; [unrolled: 1-line block ×3, first 2 shown]
	s_and_saveexec_b32 s19, s0
	s_cbranch_execz .LBB64_38
; %bb.37:
	v_mov_b32_e32 v25, v23
	s_delay_alu instid0(VALU_DEP_1) | instskip(NEXT) | instid1(VALU_DEP_1)
	v_mul_u64_e32 v[22:23], v[18:19], v[24:25]
	v_add_nc_u32_e32 v22, v24, v23
	s_delay_alu instid0(VALU_DEP_1) | instskip(NEXT) | instid1(VALU_DEP_1)
	v_lshrrev_b32_e32 v22, v12, v22
	v_mul_lo_u32 v22, v22, v10
	s_delay_alu instid0(VALU_DEP_1) | instskip(NEXT) | instid1(VALU_DEP_1)
	v_sub_nc_u32_e32 v22, v24, v22
	v_mad_u32 v8, v22, v5, v8
	s_wait_loadcnt 0x6
	v_mad_u32 v11, v22, v16, v11
	v_mad_u32 v31, v22, v17, v31
.LBB64_38:
	s_or_b32 exec_lo, exec_lo, s19
.LBB64_39:
	s_delay_alu instid0(SALU_CYCLE_1)
	s_or_b32 exec_lo, exec_lo, s2
	global_load_u16 v30, v8, s[12:13] scale_offset
	global_load_u16 v29, v11, s[14:15] scale_offset
	;; [unrolled: 1-line block ×3, first 2 shown]
	s_wait_xcnt 0x1
	v_or_b32_e32 v11, 0x300, v0
	v_dual_mov_b32 v33, 0 :: v_dual_mov_b32 v8, 0
	v_mov_b32_e32 v34, 0
	s_mov_b32 s19, exec_lo
	s_wait_xcnt 0x0
	v_cmpx_gt_u32_e64 s7, v11
	s_cbranch_execz .LBB64_53
; %bb.40:
	v_add_nc_u32_e32 v22, s6, v11
                                        ; implicit-def: $vgpr31
                                        ; implicit-def: $vgpr32
                                        ; implicit-def: $vgpr25
	s_and_saveexec_b32 s2, s1
	s_delay_alu instid0(SALU_CYCLE_1)
	s_xor_b32 s2, exec_lo, s2
	s_cbranch_execz .LBB64_48
; %bb.41:
	v_dual_mov_b32 v31, 0 :: v_dual_mov_b32 v32, 0
	v_mov_b32_e32 v25, 0
	s_and_saveexec_b32 s20, s17
	s_cbranch_execz .LBB64_47
; %bb.42:
	s_wait_loadcnt 0xa
	v_dual_mov_b32 v25, 0 :: v_dual_add_nc_u32 v2, 1, v6
	v_dual_mov_b32 v32, 0 :: v_dual_mov_b32 v31, 0
	s_sub_co_i32 s21, 0, 24
	s_delay_alu instid0(VALU_DEP_2)
	v_and_b32_e32 v2, 30, v2
	s_mov_b32 s17, 0
.LBB64_43:                              ; =>This Inner Loop Header: Depth=1
	s_clause 0x1
	scratch_load_b128 v[8:11], off, s21 offset:72
	scratch_load_b64 v[4:5], off, s21 offset:88
	s_wait_loadcnt 0xb
	s_clause 0x1
	scratch_load_b128 v[16:19], off, s21 offset:264
	scratch_load_b64 v[20:21], off, s21 offset:280
	s_wait_xcnt 0x0
	s_add_co_i32 s21, s21, 24
	v_add_nc_u32_e32 v2, -2, v2
	s_delay_alu instid0(VALU_DEP_1) | instskip(SKIP_3) | instid1(VALU_DEP_1)
	v_cmp_eq_u32_e64 s1, 0, v2
	s_or_b32 s17, s1, s17
	s_wait_loadcnt 0x3
	v_mul_hi_u32 v3, v9, v22
	v_add_nc_u32_e32 v3, v22, v3
	s_delay_alu instid0(VALU_DEP_1) | instskip(SKIP_1) | instid1(VALU_DEP_1)
	v_lshrrev_b32_e32 v3, v10, v3
	s_wait_loadcnt 0x2
	v_mul_hi_u32 v4, v4, v3
	v_mul_lo_u32 v7, v3, v8
	s_delay_alu instid0(VALU_DEP_1) | instskip(NEXT) | instid1(VALU_DEP_1)
	v_dual_add_nc_u32 v4, v3, v4 :: v_dual_sub_nc_u32 v7, v22, v7
	v_lshrrev_b32_e32 v22, v5, v4
	s_wait_loadcnt 0x1
	s_delay_alu instid0(VALU_DEP_2) | instskip(SKIP_3) | instid1(VALU_DEP_1)
	v_mad_u32 v5, v7, v16, v25
	v_mad_u32 v8, v7, v18, v31
	v_mad_u32 v7, v7, v17, v32
	v_mul_lo_u32 v4, v22, v11
	v_sub_nc_u32_e32 v3, v3, v4
	s_delay_alu instid0(VALU_DEP_1)
	v_mad_u32 v25, v3, v19, v5
	s_wait_loadcnt 0x0
	v_mad_u32 v31, v3, v21, v8
	v_mad_u32 v32, v3, v20, v7
	v_mov_b32_e32 v3, s21
	s_and_not1_b32 exec_lo, exec_lo, s17
	s_cbranch_execnz .LBB64_43
; %bb.44:
	s_or_b32 exec_lo, exec_lo, s17
	v_and_b32_e32 v2, 1, v6
	s_mov_b32 s17, exec_lo
	s_delay_alu instid0(VALU_DEP_1)
	v_cmpx_eq_u32_e32 0, v2
	s_cbranch_execz .LBB64_46
; %bb.45:
	s_clause 0x1
	scratch_load_b96 v[4:6], v3, off offset:72
	scratch_load_b96 v[8:10], v3, off offset:264
	s_wait_loadcnt 0x1
	v_mul_hi_u32 v2, v5, v22
	s_delay_alu instid0(VALU_DEP_1) | instskip(NEXT) | instid1(VALU_DEP_1)
	v_add_nc_u32_e32 v2, v22, v2
	v_lshrrev_b32_e32 v2, v6, v2
	s_delay_alu instid0(VALU_DEP_1) | instskip(NEXT) | instid1(VALU_DEP_1)
	v_mul_lo_u32 v2, v2, v4
	v_sub_nc_u32_e32 v2, v22, v2
	s_wait_loadcnt 0x0
	s_delay_alu instid0(VALU_DEP_1)
	v_mad_u32 v25, v2, v8, v25
	v_mad_u32 v32, v2, v9, v32
	;; [unrolled: 1-line block ×3, first 2 shown]
.LBB64_46:
	s_wait_xcnt 0x0
	s_or_b32 exec_lo, exec_lo, s17
.LBB64_47:
	s_delay_alu instid0(SALU_CYCLE_1)
	s_or_b32 exec_lo, exec_lo, s20
                                        ; implicit-def: $vgpr22
                                        ; implicit-def: $vgpr20_vgpr21
                                        ; implicit-def: $vgpr6_vgpr7_vgpr8_vgpr9
                                        ; implicit-def: $vgpr2_vgpr3_vgpr4_vgpr5
                                        ; implicit-def: $vgpr18_vgpr19
                                        ; implicit-def: $vgpr10_vgpr11_vgpr12
                                        ; implicit-def: $vgpr16_vgpr17
.LBB64_48:
	s_and_not1_saveexec_b32 s1, s2
	s_cbranch_execz .LBB64_52
; %bb.49:
	v_mov_b32_e32 v23, 0
	s_delay_alu instid0(VALU_DEP_1) | instskip(NEXT) | instid1(VALU_DEP_1)
	v_mul_u64_e32 v[20:21], v[20:21], v[22:23]
	v_add_nc_u32_e32 v6, v22, v21
	s_delay_alu instid0(VALU_DEP_1) | instskip(NEXT) | instid1(VALU_DEP_1)
	v_lshrrev_b32_e32 v6, v9, v6
	v_mul_lo_u32 v7, v6, v7
	s_delay_alu instid0(VALU_DEP_1) | instskip(SKIP_1) | instid1(VALU_DEP_1)
	v_sub_nc_u32_e32 v7, v22, v7
	s_wait_loadcnt 0xa
	v_mul_lo_u32 v25, v7, v2
	v_mul_lo_u32 v31, v7, v4
	;; [unrolled: 1-line block ×3, first 2 shown]
	s_and_saveexec_b32 s2, s0
	s_cbranch_execz .LBB64_51
; %bb.50:
	v_mov_b32_e32 v7, v23
	s_delay_alu instid0(VALU_DEP_1) | instskip(NEXT) | instid1(VALU_DEP_1)
	v_mul_u64_e32 v[2:3], v[18:19], v[6:7]
	v_add_nc_u32_e32 v2, v6, v3
	s_delay_alu instid0(VALU_DEP_1) | instskip(NEXT) | instid1(VALU_DEP_1)
	v_lshrrev_b32_e32 v2, v12, v2
	v_mul_lo_u32 v2, v2, v10
	s_delay_alu instid0(VALU_DEP_1) | instskip(NEXT) | instid1(VALU_DEP_1)
	v_sub_nc_u32_e32 v2, v6, v2
	v_mad_u32 v25, v2, v5, v25
	s_wait_loadcnt 0x9
	v_mad_u32 v32, v2, v16, v32
	v_mad_u32 v31, v2, v17, v31
.LBB64_51:
	s_or_b32 exec_lo, exec_lo, s2
.LBB64_52:
	s_delay_alu instid0(SALU_CYCLE_1)
	s_or_b32 exec_lo, exec_lo, s1
	global_load_u16 v34, v25, s[12:13] scale_offset
	global_load_u16 v33, v32, s[14:15] scale_offset
	;; [unrolled: 1-line block ×3, first 2 shown]
.LBB64_53:
	s_wait_xcnt 0x0
	s_or_b32 exec_lo, exec_lo, s19
.LBB64_54:
	s_delay_alu instid0(SALU_CYCLE_1)
	s_or_b32 exec_lo, exec_lo, s18
.LBB64_55:
	s_delay_alu instid0(SALU_CYCLE_1)
	s_or_b32 exec_lo, exec_lo, s16
.LBB64_56:
	s_delay_alu instid0(SALU_CYCLE_1)
	s_or_b32 exec_lo, exec_lo, s3
	v_dual_mov_b32 v25, 0 :: v_dual_mov_b32 v31, 0
	s_and_saveexec_b32 s1, vcc_lo
	s_cbranch_execz .LBB64_58
; %bb.57:
	s_wait_loadcnt 0x0
	v_mul_f16_e32 v2, v13, v1
	v_mul_f16_e32 v3, v15, v1
	v_cmp_lt_f16_e64 s0, 0, v15
	s_delay_alu instid0(VALU_DEP_1) | instskip(NEXT) | instid1(VALU_DEP_1)
	v_dual_cndmask_b32 v1, v2, v1, s0 :: v_dual_lshlrev_b32 v2, 16, v3
	v_and_b32_e32 v1, 0xffff, v1
	s_delay_alu instid0(VALU_DEP_2) | instskip(NEXT) | instid1(VALU_DEP_1)
	v_cndmask_b32_e64 v2, v2, 0, s0
	v_or_b32_e32 v31, v2, v1
.LBB64_58:
	s_or_b32 exec_lo, exec_lo, s1
	v_or_b32_e32 v32, 0x100, v0
	s_delay_alu instid0(VALU_DEP_1)
	v_cmp_gt_i32_e64 s3, s7, v32
	s_and_saveexec_b32 s1, s3
	s_cbranch_execz .LBB64_60
; %bb.59:
	s_wait_loadcnt 0x0
	v_mul_f16_e32 v1, v27, v26
	v_mul_f16_e32 v2, v28, v26
	v_cmp_lt_f16_e64 s0, 0, v28
	s_delay_alu instid0(VALU_DEP_2) | instskip(NEXT) | instid1(VALU_DEP_2)
	v_lshlrev_b32_e32 v2, 16, v2
	v_cndmask_b32_e64 v1, v1, v26, s0
	s_delay_alu instid0(VALU_DEP_2) | instskip(NEXT) | instid1(VALU_DEP_2)
	v_cndmask_b32_e64 v2, v2, 0, s0
	v_and_b32_e32 v1, 0xffff, v1
	s_delay_alu instid0(VALU_DEP_1)
	v_or_b32_e32 v25, v2, v1
.LBB64_60:
	s_or_b32 exec_lo, exec_lo, s1
	s_wait_loadcnt 0x0
	v_or_b32_e32 v26, 0x200, v0
	v_dual_mov_b32 v11, 0 :: v_dual_mov_b32 v22, 0
	s_delay_alu instid0(VALU_DEP_2)
	v_cmp_gt_i32_e64 s2, s7, v26
	s_and_saveexec_b32 s1, s2
	s_cbranch_execz .LBB64_62
; %bb.61:
	v_mul_f16_e32 v1, v29, v24
	v_mul_f16_e32 v2, v30, v24
	v_cmp_lt_f16_e64 s0, 0, v30
	s_delay_alu instid0(VALU_DEP_1) | instskip(NEXT) | instid1(VALU_DEP_1)
	v_dual_lshlrev_b32 v2, 16, v2 :: v_dual_cndmask_b32 v1, v1, v24, s0
	v_cndmask_b32_e64 v2, v2, 0, s0
	s_delay_alu instid0(VALU_DEP_2) | instskip(NEXT) | instid1(VALU_DEP_1)
	v_and_b32_e32 v1, 0xffff, v1
	v_or_b32_e32 v22, v2, v1
.LBB64_62:
	s_or_b32 exec_lo, exec_lo, s1
	v_or_b32_e32 v23, 0x300, v0
	s_delay_alu instid0(VALU_DEP_1)
	v_cmp_gt_i32_e64 s0, s7, v23
	s_and_saveexec_b32 s4, s0
	s_cbranch_execz .LBB64_64
; %bb.63:
	v_mul_f16_e32 v0, v33, v8
	v_mul_f16_e32 v1, v34, v8
	v_cmp_lt_f16_e64 s1, 0, v34
	s_delay_alu instid0(VALU_DEP_1) | instskip(NEXT) | instid1(VALU_DEP_1)
	v_dual_lshlrev_b32 v1, 16, v1 :: v_dual_cndmask_b32 v0, v0, v8, s1
	v_cndmask_b32_e64 v1, v1, 0, s1
	s_delay_alu instid0(VALU_DEP_2) | instskip(NEXT) | instid1(VALU_DEP_1)
	v_and_b32_e32 v0, 0xffff, v0
	v_or_b32_e32 v11, v1, v0
.LBB64_64:
	s_or_b32 exec_lo, exec_lo, s4
	s_and_saveexec_b32 s1, vcc_lo
	s_delay_alu instid0(SALU_CYCLE_1)
	s_xor_b32 s1, exec_lo, s1
	s_cbranch_execz .LBB64_133
; %bb.65:
	s_clause 0x2
	scratch_load_b128 v[4:7], off, off offset:432
	scratch_load_b96 v[8:10], off, off offset:448
	scratch_load_b128 v[0:3], off, off offset:628
	v_mov_b32_e32 v17, 0
                                        ; implicit-def: $vgpr19
	s_wait_loadcnt 0x2
	v_sub_co_u32 v24, s4, v4, 1
	v_cmp_lt_u32_e32 vcc_lo, 1, v4
	s_wait_loadcnt 0x1
	v_mov_b32_e32 v12, v9
	s_xor_b32 s5, s4, -1
	v_cmp_lt_u32_e64 s1, 1, v24
	v_min_u32_e32 v4, 15, v24
	s_wait_xcnt 0x0
	s_and_saveexec_b32 s4, s1
	s_delay_alu instid0(SALU_CYCLE_1)
	s_xor_b32 s7, exec_lo, s4
	s_cbranch_execz .LBB64_77
; %bb.66:
	v_dual_mov_b32 v19, 0 :: v_dual_mov_b32 v18, 0
	s_and_saveexec_b32 s12, s5
	s_cbranch_execz .LBB64_76
; %bb.67:
	v_mov_b64_e32 v[18:19], 0
	v_dual_add_nc_u32 v13, 1, v4 :: v_dual_mov_b32 v9, 0
	s_mov_b32 s13, exec_lo
	v_cmpx_ne_u32_e32 2, v24
	s_cbranch_execz .LBB64_71
; %bb.68:
	s_delay_alu instid0(VALU_DEP_2)
	v_dual_mov_b32 v18, 0 :: v_dual_bitop2_b32 v9, 28, v13 bitop3:0x40
	v_mov_b32_e32 v19, 0
	s_mov_b32 s14, 0
	s_mov_b32 s15, 0
	;; [unrolled: 1-line block ×4, first 2 shown]
.LBB64_69:                              ; =>This Inner Loop Header: Depth=1
	s_clause 0x4
	scratch_load_b128 v[34:37], off, s16 offset:436
	scratch_load_b128 v[38:41], off, s16 offset:452
	;; [unrolled: 1-line block ×5, first 2 shown]
	s_add_co_i32 s17, s17, 4
	s_mov_b32 s4, s16
                                        ; kill: killed $sgpr4
	v_cmp_eq_u32_e64 s4, s17, v9
	s_mov_b32 s18, s15
	s_wait_xcnt 0x2
	s_add_co_i32 s16, s16, 48
	s_wait_xcnt 0x0
	s_add_co_i32 s15, s15, 32
                                        ; kill: killed $sgpr18
	s_or_b32 s14, s4, s14
	s_wait_loadcnt 0x4
	v_mul_hi_u32 v15, v35, v14
	s_delay_alu instid0(VALU_DEP_1) | instskip(NEXT) | instid1(VALU_DEP_1)
	v_add_nc_u32_e32 v15, v14, v15
	v_lshrrev_b32_e32 v15, v36, v15
	s_delay_alu instid0(VALU_DEP_1) | instskip(NEXT) | instid1(VALU_DEP_1)
	v_mul_lo_u32 v21, v15, v34
	v_sub_nc_u32_e32 v14, v14, v21
	s_wait_loadcnt 0x3
	v_mul_hi_u32 v16, v38, v15
	s_wait_loadcnt 0x1
	s_delay_alu instid0(VALU_DEP_2) | instskip(SKIP_1) | instid1(VALU_DEP_3)
	v_mad_u32 v19, v14, v47, v19
	v_mad_u32 v14, v14, v46, v18
	v_add_nc_u32_e32 v16, v15, v16
	s_delay_alu instid0(VALU_DEP_1) | instskip(NEXT) | instid1(VALU_DEP_1)
	v_lshrrev_b32_e32 v16, v39, v16
	v_mul_hi_u32 v20, v41, v16
	v_mul_lo_u32 v21, v16, v37
	s_delay_alu instid0(VALU_DEP_1) | instskip(NEXT) | instid1(VALU_DEP_1)
	v_dual_add_nc_u32 v20, v16, v20 :: v_dual_sub_nc_u32 v15, v15, v21
	v_lshrrev_b32_e32 v20, v42, v20
	s_delay_alu instid0(VALU_DEP_2) | instskip(SKIP_1) | instid1(VALU_DEP_3)
	v_mad_u32 v19, v15, v49, v19
	v_mad_u32 v15, v15, v48, v14
	v_mul_lo_u32 v18, v20, v40
	s_delay_alu instid0(VALU_DEP_1) | instskip(SKIP_2) | instid1(VALU_DEP_2)
	v_sub_nc_u32_e32 v16, v16, v18
	v_mul_hi_u32 v27, v44, v20
	s_wait_loadcnt 0x0
	v_mad_u32 v19, v16, v51, v19
	v_mad_u32 v15, v16, v50, v15
	s_delay_alu instid0(VALU_DEP_3) | instskip(NEXT) | instid1(VALU_DEP_1)
	v_add_nc_u32_e32 v21, v20, v27
	v_lshrrev_b32_e32 v14, v45, v21
	s_delay_alu instid0(VALU_DEP_1) | instskip(NEXT) | instid1(VALU_DEP_1)
	v_mul_lo_u32 v18, v14, v43
	v_sub_nc_u32_e32 v16, v20, v18
	s_delay_alu instid0(VALU_DEP_1)
	v_mad_u32 v19, v16, v53, v19
	v_mad_u32 v18, v16, v52, v15
	s_and_not1_b32 exec_lo, exec_lo, s14
	s_cbranch_execnz .LBB64_69
; %bb.70:
	s_or_b32 exec_lo, exec_lo, s14
.LBB64_71:
	s_delay_alu instid0(SALU_CYCLE_1) | instskip(SKIP_3) | instid1(VALU_DEP_1)
	s_or_b32 exec_lo, exec_lo, s13
	v_and_b32_e32 v13, 3, v13
	s_mov_b32 s14, 0
	s_mov_b32 s13, exec_lo
	v_cmpx_ne_u32_e32 0, v13
	s_cbranch_execz .LBB64_75
; %bb.72:
	v_lshlrev_b32_e32 v15, 3, v9
	s_mov_b32 s4, 0
	v_mad_u32_u24 v9, v9, 12, 0
	s_delay_alu instid0(VALU_DEP_2)
	v_add3_u32 v15, v15, s4, 0x274
.LBB64_73:                              ; =>This Inner Loop Header: Depth=1
	scratch_load_b96 v[28:30], v9, off offset:436
	scratch_load_b64 v[20:21], v15, off
	s_wait_xcnt 0x0
	v_dual_add_nc_u32 v15, 8, v15 :: v_dual_add_nc_u32 v9, 12, v9
	v_add_nc_u32_e32 v13, -1, v13
	s_delay_alu instid0(VALU_DEP_1) | instskip(SKIP_3) | instid1(VALU_DEP_1)
	v_cmp_eq_u32_e64 s4, 0, v13
	s_or_b32 s14, s4, s14
	s_wait_loadcnt 0x1
	v_mul_hi_u32 v16, v29, v14
	v_add_nc_u32_e32 v16, v14, v16
	s_delay_alu instid0(VALU_DEP_1) | instskip(NEXT) | instid1(VALU_DEP_1)
	v_lshrrev_b32_e32 v16, v30, v16
	v_mul_lo_u32 v27, v16, v28
	s_delay_alu instid0(VALU_DEP_1) | instskip(SKIP_1) | instid1(VALU_DEP_1)
	v_sub_nc_u32_e32 v14, v14, v27
	s_wait_loadcnt 0x0
	v_mad_u32 v19, v14, v21, v19
	v_mad_u32 v18, v14, v20, v18
	v_mov_b32_e32 v14, v16
	s_and_not1_b32 exec_lo, exec_lo, s14
	s_cbranch_execnz .LBB64_73
; %bb.74:
	s_or_b32 exec_lo, exec_lo, s14
.LBB64_75:
	s_delay_alu instid0(SALU_CYCLE_1)
	s_or_b32 exec_lo, exec_lo, s13
.LBB64_76:
	s_delay_alu instid0(SALU_CYCLE_1)
	s_or_b32 exec_lo, exec_lo, s12
                                        ; implicit-def: $vgpr14
.LBB64_77:
	s_or_saveexec_b32 s4, s7
	v_dual_mov_b32 v16, v6 :: v_dual_mov_b32 v13, v17
	s_xor_b32 exec_lo, exec_lo, s4
	s_cbranch_execz .LBB64_81
; %bb.78:
	v_mov_b32_e32 v15, 0
	s_delay_alu instid0(VALU_DEP_1) | instskip(NEXT) | instid1(VALU_DEP_1)
	v_mul_u64_e32 v[18:19], v[16:17], v[14:15]
	v_add_nc_u32_e32 v6, v14, v19
	s_delay_alu instid0(VALU_DEP_1) | instskip(NEXT) | instid1(VALU_DEP_1)
	v_lshrrev_b32_e32 v20, v7, v6
	v_mul_lo_u32 v6, v20, v5
	s_delay_alu instid0(VALU_DEP_1) | instskip(SKIP_1) | instid1(VALU_DEP_1)
	v_sub_nc_u32_e32 v6, v14, v6
	s_wait_loadcnt 0x0
	v_mul_lo_u32 v19, v6, v1
	v_mul_lo_u32 v18, v6, v0
	s_and_saveexec_b32 s7, vcc_lo
	s_cbranch_execz .LBB64_80
; %bb.79:
	v_mov_b32_e32 v21, v15
	s_delay_alu instid0(VALU_DEP_1) | instskip(NEXT) | instid1(VALU_DEP_1)
	v_mul_u64_e32 v[14:15], v[20:21], v[12:13]
	v_add_nc_u32_e32 v6, v20, v15
	s_delay_alu instid0(VALU_DEP_1) | instskip(NEXT) | instid1(VALU_DEP_1)
	v_lshrrev_b32_e32 v6, v10, v6
	v_mul_lo_u32 v6, v6, v8
	s_delay_alu instid0(VALU_DEP_1) | instskip(NEXT) | instid1(VALU_DEP_1)
	v_sub_nc_u32_e32 v6, v20, v6
	v_mad_u32 v18, v6, v2, v18
	v_mad_u32 v19, v6, v3, v19
.LBB64_80:
	s_or_b32 exec_lo, exec_lo, s7
.LBB64_81:
	s_delay_alu instid0(SALU_CYCLE_1)
	s_or_b32 exec_lo, exec_lo, s4
	global_store_b16 v18, v31, s[8:9] scale_offset
	global_store_d16_hi_b16 v19, v31, s[10:11] scale_offset
	s_wait_xcnt 0x0
	s_and_saveexec_b32 s4, s3
	s_cbranch_execz .LBB64_133
; %bb.82:
	v_add_nc_u32_e32 v18, s6, v32
                                        ; implicit-def: $vgpr15
	s_and_saveexec_b32 s3, s1
	s_delay_alu instid0(SALU_CYCLE_1)
	s_xor_b32 s4, exec_lo, s3
	s_cbranch_execz .LBB64_94
; %bb.83:
	v_dual_mov_b32 v15, 0 :: v_dual_mov_b32 v14, 0
	s_and_saveexec_b32 s7, s5
	s_cbranch_execz .LBB64_93
; %bb.84:
	v_mov_b64_e32 v[14:15], 0
	v_dual_mov_b32 v6, 0 :: v_dual_add_nc_u32 v9, 1, v4
	s_mov_b32 s12, exec_lo
	v_cmpx_ne_u32_e32 2, v24
	s_cbranch_execz .LBB64_88
; %bb.85:
	s_delay_alu instid0(VALU_DEP_2)
	v_dual_mov_b32 v14, 0 :: v_dual_bitop2_b32 v6, 28, v9 bitop3:0x40
	v_mov_b32_e32 v15, 0
	s_mov_b32 s13, 0
	s_mov_b32 s14, 0
	;; [unrolled: 1-line block ×4, first 2 shown]
.LBB64_86:                              ; =>This Inner Loop Header: Depth=1
	s_clause 0x4
	scratch_load_b128 v[28:31], off, s15 offset:436
	scratch_load_b128 v[32:35], off, s15 offset:452
	;; [unrolled: 1-line block ×5, first 2 shown]
	s_add_co_i32 s16, s16, 4
	s_mov_b32 s3, s15
                                        ; kill: killed $sgpr3
	v_cmp_eq_u32_e64 s3, s16, v6
	s_mov_b32 s17, s14
	s_wait_xcnt 0x2
	s_add_co_i32 s15, s15, 48
	s_wait_xcnt 0x0
	s_add_co_i32 s14, s14, 32
                                        ; kill: killed $sgpr17
	s_or_b32 s13, s3, s13
	s_wait_loadcnt 0x4
	v_mul_hi_u32 v19, v29, v18
	s_delay_alu instid0(VALU_DEP_1) | instskip(NEXT) | instid1(VALU_DEP_1)
	v_add_nc_u32_e32 v19, v18, v19
	v_lshrrev_b32_e32 v19, v30, v19
	s_wait_loadcnt 0x3
	s_delay_alu instid0(VALU_DEP_1) | instskip(NEXT) | instid1(VALU_DEP_1)
	v_mul_hi_u32 v20, v32, v19
	v_add_nc_u32_e32 v20, v19, v20
	s_delay_alu instid0(VALU_DEP_1) | instskip(NEXT) | instid1(VALU_DEP_1)
	v_lshrrev_b32_e32 v20, v33, v20
	v_mul_hi_u32 v21, v35, v20
	s_delay_alu instid0(VALU_DEP_1) | instskip(SKIP_1) | instid1(VALU_DEP_1)
	v_add_nc_u32_e32 v21, v20, v21
	v_mul_lo_u32 v27, v19, v28
	v_sub_nc_u32_e32 v18, v18, v27
	v_mul_lo_u32 v27, v20, v31
	s_wait_loadcnt 0x2
	v_lshrrev_b32_e32 v21, v36, v21
	s_wait_loadcnt 0x1
	v_mad_u32 v15, v18, v41, v15
	v_mad_u32 v14, v18, v40, v14
	s_delay_alu instid0(VALU_DEP_4) | instskip(SKIP_2) | instid1(VALU_DEP_3)
	v_sub_nc_u32_e32 v18, v19, v27
	v_mul_hi_u32 v28, v38, v21
	v_mul_lo_u32 v19, v21, v34
	v_mad_u32 v15, v18, v43, v15
	v_mad_u32 v14, v18, v42, v14
	s_delay_alu instid0(VALU_DEP_3) | instskip(NEXT) | instid1(VALU_DEP_1)
	v_dual_add_nc_u32 v27, v21, v28 :: v_dual_sub_nc_u32 v19, v20, v19
	v_lshrrev_b32_e32 v18, v39, v27
	s_wait_loadcnt 0x0
	s_delay_alu instid0(VALU_DEP_2) | instskip(NEXT) | instid1(VALU_DEP_4)
	v_mad_u32 v15, v19, v45, v15
	v_mad_u32 v14, v19, v44, v14
	s_delay_alu instid0(VALU_DEP_3) | instskip(NEXT) | instid1(VALU_DEP_1)
	v_mul_lo_u32 v20, v18, v37
	v_sub_nc_u32_e32 v19, v21, v20
	s_delay_alu instid0(VALU_DEP_1) | instskip(NEXT) | instid1(VALU_DEP_4)
	v_mad_u32 v15, v19, v47, v15
	v_mad_u32 v14, v19, v46, v14
	s_and_not1_b32 exec_lo, exec_lo, s13
	s_cbranch_execnz .LBB64_86
; %bb.87:
	s_or_b32 exec_lo, exec_lo, s13
.LBB64_88:
	s_delay_alu instid0(SALU_CYCLE_1) | instskip(SKIP_3) | instid1(VALU_DEP_1)
	s_or_b32 exec_lo, exec_lo, s12
	v_and_b32_e32 v9, 3, v9
	s_mov_b32 s13, 0
	s_mov_b32 s12, exec_lo
	v_cmpx_ne_u32_e32 0, v9
	s_cbranch_execz .LBB64_92
; %bb.89:
	v_lshlrev_b32_e32 v19, 3, v6
	s_mov_b32 s3, 0
	v_mad_u32_u24 v6, v6, 12, 0
	s_delay_alu instid0(VALU_DEP_2)
	v_add3_u32 v19, v19, s3, 0x274
.LBB64_90:                              ; =>This Inner Loop Header: Depth=1
	scratch_load_b96 v[28:30], v6, off offset:436
	scratch_load_b64 v[20:21], v19, off
	s_wait_xcnt 0x0
	v_dual_add_nc_u32 v19, 8, v19 :: v_dual_add_nc_u32 v6, 12, v6
	v_add_nc_u32_e32 v9, -1, v9
	s_delay_alu instid0(VALU_DEP_1) | instskip(SKIP_3) | instid1(VALU_DEP_1)
	v_cmp_eq_u32_e64 s3, 0, v9
	s_or_b32 s13, s3, s13
	s_wait_loadcnt 0x1
	v_mul_hi_u32 v27, v29, v18
	v_add_nc_u32_e32 v27, v18, v27
	s_delay_alu instid0(VALU_DEP_1) | instskip(NEXT) | instid1(VALU_DEP_1)
	v_lshrrev_b32_e32 v27, v30, v27
	v_mul_lo_u32 v28, v27, v28
	s_delay_alu instid0(VALU_DEP_1) | instskip(SKIP_1) | instid1(VALU_DEP_1)
	v_sub_nc_u32_e32 v18, v18, v28
	s_wait_loadcnt 0x0
	v_mad_u32 v15, v18, v21, v15
	v_mad_u32 v14, v18, v20, v14
	v_mov_b32_e32 v18, v27
	s_and_not1_b32 exec_lo, exec_lo, s13
	s_cbranch_execnz .LBB64_90
; %bb.91:
	s_or_b32 exec_lo, exec_lo, s13
.LBB64_92:
	s_delay_alu instid0(SALU_CYCLE_1)
	s_or_b32 exec_lo, exec_lo, s12
.LBB64_93:
	s_delay_alu instid0(SALU_CYCLE_1)
	s_or_b32 exec_lo, exec_lo, s7
                                        ; implicit-def: $vgpr18
.LBB64_94:
	s_and_not1_saveexec_b32 s3, s4
	s_cbranch_execz .LBB64_98
; %bb.95:
	v_mov_b32_e32 v19, 0
	s_delay_alu instid0(VALU_DEP_1) | instskip(NEXT) | instid1(VALU_DEP_1)
	v_mul_u64_e32 v[14:15], v[16:17], v[18:19]
	v_add_nc_u32_e32 v6, v18, v15
	s_delay_alu instid0(VALU_DEP_1) | instskip(NEXT) | instid1(VALU_DEP_1)
	v_lshrrev_b32_e32 v20, v7, v6
	v_mul_lo_u32 v6, v20, v5
	s_delay_alu instid0(VALU_DEP_1) | instskip(SKIP_1) | instid1(VALU_DEP_1)
	v_sub_nc_u32_e32 v6, v18, v6
	s_wait_loadcnt 0x0
	v_mul_lo_u32 v15, v6, v1
	v_mul_lo_u32 v14, v6, v0
	s_and_saveexec_b32 s4, vcc_lo
	s_cbranch_execz .LBB64_97
; %bb.96:
	v_mov_b32_e32 v21, v19
	s_delay_alu instid0(VALU_DEP_1) | instskip(NEXT) | instid1(VALU_DEP_1)
	v_mul_u64_e32 v[18:19], v[20:21], v[12:13]
	v_add_nc_u32_e32 v6, v20, v19
	s_delay_alu instid0(VALU_DEP_1) | instskip(NEXT) | instid1(VALU_DEP_1)
	v_lshrrev_b32_e32 v6, v10, v6
	v_mul_lo_u32 v6, v6, v8
	s_delay_alu instid0(VALU_DEP_1) | instskip(NEXT) | instid1(VALU_DEP_1)
	v_sub_nc_u32_e32 v6, v20, v6
	v_mad_u32 v14, v6, v2, v14
	v_mad_u32 v15, v6, v3, v15
.LBB64_97:
	s_or_b32 exec_lo, exec_lo, s4
.LBB64_98:
	s_delay_alu instid0(SALU_CYCLE_1)
	s_or_b32 exec_lo, exec_lo, s3
	global_store_b16 v14, v25, s[8:9] scale_offset
	global_store_d16_hi_b16 v15, v25, s[10:11] scale_offset
	s_wait_xcnt 0x0
	s_and_b32 exec_lo, exec_lo, s2
	s_cbranch_execz .LBB64_133
; %bb.99:
	v_add_nc_u32_e32 v18, s6, v26
                                        ; implicit-def: $vgpr15
	s_and_saveexec_b32 s2, s1
	s_delay_alu instid0(SALU_CYCLE_1)
	s_xor_b32 s3, exec_lo, s2
	s_cbranch_execz .LBB64_111
; %bb.100:
	v_dual_mov_b32 v15, 0 :: v_dual_mov_b32 v14, 0
	s_and_saveexec_b32 s4, s5
	s_cbranch_execz .LBB64_110
; %bb.101:
	v_mov_b64_e32 v[14:15], 0
	v_dual_mov_b32 v6, 0 :: v_dual_add_nc_u32 v9, 1, v4
	s_mov_b32 s7, exec_lo
	v_cmpx_ne_u32_e32 2, v24
	s_cbranch_execz .LBB64_105
; %bb.102:
	s_delay_alu instid0(VALU_DEP_2)
	v_dual_mov_b32 v14, 0 :: v_dual_bitop2_b32 v6, 28, v9 bitop3:0x40
	v_mov_b32_e32 v15, 0
	s_mov_b32 s12, 0
	s_mov_b32 s13, 0
	;; [unrolled: 1-line block ×4, first 2 shown]
.LBB64_103:                             ; =>This Inner Loop Header: Depth=1
	s_clause 0x4
	scratch_load_b128 v[26:29], off, s14 offset:436
	scratch_load_b128 v[30:33], off, s14 offset:452
	scratch_load_b128 v[34:37], off, s14 offset:468
	scratch_load_b128 v[38:41], off, s13 offset:628
	scratch_load_b128 v[42:45], off, s13 offset:644
	s_add_co_i32 s15, s15, 4
	s_mov_b32 s2, s14
                                        ; kill: killed $sgpr2
	v_cmp_eq_u32_e64 s2, s15, v6
	s_mov_b32 s16, s13
	s_wait_xcnt 0x2
	s_add_co_i32 s14, s14, 48
	s_wait_xcnt 0x0
	s_add_co_i32 s13, s13, 32
                                        ; kill: killed $sgpr16
	s_or_b32 s12, s2, s12
	s_wait_loadcnt 0x4
	v_mul_hi_u32 v19, v27, v18
	s_delay_alu instid0(VALU_DEP_1) | instskip(NEXT) | instid1(VALU_DEP_1)
	v_add_nc_u32_e32 v19, v18, v19
	v_lshrrev_b32_e32 v19, v28, v19
	s_delay_alu instid0(VALU_DEP_1) | instskip(NEXT) | instid1(VALU_DEP_1)
	v_mul_lo_u32 v25, v19, v26
	v_sub_nc_u32_e32 v18, v18, v25
	s_wait_loadcnt 0x3
	v_mul_hi_u32 v20, v30, v19
	s_wait_loadcnt 0x1
	s_delay_alu instid0(VALU_DEP_2) | instskip(SKIP_1) | instid1(VALU_DEP_3)
	v_mad_u32 v15, v18, v39, v15
	v_mad_u32 v14, v18, v38, v14
	v_add_nc_u32_e32 v20, v19, v20
	s_delay_alu instid0(VALU_DEP_1) | instskip(NEXT) | instid1(VALU_DEP_1)
	v_lshrrev_b32_e32 v20, v31, v20
	v_mul_hi_u32 v21, v33, v20
	v_mul_lo_u32 v25, v20, v29
	s_delay_alu instid0(VALU_DEP_2) | instskip(NEXT) | instid1(VALU_DEP_1)
	v_add_nc_u32_e32 v21, v20, v21
	v_lshrrev_b32_e32 v21, v34, v21
	s_delay_alu instid0(VALU_DEP_1) | instskip(NEXT) | instid1(VALU_DEP_4)
	v_mul_hi_u32 v26, v36, v21
	v_sub_nc_u32_e32 v18, v19, v25
	v_mul_lo_u32 v19, v21, v32
	s_delay_alu instid0(VALU_DEP_3) | instskip(NEXT) | instid1(VALU_DEP_3)
	v_add_nc_u32_e32 v25, v21, v26
	v_mad_u32 v15, v18, v41, v15
	v_mad_u32 v14, v18, v40, v14
	s_delay_alu instid0(VALU_DEP_3) | instskip(NEXT) | instid1(VALU_DEP_1)
	v_dual_sub_nc_u32 v19, v20, v19 :: v_dual_lshrrev_b32 v18, v37, v25
	v_mul_lo_u32 v20, v18, v35
	s_wait_loadcnt 0x0
	s_delay_alu instid0(VALU_DEP_2) | instskip(NEXT) | instid1(VALU_DEP_4)
	v_mad_u32 v15, v19, v43, v15
	v_mad_u32 v14, v19, v42, v14
	s_delay_alu instid0(VALU_DEP_3) | instskip(NEXT) | instid1(VALU_DEP_1)
	v_sub_nc_u32_e32 v19, v21, v20
	v_mad_u32 v15, v19, v45, v15
	s_delay_alu instid0(VALU_DEP_3)
	v_mad_u32 v14, v19, v44, v14
	s_and_not1_b32 exec_lo, exec_lo, s12
	s_cbranch_execnz .LBB64_103
; %bb.104:
	s_or_b32 exec_lo, exec_lo, s12
.LBB64_105:
	s_delay_alu instid0(SALU_CYCLE_1) | instskip(SKIP_3) | instid1(VALU_DEP_1)
	s_or_b32 exec_lo, exec_lo, s7
	v_and_b32_e32 v9, 3, v9
	s_mov_b32 s12, 0
	s_mov_b32 s7, exec_lo
	v_cmpx_ne_u32_e32 0, v9
	s_cbranch_execz .LBB64_109
; %bb.106:
	v_lshlrev_b32_e32 v19, 3, v6
	s_mov_b32 s2, 0
	v_mad_u32_u24 v6, v6, 12, 0
	s_delay_alu instid0(VALU_DEP_2)
	v_add3_u32 v19, v19, s2, 0x274
.LBB64_107:                             ; =>This Inner Loop Header: Depth=1
	scratch_load_b96 v[26:28], v6, off offset:436
	scratch_load_b64 v[20:21], v19, off
	s_wait_xcnt 0x1
	v_dual_add_nc_u32 v9, -1, v9 :: v_dual_add_nc_u32 v6, 12, v6
	s_wait_xcnt 0x0
	v_add_nc_u32_e32 v19, 8, v19
	s_delay_alu instid0(VALU_DEP_2) | instskip(SKIP_3) | instid1(VALU_DEP_1)
	v_cmp_eq_u32_e64 s2, 0, v9
	s_or_b32 s12, s2, s12
	s_wait_loadcnt 0x1
	v_mul_hi_u32 v25, v27, v18
	v_add_nc_u32_e32 v25, v18, v25
	s_delay_alu instid0(VALU_DEP_1) | instskip(NEXT) | instid1(VALU_DEP_1)
	v_lshrrev_b32_e32 v25, v28, v25
	v_mul_lo_u32 v26, v25, v26
	s_delay_alu instid0(VALU_DEP_1) | instskip(SKIP_1) | instid1(VALU_DEP_1)
	v_sub_nc_u32_e32 v18, v18, v26
	s_wait_loadcnt 0x0
	v_mad_u32 v15, v18, v21, v15
	v_mad_u32 v14, v18, v20, v14
	v_mov_b32_e32 v18, v25
	s_and_not1_b32 exec_lo, exec_lo, s12
	s_cbranch_execnz .LBB64_107
; %bb.108:
	s_or_b32 exec_lo, exec_lo, s12
.LBB64_109:
	s_delay_alu instid0(SALU_CYCLE_1)
	s_or_b32 exec_lo, exec_lo, s7
.LBB64_110:
	s_delay_alu instid0(SALU_CYCLE_1)
	s_or_b32 exec_lo, exec_lo, s4
                                        ; implicit-def: $vgpr18
.LBB64_111:
	s_and_not1_saveexec_b32 s2, s3
	s_cbranch_execz .LBB64_115
; %bb.112:
	v_mov_b32_e32 v19, 0
	s_delay_alu instid0(VALU_DEP_1) | instskip(NEXT) | instid1(VALU_DEP_1)
	v_mul_u64_e32 v[14:15], v[16:17], v[18:19]
	v_add_nc_u32_e32 v6, v18, v15
	s_delay_alu instid0(VALU_DEP_1) | instskip(NEXT) | instid1(VALU_DEP_1)
	v_lshrrev_b32_e32 v20, v7, v6
	v_mul_lo_u32 v6, v20, v5
	s_delay_alu instid0(VALU_DEP_1) | instskip(SKIP_1) | instid1(VALU_DEP_1)
	v_sub_nc_u32_e32 v6, v18, v6
	s_wait_loadcnt 0x0
	v_mul_lo_u32 v15, v6, v1
	v_mul_lo_u32 v14, v6, v0
	s_and_saveexec_b32 s3, vcc_lo
	s_cbranch_execz .LBB64_114
; %bb.113:
	v_mov_b32_e32 v21, v19
	s_delay_alu instid0(VALU_DEP_1) | instskip(NEXT) | instid1(VALU_DEP_1)
	v_mul_u64_e32 v[18:19], v[20:21], v[12:13]
	v_add_nc_u32_e32 v6, v20, v19
	s_delay_alu instid0(VALU_DEP_1) | instskip(NEXT) | instid1(VALU_DEP_1)
	v_lshrrev_b32_e32 v6, v10, v6
	v_mul_lo_u32 v6, v6, v8
	s_delay_alu instid0(VALU_DEP_1) | instskip(NEXT) | instid1(VALU_DEP_1)
	v_sub_nc_u32_e32 v6, v20, v6
	v_mad_u32 v14, v6, v2, v14
	v_mad_u32 v15, v6, v3, v15
.LBB64_114:
	s_or_b32 exec_lo, exec_lo, s3
.LBB64_115:
	s_delay_alu instid0(SALU_CYCLE_1)
	s_or_b32 exec_lo, exec_lo, s2
	global_store_b16 v14, v22, s[8:9] scale_offset
	global_store_d16_hi_b16 v15, v22, s[10:11] scale_offset
	s_wait_xcnt 0x0
	s_and_b32 exec_lo, exec_lo, s0
	s_cbranch_execz .LBB64_133
; %bb.116:
	v_add_nc_u32_e32 v18, s6, v23
                                        ; implicit-def: $vgpr15
	s_and_saveexec_b32 s0, s1
	s_delay_alu instid0(SALU_CYCLE_1)
	s_xor_b32 s1, exec_lo, s0
	s_cbranch_execz .LBB64_128
; %bb.117:
	v_dual_mov_b32 v15, 0 :: v_dual_mov_b32 v14, 0
	s_and_saveexec_b32 s2, s5
	s_cbranch_execz .LBB64_127
; %bb.118:
	v_mov_b64_e32 v[14:15], 0
	s_wait_loadcnt 0x0
	v_dual_mov_b32 v0, 0 :: v_dual_add_nc_u32 v1, 1, v4
	s_mov_b32 s3, exec_lo
	v_cmpx_ne_u32_e32 2, v24
	s_cbranch_execz .LBB64_122
; %bb.119:
	s_delay_alu instid0(VALU_DEP_2)
	v_dual_mov_b32 v14, 0 :: v_dual_bitop2_b32 v0, 28, v1 bitop3:0x40
	v_mov_b32_e32 v15, 0
	s_mov_b32 s4, 0
	s_mov_b32 s5, 0
	;; [unrolled: 1-line block ×4, first 2 shown]
.LBB64_120:                             ; =>This Inner Loop Header: Depth=1
	s_clause 0x4
	scratch_load_b128 v[2:5], off, s6 offset:436
	scratch_load_b128 v[6:9], off, s6 offset:452
	;; [unrolled: 1-line block ×5, first 2 shown]
	s_add_co_i32 s7, s7, 4
	s_mov_b32 s0, s6
                                        ; kill: killed $sgpr0
	v_cmp_eq_u32_e64 s0, s7, v0
	s_mov_b32 s12, s5
	s_wait_xcnt 0x2
	s_add_co_i32 s6, s6, 48
	s_wait_xcnt 0x0
	s_add_co_i32 s5, s5, 32
                                        ; kill: killed $sgpr12
	s_or_b32 s4, s0, s4
	s_wait_loadcnt 0x4
	v_mul_hi_u32 v3, v3, v18
	s_delay_alu instid0(VALU_DEP_1) | instskip(NEXT) | instid1(VALU_DEP_1)
	v_add_nc_u32_e32 v3, v18, v3
	v_lshrrev_b32_e32 v3, v4, v3
	s_wait_loadcnt 0x3
	s_delay_alu instid0(VALU_DEP_1) | instskip(NEXT) | instid1(VALU_DEP_1)
	v_mul_hi_u32 v4, v6, v3
	v_add_nc_u32_e32 v4, v3, v4
	s_delay_alu instid0(VALU_DEP_1) | instskip(NEXT) | instid1(VALU_DEP_1)
	v_lshrrev_b32_e32 v4, v7, v4
	v_mul_hi_u32 v6, v9, v4
	v_mul_lo_u32 v5, v4, v5
	s_delay_alu instid0(VALU_DEP_2) | instskip(SKIP_2) | instid1(VALU_DEP_2)
	v_add_nc_u32_e32 v6, v4, v6
	v_mul_lo_u32 v2, v3, v2
	s_wait_loadcnt 0x2
	v_dual_sub_nc_u32 v3, v3, v5 :: v_dual_lshrrev_b32 v6, v20, v6
	s_delay_alu instid0(VALU_DEP_1) | instskip(SKIP_1) | instid1(VALU_DEP_4)
	v_mul_hi_u32 v7, v22, v6
	v_mul_lo_u32 v5, v6, v8
	v_sub_nc_u32_e32 v2, v18, v2
	s_wait_loadcnt 0x1
	s_delay_alu instid0(VALU_DEP_1) | instskip(SKIP_2) | instid1(VALU_DEP_3)
	v_mad_u32 v9, v2, v25, v15
	v_mad_u32 v2, v2, v24, v14
	v_add_nc_u32_e32 v7, v6, v7
	v_mad_u32 v8, v3, v27, v9
	s_delay_alu instid0(VALU_DEP_3) | instskip(NEXT) | instid1(VALU_DEP_3)
	v_mad_u32 v2, v3, v26, v2
	v_dual_sub_nc_u32 v3, v4, v5 :: v_dual_lshrrev_b32 v18, v23, v7
	s_delay_alu instid0(VALU_DEP_1) | instskip(SKIP_1) | instid1(VALU_DEP_2)
	v_mul_lo_u32 v4, v18, v21
	s_wait_loadcnt 0x0
	v_mad_u32 v5, v3, v29, v8
	s_delay_alu instid0(VALU_DEP_4) | instskip(NEXT) | instid1(VALU_DEP_3)
	v_mad_u32 v2, v3, v28, v2
	v_sub_nc_u32_e32 v3, v6, v4
	s_delay_alu instid0(VALU_DEP_1) | instskip(NEXT) | instid1(VALU_DEP_3)
	v_mad_u32 v15, v3, v31, v5
	v_mad_u32 v14, v3, v30, v2
	s_and_not1_b32 exec_lo, exec_lo, s4
	s_cbranch_execnz .LBB64_120
; %bb.121:
	s_or_b32 exec_lo, exec_lo, s4
.LBB64_122:
	s_delay_alu instid0(SALU_CYCLE_1) | instskip(SKIP_3) | instid1(VALU_DEP_1)
	s_or_b32 exec_lo, exec_lo, s3
	v_and_b32_e32 v1, 3, v1
	s_mov_b32 s4, 0
	s_mov_b32 s3, exec_lo
	v_cmpx_ne_u32_e32 0, v1
	s_cbranch_execz .LBB64_126
; %bb.123:
	v_lshlrev_b32_e32 v2, 3, v0
	s_mov_b32 s0, 0
	v_mad_u32_u24 v0, v0, 12, 0
	s_delay_alu instid0(VALU_DEP_2)
	v_add3_u32 v2, v2, s0, 0x274
.LBB64_124:                             ; =>This Inner Loop Header: Depth=1
	scratch_load_b96 v[4:6], v0, off offset:436
	scratch_load_b64 v[8:9], v2, off
	s_wait_xcnt 0x0
	v_dual_add_nc_u32 v2, 8, v2 :: v_dual_add_nc_u32 v0, 12, v0
	v_add_nc_u32_e32 v1, -1, v1
	s_delay_alu instid0(VALU_DEP_1) | instskip(SKIP_3) | instid1(VALU_DEP_1)
	v_cmp_eq_u32_e64 s0, 0, v1
	s_or_b32 s4, s0, s4
	s_wait_loadcnt 0x1
	v_mul_hi_u32 v3, v5, v18
	v_add_nc_u32_e32 v3, v18, v3
	s_delay_alu instid0(VALU_DEP_1) | instskip(NEXT) | instid1(VALU_DEP_1)
	v_lshrrev_b32_e32 v3, v6, v3
	v_mul_lo_u32 v4, v3, v4
	s_delay_alu instid0(VALU_DEP_1) | instskip(SKIP_1) | instid1(VALU_DEP_1)
	v_dual_sub_nc_u32 v4, v18, v4 :: v_dual_mov_b32 v18, v3
	s_wait_loadcnt 0x0
	v_mad_u32 v15, v4, v9, v15
	v_mad_u32 v14, v4, v8, v14
	s_and_not1_b32 exec_lo, exec_lo, s4
	s_cbranch_execnz .LBB64_124
; %bb.125:
	s_or_b32 exec_lo, exec_lo, s4
.LBB64_126:
	s_delay_alu instid0(SALU_CYCLE_1)
	s_or_b32 exec_lo, exec_lo, s3
.LBB64_127:
	s_delay_alu instid0(SALU_CYCLE_1)
	s_or_b32 exec_lo, exec_lo, s2
                                        ; implicit-def: $vgpr18
                                        ; implicit-def: $vgpr16_vgpr17
                                        ; implicit-def: $vgpr4_vgpr5_vgpr6_vgpr7
                                        ; implicit-def: $vgpr0_vgpr1_vgpr2_vgpr3
                                        ; implicit-def: $vgpr12_vgpr13
                                        ; implicit-def: $vgpr8_vgpr9_vgpr10
.LBB64_128:
	s_and_not1_saveexec_b32 s0, s1
	s_cbranch_execz .LBB64_132
; %bb.129:
	v_mov_b32_e32 v19, 0
	s_delay_alu instid0(VALU_DEP_1) | instskip(NEXT) | instid1(VALU_DEP_1)
	v_mul_u64_e32 v[14:15], v[16:17], v[18:19]
	v_add_nc_u32_e32 v4, v18, v15
	s_delay_alu instid0(VALU_DEP_1) | instskip(NEXT) | instid1(VALU_DEP_1)
	v_lshrrev_b32_e32 v4, v7, v4
	v_mul_lo_u32 v5, v4, v5
	s_delay_alu instid0(VALU_DEP_1) | instskip(SKIP_1) | instid1(VALU_DEP_1)
	v_sub_nc_u32_e32 v5, v18, v5
	s_wait_loadcnt 0x0
	v_mul_lo_u32 v15, v5, v1
	v_mul_lo_u32 v14, v5, v0
	s_and_saveexec_b32 s1, vcc_lo
	s_cbranch_execz .LBB64_131
; %bb.130:
	v_mov_b32_e32 v5, v19
	s_delay_alu instid0(VALU_DEP_1) | instskip(NEXT) | instid1(VALU_DEP_1)
	v_mul_u64_e32 v[0:1], v[4:5], v[12:13]
	v_add_nc_u32_e32 v0, v4, v1
	s_delay_alu instid0(VALU_DEP_1) | instskip(NEXT) | instid1(VALU_DEP_1)
	v_lshrrev_b32_e32 v0, v10, v0
	v_mul_lo_u32 v0, v0, v8
	s_delay_alu instid0(VALU_DEP_1) | instskip(NEXT) | instid1(VALU_DEP_1)
	v_sub_nc_u32_e32 v0, v4, v0
	v_mad_u32 v14, v0, v2, v14
	v_mad_u32 v15, v0, v3, v15
.LBB64_131:
	s_or_b32 exec_lo, exec_lo, s1
.LBB64_132:
	s_delay_alu instid0(SALU_CYCLE_1)
	s_or_b32 exec_lo, exec_lo, s0
	global_store_b16 v14, v11, s[8:9] scale_offset
	global_store_d16_hi_b16 v15, v11, s[10:11] scale_offset
.LBB64_133:
	s_endpgm
	.section	.rodata,"a",@progbits
	.p2align	6, 0x0
	.amdhsa_kernel _ZN2at6native12_GLOBAL__N_145unrolled_elementwise_kernel_for_multi_outputsILi2EZZZNS0_21prelu_backward_kernelERNS_14TensorIteratorEENKUlvE_clEvENKUlvE2_clEvEUlN3c104HalfES8_S8_E_St5arrayIPcLm5EE16OffsetCalculatorILi3EjLb0EESD_ILi2EjLb0EEEEviT0_T1_T2_T3_
		.amdhsa_group_segment_fixed_size 0
		.amdhsa_private_segment_fixed_size 768
		.amdhsa_kernarg_size 760
		.amdhsa_user_sgpr_count 2
		.amdhsa_user_sgpr_dispatch_ptr 0
		.amdhsa_user_sgpr_queue_ptr 0
		.amdhsa_user_sgpr_kernarg_segment_ptr 1
		.amdhsa_user_sgpr_dispatch_id 0
		.amdhsa_user_sgpr_kernarg_preload_length 0
		.amdhsa_user_sgpr_kernarg_preload_offset 0
		.amdhsa_user_sgpr_private_segment_size 0
		.amdhsa_wavefront_size32 1
		.amdhsa_uses_dynamic_stack 0
		.amdhsa_enable_private_segment 1
		.amdhsa_system_sgpr_workgroup_id_x 1
		.amdhsa_system_sgpr_workgroup_id_y 0
		.amdhsa_system_sgpr_workgroup_id_z 0
		.amdhsa_system_sgpr_workgroup_info 0
		.amdhsa_system_vgpr_workitem_id 0
		.amdhsa_next_free_vgpr 54
		.amdhsa_next_free_sgpr 76
		.amdhsa_named_barrier_count 0
		.amdhsa_reserve_vcc 1
		.amdhsa_float_round_mode_32 0
		.amdhsa_float_round_mode_16_64 0
		.amdhsa_float_denorm_mode_32 3
		.amdhsa_float_denorm_mode_16_64 3
		.amdhsa_fp16_overflow 0
		.amdhsa_memory_ordered 1
		.amdhsa_forward_progress 1
		.amdhsa_inst_pref_size 64
		.amdhsa_round_robin_scheduling 0
		.amdhsa_exception_fp_ieee_invalid_op 0
		.amdhsa_exception_fp_denorm_src 0
		.amdhsa_exception_fp_ieee_div_zero 0
		.amdhsa_exception_fp_ieee_overflow 0
		.amdhsa_exception_fp_ieee_underflow 0
		.amdhsa_exception_fp_ieee_inexact 0
		.amdhsa_exception_int_div_zero 0
	.end_amdhsa_kernel
	.section	.text._ZN2at6native12_GLOBAL__N_145unrolled_elementwise_kernel_for_multi_outputsILi2EZZZNS0_21prelu_backward_kernelERNS_14TensorIteratorEENKUlvE_clEvENKUlvE2_clEvEUlN3c104HalfES8_S8_E_St5arrayIPcLm5EE16OffsetCalculatorILi3EjLb0EESD_ILi2EjLb0EEEEviT0_T1_T2_T3_,"axG",@progbits,_ZN2at6native12_GLOBAL__N_145unrolled_elementwise_kernel_for_multi_outputsILi2EZZZNS0_21prelu_backward_kernelERNS_14TensorIteratorEENKUlvE_clEvENKUlvE2_clEvEUlN3c104HalfES8_S8_E_St5arrayIPcLm5EE16OffsetCalculatorILi3EjLb0EESD_ILi2EjLb0EEEEviT0_T1_T2_T3_,comdat
.Lfunc_end64:
	.size	_ZN2at6native12_GLOBAL__N_145unrolled_elementwise_kernel_for_multi_outputsILi2EZZZNS0_21prelu_backward_kernelERNS_14TensorIteratorEENKUlvE_clEvENKUlvE2_clEvEUlN3c104HalfES8_S8_E_St5arrayIPcLm5EE16OffsetCalculatorILi3EjLb0EESD_ILi2EjLb0EEEEviT0_T1_T2_T3_, .Lfunc_end64-_ZN2at6native12_GLOBAL__N_145unrolled_elementwise_kernel_for_multi_outputsILi2EZZZNS0_21prelu_backward_kernelERNS_14TensorIteratorEENKUlvE_clEvENKUlvE2_clEvEUlN3c104HalfES8_S8_E_St5arrayIPcLm5EE16OffsetCalculatorILi3EjLb0EESD_ILi2EjLb0EEEEviT0_T1_T2_T3_
                                        ; -- End function
	.set _ZN2at6native12_GLOBAL__N_145unrolled_elementwise_kernel_for_multi_outputsILi2EZZZNS0_21prelu_backward_kernelERNS_14TensorIteratorEENKUlvE_clEvENKUlvE2_clEvEUlN3c104HalfES8_S8_E_St5arrayIPcLm5EE16OffsetCalculatorILi3EjLb0EESD_ILi2EjLb0EEEEviT0_T1_T2_T3_.num_vgpr, 54
	.set _ZN2at6native12_GLOBAL__N_145unrolled_elementwise_kernel_for_multi_outputsILi2EZZZNS0_21prelu_backward_kernelERNS_14TensorIteratorEENKUlvE_clEvENKUlvE2_clEvEUlN3c104HalfES8_S8_E_St5arrayIPcLm5EE16OffsetCalculatorILi3EjLb0EESD_ILi2EjLb0EEEEviT0_T1_T2_T3_.num_agpr, 0
	.set _ZN2at6native12_GLOBAL__N_145unrolled_elementwise_kernel_for_multi_outputsILi2EZZZNS0_21prelu_backward_kernelERNS_14TensorIteratorEENKUlvE_clEvENKUlvE2_clEvEUlN3c104HalfES8_S8_E_St5arrayIPcLm5EE16OffsetCalculatorILi3EjLb0EESD_ILi2EjLb0EEEEviT0_T1_T2_T3_.numbered_sgpr, 76
	.set _ZN2at6native12_GLOBAL__N_145unrolled_elementwise_kernel_for_multi_outputsILi2EZZZNS0_21prelu_backward_kernelERNS_14TensorIteratorEENKUlvE_clEvENKUlvE2_clEvEUlN3c104HalfES8_S8_E_St5arrayIPcLm5EE16OffsetCalculatorILi3EjLb0EESD_ILi2EjLb0EEEEviT0_T1_T2_T3_.num_named_barrier, 0
	.set _ZN2at6native12_GLOBAL__N_145unrolled_elementwise_kernel_for_multi_outputsILi2EZZZNS0_21prelu_backward_kernelERNS_14TensorIteratorEENKUlvE_clEvENKUlvE2_clEvEUlN3c104HalfES8_S8_E_St5arrayIPcLm5EE16OffsetCalculatorILi3EjLb0EESD_ILi2EjLb0EEEEviT0_T1_T2_T3_.private_seg_size, 768
	.set _ZN2at6native12_GLOBAL__N_145unrolled_elementwise_kernel_for_multi_outputsILi2EZZZNS0_21prelu_backward_kernelERNS_14TensorIteratorEENKUlvE_clEvENKUlvE2_clEvEUlN3c104HalfES8_S8_E_St5arrayIPcLm5EE16OffsetCalculatorILi3EjLb0EESD_ILi2EjLb0EEEEviT0_T1_T2_T3_.uses_vcc, 1
	.set _ZN2at6native12_GLOBAL__N_145unrolled_elementwise_kernel_for_multi_outputsILi2EZZZNS0_21prelu_backward_kernelERNS_14TensorIteratorEENKUlvE_clEvENKUlvE2_clEvEUlN3c104HalfES8_S8_E_St5arrayIPcLm5EE16OffsetCalculatorILi3EjLb0EESD_ILi2EjLb0EEEEviT0_T1_T2_T3_.uses_flat_scratch, 1
	.set _ZN2at6native12_GLOBAL__N_145unrolled_elementwise_kernel_for_multi_outputsILi2EZZZNS0_21prelu_backward_kernelERNS_14TensorIteratorEENKUlvE_clEvENKUlvE2_clEvEUlN3c104HalfES8_S8_E_St5arrayIPcLm5EE16OffsetCalculatorILi3EjLb0EESD_ILi2EjLb0EEEEviT0_T1_T2_T3_.has_dyn_sized_stack, 0
	.set _ZN2at6native12_GLOBAL__N_145unrolled_elementwise_kernel_for_multi_outputsILi2EZZZNS0_21prelu_backward_kernelERNS_14TensorIteratorEENKUlvE_clEvENKUlvE2_clEvEUlN3c104HalfES8_S8_E_St5arrayIPcLm5EE16OffsetCalculatorILi3EjLb0EESD_ILi2EjLb0EEEEviT0_T1_T2_T3_.has_recursion, 0
	.set _ZN2at6native12_GLOBAL__N_145unrolled_elementwise_kernel_for_multi_outputsILi2EZZZNS0_21prelu_backward_kernelERNS_14TensorIteratorEENKUlvE_clEvENKUlvE2_clEvEUlN3c104HalfES8_S8_E_St5arrayIPcLm5EE16OffsetCalculatorILi3EjLb0EESD_ILi2EjLb0EEEEviT0_T1_T2_T3_.has_indirect_call, 0
	.section	.AMDGPU.csdata,"",@progbits
; Kernel info:
; codeLenInByte = 8192
; TotalNumSgprs: 78
; NumVgprs: 54
; ScratchSize: 768
; MemoryBound: 0
; FloatMode: 240
; IeeeMode: 1
; LDSByteSize: 0 bytes/workgroup (compile time only)
; SGPRBlocks: 0
; VGPRBlocks: 3
; NumSGPRsForWavesPerEU: 78
; NumVGPRsForWavesPerEU: 54
; NamedBarCnt: 0
; Occupancy: 16
; WaveLimiterHint : 1
; COMPUTE_PGM_RSRC2:SCRATCH_EN: 1
; COMPUTE_PGM_RSRC2:USER_SGPR: 2
; COMPUTE_PGM_RSRC2:TRAP_HANDLER: 0
; COMPUTE_PGM_RSRC2:TGID_X_EN: 1
; COMPUTE_PGM_RSRC2:TGID_Y_EN: 0
; COMPUTE_PGM_RSRC2:TGID_Z_EN: 0
; COMPUTE_PGM_RSRC2:TIDIG_COMP_CNT: 0
	.text
	.p2alignl 7, 3214868480
	.fill 96, 4, 3214868480
	.section	.AMDGPU.gpr_maximums,"",@progbits
	.set amdgpu.max_num_vgpr, 120
	.set amdgpu.max_num_agpr, 0
	.set amdgpu.max_num_sgpr, 96
	.text
	.type	__hip_cuid_39d407e0922b8e32,@object ; @__hip_cuid_39d407e0922b8e32
	.section	.bss,"aw",@nobits
	.globl	__hip_cuid_39d407e0922b8e32
__hip_cuid_39d407e0922b8e32:
	.byte	0                               ; 0x0
	.size	__hip_cuid_39d407e0922b8e32, 1

	.ident	"AMD clang version 22.0.0git (https://github.com/RadeonOpenCompute/llvm-project roc-7.2.4 26084 f58b06dce1f9c15707c5f808fd002e18c2accf7e)"
	.section	".note.GNU-stack","",@progbits
	.addrsig
	.addrsig_sym __hip_cuid_39d407e0922b8e32
	.amdgpu_metadata
---
amdhsa.kernels:
  - .args:
      - .offset:         0
        .size:           4
        .value_kind:     by_value
      - .offset:         4
        .size:           1
        .value_kind:     by_value
      - .offset:         8
        .size:           24
        .value_kind:     by_value
    .group_segment_fixed_size: 0
    .kernarg_segment_align: 8
    .kernarg_segment_size: 32
    .language:       OpenCL C
    .language_version:
      - 2
      - 0
    .max_flat_workgroup_size: 256
    .name:           _ZN2at6native29vectorized_elementwise_kernelILi16EZZZNS0_12prelu_kernelERNS_14TensorIteratorEENKUlvE_clEvENKUlvE_clEvEUlddE_St5arrayIPcLm3EEEEviT0_T1_
    .private_segment_fixed_size: 0
    .sgpr_count:     18
    .sgpr_spill_count: 0
    .symbol:         _ZN2at6native29vectorized_elementwise_kernelILi16EZZZNS0_12prelu_kernelERNS_14TensorIteratorEENKUlvE_clEvENKUlvE_clEvEUlddE_St5arrayIPcLm3EEEEviT0_T1_.kd
    .uniform_work_group_size: 1
    .uses_dynamic_stack: false
    .vgpr_count:     20
    .vgpr_spill_count: 0
    .wavefront_size: 32
  - .args:
      - .offset:         0
        .size:           4
        .value_kind:     by_value
      - .offset:         4
        .size:           1
        .value_kind:     by_value
      - .offset:         8
        .size:           24
        .value_kind:     by_value
    .group_segment_fixed_size: 0
    .kernarg_segment_align: 8
    .kernarg_segment_size: 32
    .language:       OpenCL C
    .language_version:
      - 2
      - 0
    .max_flat_workgroup_size: 256
    .name:           _ZN2at6native29vectorized_elementwise_kernelILi8EZZZNS0_12prelu_kernelERNS_14TensorIteratorEENKUlvE_clEvENKUlvE_clEvEUlddE_St5arrayIPcLm3EEEEviT0_T1_
    .private_segment_fixed_size: 0
    .sgpr_count:     18
    .sgpr_spill_count: 0
    .symbol:         _ZN2at6native29vectorized_elementwise_kernelILi8EZZZNS0_12prelu_kernelERNS_14TensorIteratorEENKUlvE_clEvENKUlvE_clEvEUlddE_St5arrayIPcLm3EEEEviT0_T1_.kd
    .uniform_work_group_size: 1
    .uses_dynamic_stack: false
    .vgpr_count:     20
    .vgpr_spill_count: 0
    .wavefront_size: 32
  - .args:
      - .offset:         0
        .size:           4
        .value_kind:     by_value
      - .offset:         4
        .size:           1
        .value_kind:     by_value
      - .offset:         8
        .size:           24
        .value_kind:     by_value
    .group_segment_fixed_size: 0
    .kernarg_segment_align: 8
    .kernarg_segment_size: 32
    .language:       OpenCL C
    .language_version:
      - 2
      - 0
    .max_flat_workgroup_size: 256
    .name:           _ZN2at6native29vectorized_elementwise_kernelILi4EZZZNS0_12prelu_kernelERNS_14TensorIteratorEENKUlvE_clEvENKUlvE_clEvEUlddE_St5arrayIPcLm3EEEEviT0_T1_
    .private_segment_fixed_size: 0
    .sgpr_count:     18
    .sgpr_spill_count: 0
    .symbol:         _ZN2at6native29vectorized_elementwise_kernelILi4EZZZNS0_12prelu_kernelERNS_14TensorIteratorEENKUlvE_clEvENKUlvE_clEvEUlddE_St5arrayIPcLm3EEEEviT0_T1_.kd
    .uniform_work_group_size: 1
    .uses_dynamic_stack: false
    .vgpr_count:     20
    .vgpr_spill_count: 0
    .wavefront_size: 32
  - .args:
      - .offset:         0
        .size:           4
        .value_kind:     by_value
      - .offset:         4
        .size:           1
        .value_kind:     by_value
      - .offset:         8
        .size:           24
        .value_kind:     by_value
    .group_segment_fixed_size: 0
    .kernarg_segment_align: 8
    .kernarg_segment_size: 32
    .language:       OpenCL C
    .language_version:
      - 2
      - 0
    .max_flat_workgroup_size: 256
    .name:           _ZN2at6native29vectorized_elementwise_kernelILi2EZZZNS0_12prelu_kernelERNS_14TensorIteratorEENKUlvE_clEvENKUlvE_clEvEUlddE_St5arrayIPcLm3EEEEviT0_T1_
    .private_segment_fixed_size: 0
    .sgpr_count:     18
    .sgpr_spill_count: 0
    .symbol:         _ZN2at6native29vectorized_elementwise_kernelILi2EZZZNS0_12prelu_kernelERNS_14TensorIteratorEENKUlvE_clEvENKUlvE_clEvEUlddE_St5arrayIPcLm3EEEEviT0_T1_.kd
    .uniform_work_group_size: 1
    .uses_dynamic_stack: false
    .vgpr_count:     20
    .vgpr_spill_count: 0
    .wavefront_size: 32
  - .args:
      - .offset:         0
        .size:           4
        .value_kind:     by_value
      - .offset:         4
        .size:           1
        .value_kind:     by_value
      - .offset:         8
        .size:           24
        .value_kind:     by_value
      - .offset:         32
        .size:           1
        .value_kind:     by_value
      - .offset:         33
        .size:           1
        .value_kind:     by_value
      - .offset:         34
        .size:           1
        .value_kind:     by_value
      - .offset:         35
        .size:           1
        .value_kind:     by_value
    .group_segment_fixed_size: 0
    .kernarg_segment_align: 8
    .kernarg_segment_size: 36
    .language:       OpenCL C
    .language_version:
      - 2
      - 0
    .max_flat_workgroup_size: 256
    .name:           _ZN2at6native27unrolled_elementwise_kernelIZZZNS0_12prelu_kernelERNS_14TensorIteratorEENKUlvE_clEvENKUlvE_clEvEUlddE_St5arrayIPcLm3EELi4E23TrivialOffsetCalculatorILi2EjESA_ILi1EjENS0_6memory15LoadWithoutCastENSD_16StoreWithoutCastEEEviT_T0_T2_T3_T4_T5_
    .private_segment_fixed_size: 0
    .sgpr_count:     13
    .sgpr_spill_count: 0
    .symbol:         _ZN2at6native27unrolled_elementwise_kernelIZZZNS0_12prelu_kernelERNS_14TensorIteratorEENKUlvE_clEvENKUlvE_clEvEUlddE_St5arrayIPcLm3EELi4E23TrivialOffsetCalculatorILi2EjESA_ILi1EjENS0_6memory15LoadWithoutCastENSD_16StoreWithoutCastEEEviT_T0_T2_T3_T4_T5_.kd
    .uniform_work_group_size: 1
    .uses_dynamic_stack: false
    .vgpr_count:     20
    .vgpr_spill_count: 0
    .wavefront_size: 32
  - .args:
      - .offset:         0
        .size:           4
        .value_kind:     by_value
      - .offset:         8
        .size:           424
        .value_kind:     by_value
    .group_segment_fixed_size: 0
    .kernarg_segment_align: 8
    .kernarg_segment_size: 432
    .language:       OpenCL C
    .language_version:
      - 2
      - 0
    .max_flat_workgroup_size: 128
    .name:           _ZN2at6native32elementwise_kernel_manual_unrollILi128ELi4EZNS0_22gpu_kernel_impl_nocastIZZZNS0_12prelu_kernelERNS_14TensorIteratorEENKUlvE_clEvENKUlvE_clEvEUlddE_EEvRNS_18TensorIteratorBaseERKT_EUlibE_EEviT1_
    .private_segment_fixed_size: 0
    .sgpr_count:     48
    .sgpr_spill_count: 0
    .symbol:         _ZN2at6native32elementwise_kernel_manual_unrollILi128ELi4EZNS0_22gpu_kernel_impl_nocastIZZZNS0_12prelu_kernelERNS_14TensorIteratorEENKUlvE_clEvENKUlvE_clEvEUlddE_EEvRNS_18TensorIteratorBaseERKT_EUlibE_EEviT1_.kd
    .uniform_work_group_size: 1
    .uses_dynamic_stack: false
    .vgpr_count:     30
    .vgpr_spill_count: 0
    .wavefront_size: 32
  - .args:
      - .offset:         0
        .size:           4
        .value_kind:     by_value
      - .offset:         8
        .size:           40
        .value_kind:     by_value
    .group_segment_fixed_size: 0
    .kernarg_segment_align: 8
    .kernarg_segment_size: 48
    .language:       OpenCL C
    .language_version:
      - 2
      - 0
    .max_flat_workgroup_size: 128
    .name:           _ZN2at6native32elementwise_kernel_manual_unrollILi128ELi4EZNS0_15gpu_kernel_implIZZZNS0_12prelu_kernelERNS_14TensorIteratorEENKUlvE_clEvENKUlvE_clEvEUlddE_EEvRNS_18TensorIteratorBaseERKT_EUlibE_EEviT1_
    .private_segment_fixed_size: 0
    .sgpr_count:     37
    .sgpr_spill_count: 0
    .symbol:         _ZN2at6native32elementwise_kernel_manual_unrollILi128ELi4EZNS0_15gpu_kernel_implIZZZNS0_12prelu_kernelERNS_14TensorIteratorEENKUlvE_clEvENKUlvE_clEvEUlddE_EEvRNS_18TensorIteratorBaseERKT_EUlibE_EEviT1_.kd
    .uniform_work_group_size: 1
    .uses_dynamic_stack: false
    .vgpr_count:     23
    .vgpr_spill_count: 0
    .wavefront_size: 32
  - .args:
      - .offset:         0
        .size:           4
        .value_kind:     by_value
      - .offset:         8
        .size:           424
        .value_kind:     by_value
    .group_segment_fixed_size: 0
    .kernarg_segment_align: 8
    .kernarg_segment_size: 432
    .language:       OpenCL C
    .language_version:
      - 2
      - 0
    .max_flat_workgroup_size: 128
    .name:           _ZN2at6native32elementwise_kernel_manual_unrollILi128ELi4EZNS0_15gpu_kernel_implIZZZNS0_12prelu_kernelERNS_14TensorIteratorEENKUlvE_clEvENKUlvE_clEvEUlddE_EEvRNS_18TensorIteratorBaseERKT_EUlibE0_EEviT1_
    .private_segment_fixed_size: 0
    .sgpr_count:     62
    .sgpr_spill_count: 0
    .symbol:         _ZN2at6native32elementwise_kernel_manual_unrollILi128ELi4EZNS0_15gpu_kernel_implIZZZNS0_12prelu_kernelERNS_14TensorIteratorEENKUlvE_clEvENKUlvE_clEvEUlddE_EEvRNS_18TensorIteratorBaseERKT_EUlibE0_EEviT1_.kd
    .uniform_work_group_size: 1
    .uses_dynamic_stack: false
    .vgpr_count:     28
    .vgpr_spill_count: 0
    .wavefront_size: 32
  - .args:
      - .offset:         0
        .size:           4
        .value_kind:     by_value
      - .offset:         4
        .size:           1
        .value_kind:     by_value
      - .offset:         8
        .size:           24
        .value_kind:     by_value
    .group_segment_fixed_size: 0
    .kernarg_segment_align: 8
    .kernarg_segment_size: 32
    .language:       OpenCL C
    .language_version:
      - 2
      - 0
    .max_flat_workgroup_size: 256
    .name:           _ZN2at6native29vectorized_elementwise_kernelILi16EZZZNS0_12prelu_kernelERNS_14TensorIteratorEENKUlvE_clEvENKUlvE0_clEvEUlffE_St5arrayIPcLm3EEEEviT0_T1_
    .private_segment_fixed_size: 0
    .sgpr_count:     18
    .sgpr_spill_count: 0
    .symbol:         _ZN2at6native29vectorized_elementwise_kernelILi16EZZZNS0_12prelu_kernelERNS_14TensorIteratorEENKUlvE_clEvENKUlvE0_clEvEUlffE_St5arrayIPcLm3EEEEviT0_T1_.kd
    .uniform_work_group_size: 1
    .uses_dynamic_stack: false
    .vgpr_count:     12
    .vgpr_spill_count: 0
    .wavefront_size: 32
  - .args:
      - .offset:         0
        .size:           4
        .value_kind:     by_value
      - .offset:         4
        .size:           1
        .value_kind:     by_value
      - .offset:         8
        .size:           24
        .value_kind:     by_value
    .group_segment_fixed_size: 0
    .kernarg_segment_align: 8
    .kernarg_segment_size: 32
    .language:       OpenCL C
    .language_version:
      - 2
      - 0
    .max_flat_workgroup_size: 256
    .name:           _ZN2at6native29vectorized_elementwise_kernelILi8EZZZNS0_12prelu_kernelERNS_14TensorIteratorEENKUlvE_clEvENKUlvE0_clEvEUlffE_St5arrayIPcLm3EEEEviT0_T1_
    .private_segment_fixed_size: 0
    .sgpr_count:     18
    .sgpr_spill_count: 0
    .symbol:         _ZN2at6native29vectorized_elementwise_kernelILi8EZZZNS0_12prelu_kernelERNS_14TensorIteratorEENKUlvE_clEvENKUlvE0_clEvEUlffE_St5arrayIPcLm3EEEEviT0_T1_.kd
    .uniform_work_group_size: 1
    .uses_dynamic_stack: false
    .vgpr_count:     12
    .vgpr_spill_count: 0
    .wavefront_size: 32
  - .args:
      - .offset:         0
        .size:           4
        .value_kind:     by_value
      - .offset:         4
        .size:           1
        .value_kind:     by_value
      - .offset:         8
        .size:           24
        .value_kind:     by_value
    .group_segment_fixed_size: 0
    .kernarg_segment_align: 8
    .kernarg_segment_size: 32
    .language:       OpenCL C
    .language_version:
      - 2
      - 0
    .max_flat_workgroup_size: 256
    .name:           _ZN2at6native29vectorized_elementwise_kernelILi4EZZZNS0_12prelu_kernelERNS_14TensorIteratorEENKUlvE_clEvENKUlvE0_clEvEUlffE_St5arrayIPcLm3EEEEviT0_T1_
    .private_segment_fixed_size: 0
    .sgpr_count:     18
    .sgpr_spill_count: 0
    .symbol:         _ZN2at6native29vectorized_elementwise_kernelILi4EZZZNS0_12prelu_kernelERNS_14TensorIteratorEENKUlvE_clEvENKUlvE0_clEvEUlffE_St5arrayIPcLm3EEEEviT0_T1_.kd
    .uniform_work_group_size: 1
    .uses_dynamic_stack: false
    .vgpr_count:     12
    .vgpr_spill_count: 0
    .wavefront_size: 32
  - .args:
      - .offset:         0
        .size:           4
        .value_kind:     by_value
      - .offset:         4
        .size:           1
        .value_kind:     by_value
      - .offset:         8
        .size:           24
        .value_kind:     by_value
    .group_segment_fixed_size: 0
    .kernarg_segment_align: 8
    .kernarg_segment_size: 32
    .language:       OpenCL C
    .language_version:
      - 2
      - 0
    .max_flat_workgroup_size: 256
    .name:           _ZN2at6native29vectorized_elementwise_kernelILi2EZZZNS0_12prelu_kernelERNS_14TensorIteratorEENKUlvE_clEvENKUlvE0_clEvEUlffE_St5arrayIPcLm3EEEEviT0_T1_
    .private_segment_fixed_size: 0
    .sgpr_count:     18
    .sgpr_spill_count: 0
    .symbol:         _ZN2at6native29vectorized_elementwise_kernelILi2EZZZNS0_12prelu_kernelERNS_14TensorIteratorEENKUlvE_clEvENKUlvE0_clEvEUlffE_St5arrayIPcLm3EEEEviT0_T1_.kd
    .uniform_work_group_size: 1
    .uses_dynamic_stack: false
    .vgpr_count:     12
    .vgpr_spill_count: 0
    .wavefront_size: 32
  - .args:
      - .offset:         0
        .size:           4
        .value_kind:     by_value
      - .offset:         4
        .size:           1
        .value_kind:     by_value
      - .offset:         8
        .size:           24
        .value_kind:     by_value
      - .offset:         32
        .size:           1
        .value_kind:     by_value
      - .offset:         33
        .size:           1
        .value_kind:     by_value
      - .offset:         34
        .size:           1
        .value_kind:     by_value
      - .offset:         35
        .size:           1
        .value_kind:     by_value
    .group_segment_fixed_size: 0
    .kernarg_segment_align: 8
    .kernarg_segment_size: 36
    .language:       OpenCL C
    .language_version:
      - 2
      - 0
    .max_flat_workgroup_size: 256
    .name:           _ZN2at6native27unrolled_elementwise_kernelIZZZNS0_12prelu_kernelERNS_14TensorIteratorEENKUlvE_clEvENKUlvE0_clEvEUlffE_St5arrayIPcLm3EELi4E23TrivialOffsetCalculatorILi2EjESA_ILi1EjENS0_6memory15LoadWithoutCastENSD_16StoreWithoutCastEEEviT_T0_T2_T3_T4_T5_
    .private_segment_fixed_size: 0
    .sgpr_count:     13
    .sgpr_spill_count: 0
    .symbol:         _ZN2at6native27unrolled_elementwise_kernelIZZZNS0_12prelu_kernelERNS_14TensorIteratorEENKUlvE_clEvENKUlvE0_clEvEUlffE_St5arrayIPcLm3EELi4E23TrivialOffsetCalculatorILi2EjESA_ILi1EjENS0_6memory15LoadWithoutCastENSD_16StoreWithoutCastEEEviT_T0_T2_T3_T4_T5_.kd
    .uniform_work_group_size: 1
    .uses_dynamic_stack: false
    .vgpr_count:     12
    .vgpr_spill_count: 0
    .wavefront_size: 32
  - .args:
      - .offset:         0
        .size:           4
        .value_kind:     by_value
      - .offset:         8
        .size:           424
        .value_kind:     by_value
    .group_segment_fixed_size: 0
    .kernarg_segment_align: 8
    .kernarg_segment_size: 432
    .language:       OpenCL C
    .language_version:
      - 2
      - 0
    .max_flat_workgroup_size: 128
    .name:           _ZN2at6native32elementwise_kernel_manual_unrollILi128ELi4EZNS0_22gpu_kernel_impl_nocastIZZZNS0_12prelu_kernelERNS_14TensorIteratorEENKUlvE_clEvENKUlvE0_clEvEUlffE_EEvRNS_18TensorIteratorBaseERKT_EUlibE_EEviT1_
    .private_segment_fixed_size: 0
    .sgpr_count:     48
    .sgpr_spill_count: 0
    .symbol:         _ZN2at6native32elementwise_kernel_manual_unrollILi128ELi4EZNS0_22gpu_kernel_impl_nocastIZZZNS0_12prelu_kernelERNS_14TensorIteratorEENKUlvE_clEvENKUlvE0_clEvEUlffE_EEvRNS_18TensorIteratorBaseERKT_EUlibE_EEviT1_.kd
    .uniform_work_group_size: 1
    .uses_dynamic_stack: false
    .vgpr_count:     20
    .vgpr_spill_count: 0
    .wavefront_size: 32
  - .args:
      - .offset:         0
        .size:           4
        .value_kind:     by_value
      - .offset:         4
        .size:           1
        .value_kind:     by_value
      - .offset:         8
        .size:           24
        .value_kind:     by_value
      - .offset:         32
        .size:           1
        .value_kind:     by_value
      - .offset:         33
        .size:           1
        .value_kind:     by_value
      - .offset:         36
        .size:           12
        .value_kind:     by_value
      - .offset:         48
        .size:           8
        .value_kind:     by_value
      - .offset:         56
        .size:           4
        .value_kind:     hidden_block_count_x
      - .offset:         60
        .size:           4
        .value_kind:     hidden_block_count_y
      - .offset:         64
        .size:           4
        .value_kind:     hidden_block_count_z
      - .offset:         68
        .size:           2
        .value_kind:     hidden_group_size_x
      - .offset:         70
        .size:           2
        .value_kind:     hidden_group_size_y
      - .offset:         72
        .size:           2
        .value_kind:     hidden_group_size_z
      - .offset:         74
        .size:           2
        .value_kind:     hidden_remainder_x
      - .offset:         76
        .size:           2
        .value_kind:     hidden_remainder_y
      - .offset:         78
        .size:           2
        .value_kind:     hidden_remainder_z
      - .offset:         96
        .size:           8
        .value_kind:     hidden_global_offset_x
      - .offset:         104
        .size:           8
        .value_kind:     hidden_global_offset_y
      - .offset:         112
        .size:           8
        .value_kind:     hidden_global_offset_z
      - .offset:         120
        .size:           2
        .value_kind:     hidden_grid_dims
    .group_segment_fixed_size: 0
    .kernarg_segment_align: 8
    .kernarg_segment_size: 312
    .language:       OpenCL C
    .language_version:
      - 2
      - 0
    .max_flat_workgroup_size: 512
    .name:           _ZN2at6native39vectorized_templated_elementwise_kernelILi8EZZZNS0_12prelu_kernelERNS_14TensorIteratorEENKUlvE_clEvENKUlvE0_clEvEUlffE_St5arrayIPcLm3EE23TrivialOffsetCalculatorILi2EjESA_ILi1EjENS0_6memory12LoadWithCastILi2EEENSD_13StoreWithCastILi1EEEfJfN3c108BFloat16EEEEviT0_T1_T2_T3_T4_T5_
    .private_segment_fixed_size: 272
    .sgpr_count:     98
    .sgpr_spill_count: 0
    .symbol:         _ZN2at6native39vectorized_templated_elementwise_kernelILi8EZZZNS0_12prelu_kernelERNS_14TensorIteratorEENKUlvE_clEvENKUlvE0_clEvEUlffE_St5arrayIPcLm3EE23TrivialOffsetCalculatorILi2EjESA_ILi1EjENS0_6memory12LoadWithCastILi2EEENSD_13StoreWithCastILi1EEEfJfN3c108BFloat16EEEEviT0_T1_T2_T3_T4_T5_.kd
    .uniform_work_group_size: 1
    .uses_dynamic_stack: false
    .vgpr_count:     120
    .vgpr_spill_count: 0
    .wavefront_size: 32
  - .args:
      - .offset:         0
        .size:           4
        .value_kind:     by_value
      - .offset:         4
        .size:           1
        .value_kind:     by_value
      - .offset:         8
        .size:           24
        .value_kind:     by_value
      - .offset:         32
        .size:           1
        .value_kind:     by_value
      - .offset:         33
        .size:           1
        .value_kind:     by_value
      - .offset:         36
        .size:           12
        .value_kind:     by_value
      - .offset:         48
        .size:           8
        .value_kind:     by_value
      - .offset:         56
        .size:           4
        .value_kind:     hidden_block_count_x
      - .offset:         60
        .size:           4
        .value_kind:     hidden_block_count_y
      - .offset:         64
        .size:           4
        .value_kind:     hidden_block_count_z
      - .offset:         68
        .size:           2
        .value_kind:     hidden_group_size_x
      - .offset:         70
        .size:           2
        .value_kind:     hidden_group_size_y
      - .offset:         72
        .size:           2
        .value_kind:     hidden_group_size_z
      - .offset:         74
        .size:           2
        .value_kind:     hidden_remainder_x
      - .offset:         76
        .size:           2
        .value_kind:     hidden_remainder_y
      - .offset:         78
        .size:           2
        .value_kind:     hidden_remainder_z
      - .offset:         96
        .size:           8
        .value_kind:     hidden_global_offset_x
      - .offset:         104
        .size:           8
        .value_kind:     hidden_global_offset_y
      - .offset:         112
        .size:           8
        .value_kind:     hidden_global_offset_z
      - .offset:         120
        .size:           2
        .value_kind:     hidden_grid_dims
    .group_segment_fixed_size: 0
    .kernarg_segment_align: 8
    .kernarg_segment_size: 312
    .language:       OpenCL C
    .language_version:
      - 2
      - 0
    .max_flat_workgroup_size: 512
    .name:           _ZN2at6native39vectorized_templated_elementwise_kernelILi4EZZZNS0_12prelu_kernelERNS_14TensorIteratorEENKUlvE_clEvENKUlvE0_clEvEUlffE_St5arrayIPcLm3EE23TrivialOffsetCalculatorILi2EjESA_ILi1EjENS0_6memory12LoadWithCastILi2EEENSD_13StoreWithCastILi1EEEfJfN3c108BFloat16EEEEviT0_T1_T2_T3_T4_T5_
    .private_segment_fixed_size: 272
    .sgpr_count:     98
    .sgpr_spill_count: 0
    .symbol:         _ZN2at6native39vectorized_templated_elementwise_kernelILi4EZZZNS0_12prelu_kernelERNS_14TensorIteratorEENKUlvE_clEvENKUlvE0_clEvEUlffE_St5arrayIPcLm3EE23TrivialOffsetCalculatorILi2EjESA_ILi1EjENS0_6memory12LoadWithCastILi2EEENSD_13StoreWithCastILi1EEEfJfN3c108BFloat16EEEEviT0_T1_T2_T3_T4_T5_.kd
    .uniform_work_group_size: 1
    .uses_dynamic_stack: false
    .vgpr_count:     120
    .vgpr_spill_count: 0
    .wavefront_size: 32
  - .args:
      - .offset:         0
        .size:           4
        .value_kind:     by_value
      - .offset:         4
        .size:           1
        .value_kind:     by_value
      - .offset:         8
        .size:           24
        .value_kind:     by_value
      - .offset:         32
        .size:           1
        .value_kind:     by_value
      - .offset:         33
        .size:           1
        .value_kind:     by_value
      - .offset:         36
        .size:           12
        .value_kind:     by_value
      - .offset:         48
        .size:           8
        .value_kind:     by_value
      - .offset:         56
        .size:           4
        .value_kind:     hidden_block_count_x
      - .offset:         60
        .size:           4
        .value_kind:     hidden_block_count_y
      - .offset:         64
        .size:           4
        .value_kind:     hidden_block_count_z
      - .offset:         68
        .size:           2
        .value_kind:     hidden_group_size_x
      - .offset:         70
        .size:           2
        .value_kind:     hidden_group_size_y
      - .offset:         72
        .size:           2
        .value_kind:     hidden_group_size_z
      - .offset:         74
        .size:           2
        .value_kind:     hidden_remainder_x
      - .offset:         76
        .size:           2
        .value_kind:     hidden_remainder_y
      - .offset:         78
        .size:           2
        .value_kind:     hidden_remainder_z
      - .offset:         96
        .size:           8
        .value_kind:     hidden_global_offset_x
      - .offset:         104
        .size:           8
        .value_kind:     hidden_global_offset_y
      - .offset:         112
        .size:           8
        .value_kind:     hidden_global_offset_z
      - .offset:         120
        .size:           2
        .value_kind:     hidden_grid_dims
    .group_segment_fixed_size: 0
    .kernarg_segment_align: 8
    .kernarg_segment_size: 312
    .language:       OpenCL C
    .language_version:
      - 2
      - 0
    .max_flat_workgroup_size: 512
    .name:           _ZN2at6native39vectorized_templated_elementwise_kernelILi2EZZZNS0_12prelu_kernelERNS_14TensorIteratorEENKUlvE_clEvENKUlvE0_clEvEUlffE_St5arrayIPcLm3EE23TrivialOffsetCalculatorILi2EjESA_ILi1EjENS0_6memory12LoadWithCastILi2EEENSD_13StoreWithCastILi1EEEfJfN3c108BFloat16EEEEviT0_T1_T2_T3_T4_T5_
    .private_segment_fixed_size: 272
    .sgpr_count:     98
    .sgpr_spill_count: 0
    .symbol:         _ZN2at6native39vectorized_templated_elementwise_kernelILi2EZZZNS0_12prelu_kernelERNS_14TensorIteratorEENKUlvE_clEvENKUlvE0_clEvEUlffE_St5arrayIPcLm3EE23TrivialOffsetCalculatorILi2EjESA_ILi1EjENS0_6memory12LoadWithCastILi2EEENSD_13StoreWithCastILi1EEEfJfN3c108BFloat16EEEEviT0_T1_T2_T3_T4_T5_.kd
    .uniform_work_group_size: 1
    .uses_dynamic_stack: false
    .vgpr_count:     120
    .vgpr_spill_count: 0
    .wavefront_size: 32
  - .args:
      - .offset:         0
        .size:           4
        .value_kind:     by_value
      - .offset:         4
        .size:           1
        .value_kind:     by_value
      - .offset:         8
        .size:           24
        .value_kind:     by_value
      - .offset:         32
        .size:           1
        .value_kind:     by_value
      - .offset:         33
        .size:           1
        .value_kind:     by_value
      - .offset:         36
        .size:           12
        .value_kind:     by_value
      - .offset:         48
        .size:           8
        .value_kind:     by_value
      - .offset:         56
        .size:           4
        .value_kind:     hidden_block_count_x
      - .offset:         60
        .size:           4
        .value_kind:     hidden_block_count_y
      - .offset:         64
        .size:           4
        .value_kind:     hidden_block_count_z
      - .offset:         68
        .size:           2
        .value_kind:     hidden_group_size_x
      - .offset:         70
        .size:           2
        .value_kind:     hidden_group_size_y
      - .offset:         72
        .size:           2
        .value_kind:     hidden_group_size_z
      - .offset:         74
        .size:           2
        .value_kind:     hidden_remainder_x
      - .offset:         76
        .size:           2
        .value_kind:     hidden_remainder_y
      - .offset:         78
        .size:           2
        .value_kind:     hidden_remainder_z
      - .offset:         96
        .size:           8
        .value_kind:     hidden_global_offset_x
      - .offset:         104
        .size:           8
        .value_kind:     hidden_global_offset_y
      - .offset:         112
        .size:           8
        .value_kind:     hidden_global_offset_z
      - .offset:         120
        .size:           2
        .value_kind:     hidden_grid_dims
    .group_segment_fixed_size: 0
    .kernarg_segment_align: 8
    .kernarg_segment_size: 312
    .language:       OpenCL C
    .language_version:
      - 2
      - 0
    .max_flat_workgroup_size: 512
    .name:           _ZN2at6native39vectorized_templated_elementwise_kernelILi8EZZZNS0_12prelu_kernelERNS_14TensorIteratorEENKUlvE_clEvENKUlvE0_clEvEUlffE_St5arrayIPcLm3EE23TrivialOffsetCalculatorILi2EjESA_ILi1EjENS0_6memory12LoadWithCastILi2EEENSD_13StoreWithCastILi1EEEfJN3c108BFloat16EfEEEviT0_T1_T2_T3_T4_T5_
    .private_segment_fixed_size: 272
    .sgpr_count:     98
    .sgpr_spill_count: 0
    .symbol:         _ZN2at6native39vectorized_templated_elementwise_kernelILi8EZZZNS0_12prelu_kernelERNS_14TensorIteratorEENKUlvE_clEvENKUlvE0_clEvEUlffE_St5arrayIPcLm3EE23TrivialOffsetCalculatorILi2EjESA_ILi1EjENS0_6memory12LoadWithCastILi2EEENSD_13StoreWithCastILi1EEEfJN3c108BFloat16EfEEEviT0_T1_T2_T3_T4_T5_.kd
    .uniform_work_group_size: 1
    .uses_dynamic_stack: false
    .vgpr_count:     120
    .vgpr_spill_count: 0
    .wavefront_size: 32
  - .args:
      - .offset:         0
        .size:           4
        .value_kind:     by_value
      - .offset:         4
        .size:           1
        .value_kind:     by_value
      - .offset:         8
        .size:           24
        .value_kind:     by_value
      - .offset:         32
        .size:           1
        .value_kind:     by_value
      - .offset:         33
        .size:           1
        .value_kind:     by_value
      - .offset:         36
        .size:           12
        .value_kind:     by_value
      - .offset:         48
        .size:           8
        .value_kind:     by_value
      - .offset:         56
        .size:           4
        .value_kind:     hidden_block_count_x
      - .offset:         60
        .size:           4
        .value_kind:     hidden_block_count_y
      - .offset:         64
        .size:           4
        .value_kind:     hidden_block_count_z
      - .offset:         68
        .size:           2
        .value_kind:     hidden_group_size_x
      - .offset:         70
        .size:           2
        .value_kind:     hidden_group_size_y
      - .offset:         72
        .size:           2
        .value_kind:     hidden_group_size_z
      - .offset:         74
        .size:           2
        .value_kind:     hidden_remainder_x
      - .offset:         76
        .size:           2
        .value_kind:     hidden_remainder_y
      - .offset:         78
        .size:           2
        .value_kind:     hidden_remainder_z
      - .offset:         96
        .size:           8
        .value_kind:     hidden_global_offset_x
      - .offset:         104
        .size:           8
        .value_kind:     hidden_global_offset_y
      - .offset:         112
        .size:           8
        .value_kind:     hidden_global_offset_z
      - .offset:         120
        .size:           2
        .value_kind:     hidden_grid_dims
    .group_segment_fixed_size: 0
    .kernarg_segment_align: 8
    .kernarg_segment_size: 312
    .language:       OpenCL C
    .language_version:
      - 2
      - 0
    .max_flat_workgroup_size: 512
    .name:           _ZN2at6native39vectorized_templated_elementwise_kernelILi4EZZZNS0_12prelu_kernelERNS_14TensorIteratorEENKUlvE_clEvENKUlvE0_clEvEUlffE_St5arrayIPcLm3EE23TrivialOffsetCalculatorILi2EjESA_ILi1EjENS0_6memory12LoadWithCastILi2EEENSD_13StoreWithCastILi1EEEfJN3c108BFloat16EfEEEviT0_T1_T2_T3_T4_T5_
    .private_segment_fixed_size: 272
    .sgpr_count:     98
    .sgpr_spill_count: 0
    .symbol:         _ZN2at6native39vectorized_templated_elementwise_kernelILi4EZZZNS0_12prelu_kernelERNS_14TensorIteratorEENKUlvE_clEvENKUlvE0_clEvEUlffE_St5arrayIPcLm3EE23TrivialOffsetCalculatorILi2EjESA_ILi1EjENS0_6memory12LoadWithCastILi2EEENSD_13StoreWithCastILi1EEEfJN3c108BFloat16EfEEEviT0_T1_T2_T3_T4_T5_.kd
    .uniform_work_group_size: 1
    .uses_dynamic_stack: false
    .vgpr_count:     120
    .vgpr_spill_count: 0
    .wavefront_size: 32
  - .args:
      - .offset:         0
        .size:           4
        .value_kind:     by_value
      - .offset:         4
        .size:           1
        .value_kind:     by_value
      - .offset:         8
        .size:           24
        .value_kind:     by_value
      - .offset:         32
        .size:           1
        .value_kind:     by_value
      - .offset:         33
        .size:           1
        .value_kind:     by_value
      - .offset:         36
        .size:           12
        .value_kind:     by_value
      - .offset:         48
        .size:           8
        .value_kind:     by_value
      - .offset:         56
        .size:           4
        .value_kind:     hidden_block_count_x
      - .offset:         60
        .size:           4
        .value_kind:     hidden_block_count_y
      - .offset:         64
        .size:           4
        .value_kind:     hidden_block_count_z
      - .offset:         68
        .size:           2
        .value_kind:     hidden_group_size_x
      - .offset:         70
        .size:           2
        .value_kind:     hidden_group_size_y
      - .offset:         72
        .size:           2
        .value_kind:     hidden_group_size_z
      - .offset:         74
        .size:           2
        .value_kind:     hidden_remainder_x
      - .offset:         76
        .size:           2
        .value_kind:     hidden_remainder_y
      - .offset:         78
        .size:           2
        .value_kind:     hidden_remainder_z
      - .offset:         96
        .size:           8
        .value_kind:     hidden_global_offset_x
      - .offset:         104
        .size:           8
        .value_kind:     hidden_global_offset_y
      - .offset:         112
        .size:           8
        .value_kind:     hidden_global_offset_z
      - .offset:         120
        .size:           2
        .value_kind:     hidden_grid_dims
    .group_segment_fixed_size: 0
    .kernarg_segment_align: 8
    .kernarg_segment_size: 312
    .language:       OpenCL C
    .language_version:
      - 2
      - 0
    .max_flat_workgroup_size: 512
    .name:           _ZN2at6native39vectorized_templated_elementwise_kernelILi2EZZZNS0_12prelu_kernelERNS_14TensorIteratorEENKUlvE_clEvENKUlvE0_clEvEUlffE_St5arrayIPcLm3EE23TrivialOffsetCalculatorILi2EjESA_ILi1EjENS0_6memory12LoadWithCastILi2EEENSD_13StoreWithCastILi1EEEfJN3c108BFloat16EfEEEviT0_T1_T2_T3_T4_T5_
    .private_segment_fixed_size: 272
    .sgpr_count:     98
    .sgpr_spill_count: 0
    .symbol:         _ZN2at6native39vectorized_templated_elementwise_kernelILi2EZZZNS0_12prelu_kernelERNS_14TensorIteratorEENKUlvE_clEvENKUlvE0_clEvEUlffE_St5arrayIPcLm3EE23TrivialOffsetCalculatorILi2EjESA_ILi1EjENS0_6memory12LoadWithCastILi2EEENSD_13StoreWithCastILi1EEEfJN3c108BFloat16EfEEEviT0_T1_T2_T3_T4_T5_.kd
    .uniform_work_group_size: 1
    .uses_dynamic_stack: false
    .vgpr_count:     120
    .vgpr_spill_count: 0
    .wavefront_size: 32
  - .args:
      - .offset:         0
        .size:           4
        .value_kind:     by_value
      - .offset:         4
        .size:           1
        .value_kind:     by_value
      - .offset:         8
        .size:           24
        .value_kind:     by_value
      - .offset:         32
        .size:           1
        .value_kind:     by_value
      - .offset:         33
        .size:           1
        .value_kind:     by_value
      - .offset:         36
        .size:           12
        .value_kind:     by_value
      - .offset:         48
        .size:           8
        .value_kind:     by_value
      - .offset:         56
        .size:           4
        .value_kind:     hidden_block_count_x
      - .offset:         60
        .size:           4
        .value_kind:     hidden_block_count_y
      - .offset:         64
        .size:           4
        .value_kind:     hidden_block_count_z
      - .offset:         68
        .size:           2
        .value_kind:     hidden_group_size_x
      - .offset:         70
        .size:           2
        .value_kind:     hidden_group_size_y
      - .offset:         72
        .size:           2
        .value_kind:     hidden_group_size_z
      - .offset:         74
        .size:           2
        .value_kind:     hidden_remainder_x
      - .offset:         76
        .size:           2
        .value_kind:     hidden_remainder_y
      - .offset:         78
        .size:           2
        .value_kind:     hidden_remainder_z
      - .offset:         96
        .size:           8
        .value_kind:     hidden_global_offset_x
      - .offset:         104
        .size:           8
        .value_kind:     hidden_global_offset_y
      - .offset:         112
        .size:           8
        .value_kind:     hidden_global_offset_z
      - .offset:         120
        .size:           2
        .value_kind:     hidden_grid_dims
    .group_segment_fixed_size: 0
    .kernarg_segment_align: 8
    .kernarg_segment_size: 312
    .language:       OpenCL C
    .language_version:
      - 2
      - 0
    .max_flat_workgroup_size: 512
    .name:           _ZN2at6native39vectorized_templated_elementwise_kernelILi8EZZZNS0_12prelu_kernelERNS_14TensorIteratorEENKUlvE_clEvENKUlvE0_clEvEUlffE_St5arrayIPcLm3EE23TrivialOffsetCalculatorILi2EjESA_ILi1EjENS0_6memory12LoadWithCastILi2EEENSD_13StoreWithCastILi1EEEN3c108BFloat16EJSJ_fEEEviT0_T1_T2_T3_T4_T5_
    .private_segment_fixed_size: 272
    .sgpr_count:     98
    .sgpr_spill_count: 0
    .symbol:         _ZN2at6native39vectorized_templated_elementwise_kernelILi8EZZZNS0_12prelu_kernelERNS_14TensorIteratorEENKUlvE_clEvENKUlvE0_clEvEUlffE_St5arrayIPcLm3EE23TrivialOffsetCalculatorILi2EjESA_ILi1EjENS0_6memory12LoadWithCastILi2EEENSD_13StoreWithCastILi1EEEN3c108BFloat16EJSJ_fEEEviT0_T1_T2_T3_T4_T5_.kd
    .uniform_work_group_size: 1
    .uses_dynamic_stack: false
    .vgpr_count:     120
    .vgpr_spill_count: 0
    .wavefront_size: 32
  - .args:
      - .offset:         0
        .size:           4
        .value_kind:     by_value
      - .offset:         4
        .size:           1
        .value_kind:     by_value
      - .offset:         8
        .size:           24
        .value_kind:     by_value
      - .offset:         32
        .size:           1
        .value_kind:     by_value
      - .offset:         33
        .size:           1
        .value_kind:     by_value
      - .offset:         36
        .size:           12
        .value_kind:     by_value
      - .offset:         48
        .size:           8
        .value_kind:     by_value
      - .offset:         56
        .size:           4
        .value_kind:     hidden_block_count_x
      - .offset:         60
        .size:           4
        .value_kind:     hidden_block_count_y
      - .offset:         64
        .size:           4
        .value_kind:     hidden_block_count_z
      - .offset:         68
        .size:           2
        .value_kind:     hidden_group_size_x
      - .offset:         70
        .size:           2
        .value_kind:     hidden_group_size_y
      - .offset:         72
        .size:           2
        .value_kind:     hidden_group_size_z
      - .offset:         74
        .size:           2
        .value_kind:     hidden_remainder_x
      - .offset:         76
        .size:           2
        .value_kind:     hidden_remainder_y
      - .offset:         78
        .size:           2
        .value_kind:     hidden_remainder_z
      - .offset:         96
        .size:           8
        .value_kind:     hidden_global_offset_x
      - .offset:         104
        .size:           8
        .value_kind:     hidden_global_offset_y
      - .offset:         112
        .size:           8
        .value_kind:     hidden_global_offset_z
      - .offset:         120
        .size:           2
        .value_kind:     hidden_grid_dims
    .group_segment_fixed_size: 0
    .kernarg_segment_align: 8
    .kernarg_segment_size: 312
    .language:       OpenCL C
    .language_version:
      - 2
      - 0
    .max_flat_workgroup_size: 512
    .name:           _ZN2at6native39vectorized_templated_elementwise_kernelILi4EZZZNS0_12prelu_kernelERNS_14TensorIteratorEENKUlvE_clEvENKUlvE0_clEvEUlffE_St5arrayIPcLm3EE23TrivialOffsetCalculatorILi2EjESA_ILi1EjENS0_6memory12LoadWithCastILi2EEENSD_13StoreWithCastILi1EEEN3c108BFloat16EJSJ_fEEEviT0_T1_T2_T3_T4_T5_
    .private_segment_fixed_size: 272
    .sgpr_count:     98
    .sgpr_spill_count: 0
    .symbol:         _ZN2at6native39vectorized_templated_elementwise_kernelILi4EZZZNS0_12prelu_kernelERNS_14TensorIteratorEENKUlvE_clEvENKUlvE0_clEvEUlffE_St5arrayIPcLm3EE23TrivialOffsetCalculatorILi2EjESA_ILi1EjENS0_6memory12LoadWithCastILi2EEENSD_13StoreWithCastILi1EEEN3c108BFloat16EJSJ_fEEEviT0_T1_T2_T3_T4_T5_.kd
    .uniform_work_group_size: 1
    .uses_dynamic_stack: false
    .vgpr_count:     120
    .vgpr_spill_count: 0
    .wavefront_size: 32
  - .args:
      - .offset:         0
        .size:           4
        .value_kind:     by_value
      - .offset:         4
        .size:           1
        .value_kind:     by_value
      - .offset:         8
        .size:           24
        .value_kind:     by_value
      - .offset:         32
        .size:           1
        .value_kind:     by_value
      - .offset:         33
        .size:           1
        .value_kind:     by_value
      - .offset:         36
        .size:           12
        .value_kind:     by_value
      - .offset:         48
        .size:           8
        .value_kind:     by_value
      - .offset:         56
        .size:           4
        .value_kind:     hidden_block_count_x
      - .offset:         60
        .size:           4
        .value_kind:     hidden_block_count_y
      - .offset:         64
        .size:           4
        .value_kind:     hidden_block_count_z
      - .offset:         68
        .size:           2
        .value_kind:     hidden_group_size_x
      - .offset:         70
        .size:           2
        .value_kind:     hidden_group_size_y
      - .offset:         72
        .size:           2
        .value_kind:     hidden_group_size_z
      - .offset:         74
        .size:           2
        .value_kind:     hidden_remainder_x
      - .offset:         76
        .size:           2
        .value_kind:     hidden_remainder_y
      - .offset:         78
        .size:           2
        .value_kind:     hidden_remainder_z
      - .offset:         96
        .size:           8
        .value_kind:     hidden_global_offset_x
      - .offset:         104
        .size:           8
        .value_kind:     hidden_global_offset_y
      - .offset:         112
        .size:           8
        .value_kind:     hidden_global_offset_z
      - .offset:         120
        .size:           2
        .value_kind:     hidden_grid_dims
    .group_segment_fixed_size: 0
    .kernarg_segment_align: 8
    .kernarg_segment_size: 312
    .language:       OpenCL C
    .language_version:
      - 2
      - 0
    .max_flat_workgroup_size: 512
    .name:           _ZN2at6native39vectorized_templated_elementwise_kernelILi2EZZZNS0_12prelu_kernelERNS_14TensorIteratorEENKUlvE_clEvENKUlvE0_clEvEUlffE_St5arrayIPcLm3EE23TrivialOffsetCalculatorILi2EjESA_ILi1EjENS0_6memory12LoadWithCastILi2EEENSD_13StoreWithCastILi1EEEN3c108BFloat16EJSJ_fEEEviT0_T1_T2_T3_T4_T5_
    .private_segment_fixed_size: 272
    .sgpr_count:     98
    .sgpr_spill_count: 0
    .symbol:         _ZN2at6native39vectorized_templated_elementwise_kernelILi2EZZZNS0_12prelu_kernelERNS_14TensorIteratorEENKUlvE_clEvENKUlvE0_clEvEUlffE_St5arrayIPcLm3EE23TrivialOffsetCalculatorILi2EjESA_ILi1EjENS0_6memory12LoadWithCastILi2EEENSD_13StoreWithCastILi1EEEN3c108BFloat16EJSJ_fEEEviT0_T1_T2_T3_T4_T5_.kd
    .uniform_work_group_size: 1
    .uses_dynamic_stack: false
    .vgpr_count:     120
    .vgpr_spill_count: 0
    .wavefront_size: 32
  - .args:
      - .offset:         0
        .size:           4
        .value_kind:     by_value
      - .offset:         4
        .size:           1
        .value_kind:     by_value
      - .offset:         8
        .size:           24
        .value_kind:     by_value
      - .offset:         32
        .size:           1
        .value_kind:     by_value
      - .offset:         33
        .size:           1
        .value_kind:     by_value
      - .offset:         36
        .size:           12
        .value_kind:     by_value
      - .offset:         48
        .size:           8
        .value_kind:     by_value
      - .offset:         56
        .size:           4
        .value_kind:     hidden_block_count_x
      - .offset:         60
        .size:           4
        .value_kind:     hidden_block_count_y
      - .offset:         64
        .size:           4
        .value_kind:     hidden_block_count_z
      - .offset:         68
        .size:           2
        .value_kind:     hidden_group_size_x
      - .offset:         70
        .size:           2
        .value_kind:     hidden_group_size_y
      - .offset:         72
        .size:           2
        .value_kind:     hidden_group_size_z
      - .offset:         74
        .size:           2
        .value_kind:     hidden_remainder_x
      - .offset:         76
        .size:           2
        .value_kind:     hidden_remainder_y
      - .offset:         78
        .size:           2
        .value_kind:     hidden_remainder_z
      - .offset:         96
        .size:           8
        .value_kind:     hidden_global_offset_x
      - .offset:         104
        .size:           8
        .value_kind:     hidden_global_offset_y
      - .offset:         112
        .size:           8
        .value_kind:     hidden_global_offset_z
      - .offset:         120
        .size:           2
        .value_kind:     hidden_grid_dims
    .group_segment_fixed_size: 0
    .kernarg_segment_align: 8
    .kernarg_segment_size: 312
    .language:       OpenCL C
    .language_version:
      - 2
      - 0
    .max_flat_workgroup_size: 512
    .name:           _ZN2at6native39vectorized_templated_elementwise_kernelILi8EZZZNS0_12prelu_kernelERNS_14TensorIteratorEENKUlvE_clEvENKUlvE0_clEvEUlffE_St5arrayIPcLm3EE23TrivialOffsetCalculatorILi2EjESA_ILi1EjENS0_6memory12LoadWithCastILi2EEENSD_13StoreWithCastILi1EEEfJfN3c104HalfEEEEviT0_T1_T2_T3_T4_T5_
    .private_segment_fixed_size: 272
    .sgpr_count:     98
    .sgpr_spill_count: 0
    .symbol:         _ZN2at6native39vectorized_templated_elementwise_kernelILi8EZZZNS0_12prelu_kernelERNS_14TensorIteratorEENKUlvE_clEvENKUlvE0_clEvEUlffE_St5arrayIPcLm3EE23TrivialOffsetCalculatorILi2EjESA_ILi1EjENS0_6memory12LoadWithCastILi2EEENSD_13StoreWithCastILi1EEEfJfN3c104HalfEEEEviT0_T1_T2_T3_T4_T5_.kd
    .uniform_work_group_size: 1
    .uses_dynamic_stack: false
    .vgpr_count:     120
    .vgpr_spill_count: 0
    .wavefront_size: 32
  - .args:
      - .offset:         0
        .size:           4
        .value_kind:     by_value
      - .offset:         4
        .size:           1
        .value_kind:     by_value
      - .offset:         8
        .size:           24
        .value_kind:     by_value
      - .offset:         32
        .size:           1
        .value_kind:     by_value
      - .offset:         33
        .size:           1
        .value_kind:     by_value
      - .offset:         36
        .size:           12
        .value_kind:     by_value
      - .offset:         48
        .size:           8
        .value_kind:     by_value
      - .offset:         56
        .size:           4
        .value_kind:     hidden_block_count_x
      - .offset:         60
        .size:           4
        .value_kind:     hidden_block_count_y
      - .offset:         64
        .size:           4
        .value_kind:     hidden_block_count_z
      - .offset:         68
        .size:           2
        .value_kind:     hidden_group_size_x
      - .offset:         70
        .size:           2
        .value_kind:     hidden_group_size_y
      - .offset:         72
        .size:           2
        .value_kind:     hidden_group_size_z
      - .offset:         74
        .size:           2
        .value_kind:     hidden_remainder_x
      - .offset:         76
        .size:           2
        .value_kind:     hidden_remainder_y
      - .offset:         78
        .size:           2
        .value_kind:     hidden_remainder_z
      - .offset:         96
        .size:           8
        .value_kind:     hidden_global_offset_x
      - .offset:         104
        .size:           8
        .value_kind:     hidden_global_offset_y
      - .offset:         112
        .size:           8
        .value_kind:     hidden_global_offset_z
      - .offset:         120
        .size:           2
        .value_kind:     hidden_grid_dims
    .group_segment_fixed_size: 0
    .kernarg_segment_align: 8
    .kernarg_segment_size: 312
    .language:       OpenCL C
    .language_version:
      - 2
      - 0
    .max_flat_workgroup_size: 512
    .name:           _ZN2at6native39vectorized_templated_elementwise_kernelILi4EZZZNS0_12prelu_kernelERNS_14TensorIteratorEENKUlvE_clEvENKUlvE0_clEvEUlffE_St5arrayIPcLm3EE23TrivialOffsetCalculatorILi2EjESA_ILi1EjENS0_6memory12LoadWithCastILi2EEENSD_13StoreWithCastILi1EEEfJfN3c104HalfEEEEviT0_T1_T2_T3_T4_T5_
    .private_segment_fixed_size: 272
    .sgpr_count:     98
    .sgpr_spill_count: 0
    .symbol:         _ZN2at6native39vectorized_templated_elementwise_kernelILi4EZZZNS0_12prelu_kernelERNS_14TensorIteratorEENKUlvE_clEvENKUlvE0_clEvEUlffE_St5arrayIPcLm3EE23TrivialOffsetCalculatorILi2EjESA_ILi1EjENS0_6memory12LoadWithCastILi2EEENSD_13StoreWithCastILi1EEEfJfN3c104HalfEEEEviT0_T1_T2_T3_T4_T5_.kd
    .uniform_work_group_size: 1
    .uses_dynamic_stack: false
    .vgpr_count:     120
    .vgpr_spill_count: 0
    .wavefront_size: 32
  - .args:
      - .offset:         0
        .size:           4
        .value_kind:     by_value
      - .offset:         4
        .size:           1
        .value_kind:     by_value
      - .offset:         8
        .size:           24
        .value_kind:     by_value
      - .offset:         32
        .size:           1
        .value_kind:     by_value
      - .offset:         33
        .size:           1
        .value_kind:     by_value
      - .offset:         36
        .size:           12
        .value_kind:     by_value
      - .offset:         48
        .size:           8
        .value_kind:     by_value
      - .offset:         56
        .size:           4
        .value_kind:     hidden_block_count_x
      - .offset:         60
        .size:           4
        .value_kind:     hidden_block_count_y
      - .offset:         64
        .size:           4
        .value_kind:     hidden_block_count_z
      - .offset:         68
        .size:           2
        .value_kind:     hidden_group_size_x
      - .offset:         70
        .size:           2
        .value_kind:     hidden_group_size_y
      - .offset:         72
        .size:           2
        .value_kind:     hidden_group_size_z
      - .offset:         74
        .size:           2
        .value_kind:     hidden_remainder_x
      - .offset:         76
        .size:           2
        .value_kind:     hidden_remainder_y
      - .offset:         78
        .size:           2
        .value_kind:     hidden_remainder_z
      - .offset:         96
        .size:           8
        .value_kind:     hidden_global_offset_x
      - .offset:         104
        .size:           8
        .value_kind:     hidden_global_offset_y
      - .offset:         112
        .size:           8
        .value_kind:     hidden_global_offset_z
      - .offset:         120
        .size:           2
        .value_kind:     hidden_grid_dims
    .group_segment_fixed_size: 0
    .kernarg_segment_align: 8
    .kernarg_segment_size: 312
    .language:       OpenCL C
    .language_version:
      - 2
      - 0
    .max_flat_workgroup_size: 512
    .name:           _ZN2at6native39vectorized_templated_elementwise_kernelILi2EZZZNS0_12prelu_kernelERNS_14TensorIteratorEENKUlvE_clEvENKUlvE0_clEvEUlffE_St5arrayIPcLm3EE23TrivialOffsetCalculatorILi2EjESA_ILi1EjENS0_6memory12LoadWithCastILi2EEENSD_13StoreWithCastILi1EEEfJfN3c104HalfEEEEviT0_T1_T2_T3_T4_T5_
    .private_segment_fixed_size: 272
    .sgpr_count:     98
    .sgpr_spill_count: 0
    .symbol:         _ZN2at6native39vectorized_templated_elementwise_kernelILi2EZZZNS0_12prelu_kernelERNS_14TensorIteratorEENKUlvE_clEvENKUlvE0_clEvEUlffE_St5arrayIPcLm3EE23TrivialOffsetCalculatorILi2EjESA_ILi1EjENS0_6memory12LoadWithCastILi2EEENSD_13StoreWithCastILi1EEEfJfN3c104HalfEEEEviT0_T1_T2_T3_T4_T5_.kd
    .uniform_work_group_size: 1
    .uses_dynamic_stack: false
    .vgpr_count:     120
    .vgpr_spill_count: 0
    .wavefront_size: 32
  - .args:
      - .offset:         0
        .size:           4
        .value_kind:     by_value
      - .offset:         4
        .size:           1
        .value_kind:     by_value
      - .offset:         8
        .size:           24
        .value_kind:     by_value
      - .offset:         32
        .size:           1
        .value_kind:     by_value
      - .offset:         33
        .size:           1
        .value_kind:     by_value
      - .offset:         36
        .size:           12
        .value_kind:     by_value
      - .offset:         48
        .size:           8
        .value_kind:     by_value
      - .offset:         56
        .size:           4
        .value_kind:     hidden_block_count_x
      - .offset:         60
        .size:           4
        .value_kind:     hidden_block_count_y
      - .offset:         64
        .size:           4
        .value_kind:     hidden_block_count_z
      - .offset:         68
        .size:           2
        .value_kind:     hidden_group_size_x
      - .offset:         70
        .size:           2
        .value_kind:     hidden_group_size_y
      - .offset:         72
        .size:           2
        .value_kind:     hidden_group_size_z
      - .offset:         74
        .size:           2
        .value_kind:     hidden_remainder_x
      - .offset:         76
        .size:           2
        .value_kind:     hidden_remainder_y
      - .offset:         78
        .size:           2
        .value_kind:     hidden_remainder_z
      - .offset:         96
        .size:           8
        .value_kind:     hidden_global_offset_x
      - .offset:         104
        .size:           8
        .value_kind:     hidden_global_offset_y
      - .offset:         112
        .size:           8
        .value_kind:     hidden_global_offset_z
      - .offset:         120
        .size:           2
        .value_kind:     hidden_grid_dims
    .group_segment_fixed_size: 0
    .kernarg_segment_align: 8
    .kernarg_segment_size: 312
    .language:       OpenCL C
    .language_version:
      - 2
      - 0
    .max_flat_workgroup_size: 512
    .name:           _ZN2at6native39vectorized_templated_elementwise_kernelILi8EZZZNS0_12prelu_kernelERNS_14TensorIteratorEENKUlvE_clEvENKUlvE0_clEvEUlffE_St5arrayIPcLm3EE23TrivialOffsetCalculatorILi2EjESA_ILi1EjENS0_6memory12LoadWithCastILi2EEENSD_13StoreWithCastILi1EEEfJN3c104HalfEfEEEviT0_T1_T2_T3_T4_T5_
    .private_segment_fixed_size: 272
    .sgpr_count:     98
    .sgpr_spill_count: 0
    .symbol:         _ZN2at6native39vectorized_templated_elementwise_kernelILi8EZZZNS0_12prelu_kernelERNS_14TensorIteratorEENKUlvE_clEvENKUlvE0_clEvEUlffE_St5arrayIPcLm3EE23TrivialOffsetCalculatorILi2EjESA_ILi1EjENS0_6memory12LoadWithCastILi2EEENSD_13StoreWithCastILi1EEEfJN3c104HalfEfEEEviT0_T1_T2_T3_T4_T5_.kd
    .uniform_work_group_size: 1
    .uses_dynamic_stack: false
    .vgpr_count:     120
    .vgpr_spill_count: 0
    .wavefront_size: 32
  - .args:
      - .offset:         0
        .size:           4
        .value_kind:     by_value
      - .offset:         4
        .size:           1
        .value_kind:     by_value
      - .offset:         8
        .size:           24
        .value_kind:     by_value
      - .offset:         32
        .size:           1
        .value_kind:     by_value
      - .offset:         33
        .size:           1
        .value_kind:     by_value
      - .offset:         36
        .size:           12
        .value_kind:     by_value
      - .offset:         48
        .size:           8
        .value_kind:     by_value
      - .offset:         56
        .size:           4
        .value_kind:     hidden_block_count_x
      - .offset:         60
        .size:           4
        .value_kind:     hidden_block_count_y
      - .offset:         64
        .size:           4
        .value_kind:     hidden_block_count_z
      - .offset:         68
        .size:           2
        .value_kind:     hidden_group_size_x
      - .offset:         70
        .size:           2
        .value_kind:     hidden_group_size_y
      - .offset:         72
        .size:           2
        .value_kind:     hidden_group_size_z
      - .offset:         74
        .size:           2
        .value_kind:     hidden_remainder_x
      - .offset:         76
        .size:           2
        .value_kind:     hidden_remainder_y
      - .offset:         78
        .size:           2
        .value_kind:     hidden_remainder_z
      - .offset:         96
        .size:           8
        .value_kind:     hidden_global_offset_x
      - .offset:         104
        .size:           8
        .value_kind:     hidden_global_offset_y
      - .offset:         112
        .size:           8
        .value_kind:     hidden_global_offset_z
      - .offset:         120
        .size:           2
        .value_kind:     hidden_grid_dims
    .group_segment_fixed_size: 0
    .kernarg_segment_align: 8
    .kernarg_segment_size: 312
    .language:       OpenCL C
    .language_version:
      - 2
      - 0
    .max_flat_workgroup_size: 512
    .name:           _ZN2at6native39vectorized_templated_elementwise_kernelILi4EZZZNS0_12prelu_kernelERNS_14TensorIteratorEENKUlvE_clEvENKUlvE0_clEvEUlffE_St5arrayIPcLm3EE23TrivialOffsetCalculatorILi2EjESA_ILi1EjENS0_6memory12LoadWithCastILi2EEENSD_13StoreWithCastILi1EEEfJN3c104HalfEfEEEviT0_T1_T2_T3_T4_T5_
    .private_segment_fixed_size: 272
    .sgpr_count:     98
    .sgpr_spill_count: 0
    .symbol:         _ZN2at6native39vectorized_templated_elementwise_kernelILi4EZZZNS0_12prelu_kernelERNS_14TensorIteratorEENKUlvE_clEvENKUlvE0_clEvEUlffE_St5arrayIPcLm3EE23TrivialOffsetCalculatorILi2EjESA_ILi1EjENS0_6memory12LoadWithCastILi2EEENSD_13StoreWithCastILi1EEEfJN3c104HalfEfEEEviT0_T1_T2_T3_T4_T5_.kd
    .uniform_work_group_size: 1
    .uses_dynamic_stack: false
    .vgpr_count:     120
    .vgpr_spill_count: 0
    .wavefront_size: 32
  - .args:
      - .offset:         0
        .size:           4
        .value_kind:     by_value
      - .offset:         4
        .size:           1
        .value_kind:     by_value
      - .offset:         8
        .size:           24
        .value_kind:     by_value
      - .offset:         32
        .size:           1
        .value_kind:     by_value
      - .offset:         33
        .size:           1
        .value_kind:     by_value
      - .offset:         36
        .size:           12
        .value_kind:     by_value
      - .offset:         48
        .size:           8
        .value_kind:     by_value
      - .offset:         56
        .size:           4
        .value_kind:     hidden_block_count_x
      - .offset:         60
        .size:           4
        .value_kind:     hidden_block_count_y
      - .offset:         64
        .size:           4
        .value_kind:     hidden_block_count_z
      - .offset:         68
        .size:           2
        .value_kind:     hidden_group_size_x
      - .offset:         70
        .size:           2
        .value_kind:     hidden_group_size_y
      - .offset:         72
        .size:           2
        .value_kind:     hidden_group_size_z
      - .offset:         74
        .size:           2
        .value_kind:     hidden_remainder_x
      - .offset:         76
        .size:           2
        .value_kind:     hidden_remainder_y
      - .offset:         78
        .size:           2
        .value_kind:     hidden_remainder_z
      - .offset:         96
        .size:           8
        .value_kind:     hidden_global_offset_x
      - .offset:         104
        .size:           8
        .value_kind:     hidden_global_offset_y
      - .offset:         112
        .size:           8
        .value_kind:     hidden_global_offset_z
      - .offset:         120
        .size:           2
        .value_kind:     hidden_grid_dims
    .group_segment_fixed_size: 0
    .kernarg_segment_align: 8
    .kernarg_segment_size: 312
    .language:       OpenCL C
    .language_version:
      - 2
      - 0
    .max_flat_workgroup_size: 512
    .name:           _ZN2at6native39vectorized_templated_elementwise_kernelILi2EZZZNS0_12prelu_kernelERNS_14TensorIteratorEENKUlvE_clEvENKUlvE0_clEvEUlffE_St5arrayIPcLm3EE23TrivialOffsetCalculatorILi2EjESA_ILi1EjENS0_6memory12LoadWithCastILi2EEENSD_13StoreWithCastILi1EEEfJN3c104HalfEfEEEviT0_T1_T2_T3_T4_T5_
    .private_segment_fixed_size: 272
    .sgpr_count:     98
    .sgpr_spill_count: 0
    .symbol:         _ZN2at6native39vectorized_templated_elementwise_kernelILi2EZZZNS0_12prelu_kernelERNS_14TensorIteratorEENKUlvE_clEvENKUlvE0_clEvEUlffE_St5arrayIPcLm3EE23TrivialOffsetCalculatorILi2EjESA_ILi1EjENS0_6memory12LoadWithCastILi2EEENSD_13StoreWithCastILi1EEEfJN3c104HalfEfEEEviT0_T1_T2_T3_T4_T5_.kd
    .uniform_work_group_size: 1
    .uses_dynamic_stack: false
    .vgpr_count:     120
    .vgpr_spill_count: 0
    .wavefront_size: 32
  - .args:
      - .offset:         0
        .size:           4
        .value_kind:     by_value
      - .offset:         4
        .size:           1
        .value_kind:     by_value
      - .offset:         8
        .size:           24
        .value_kind:     by_value
      - .offset:         32
        .size:           1
        .value_kind:     by_value
      - .offset:         33
        .size:           1
        .value_kind:     by_value
      - .offset:         36
        .size:           12
        .value_kind:     by_value
      - .offset:         48
        .size:           8
        .value_kind:     by_value
      - .offset:         56
        .size:           4
        .value_kind:     hidden_block_count_x
      - .offset:         60
        .size:           4
        .value_kind:     hidden_block_count_y
      - .offset:         64
        .size:           4
        .value_kind:     hidden_block_count_z
      - .offset:         68
        .size:           2
        .value_kind:     hidden_group_size_x
      - .offset:         70
        .size:           2
        .value_kind:     hidden_group_size_y
      - .offset:         72
        .size:           2
        .value_kind:     hidden_group_size_z
      - .offset:         74
        .size:           2
        .value_kind:     hidden_remainder_x
      - .offset:         76
        .size:           2
        .value_kind:     hidden_remainder_y
      - .offset:         78
        .size:           2
        .value_kind:     hidden_remainder_z
      - .offset:         96
        .size:           8
        .value_kind:     hidden_global_offset_x
      - .offset:         104
        .size:           8
        .value_kind:     hidden_global_offset_y
      - .offset:         112
        .size:           8
        .value_kind:     hidden_global_offset_z
      - .offset:         120
        .size:           2
        .value_kind:     hidden_grid_dims
    .group_segment_fixed_size: 0
    .kernarg_segment_align: 8
    .kernarg_segment_size: 312
    .language:       OpenCL C
    .language_version:
      - 2
      - 0
    .max_flat_workgroup_size: 512
    .name:           _ZN2at6native39vectorized_templated_elementwise_kernelILi8EZZZNS0_12prelu_kernelERNS_14TensorIteratorEENKUlvE_clEvENKUlvE0_clEvEUlffE_St5arrayIPcLm3EE23TrivialOffsetCalculatorILi2EjESA_ILi1EjENS0_6memory12LoadWithCastILi2EEENSD_13StoreWithCastILi1EEEN3c104HalfEJSJ_fEEEviT0_T1_T2_T3_T4_T5_
    .private_segment_fixed_size: 272
    .sgpr_count:     98
    .sgpr_spill_count: 0
    .symbol:         _ZN2at6native39vectorized_templated_elementwise_kernelILi8EZZZNS0_12prelu_kernelERNS_14TensorIteratorEENKUlvE_clEvENKUlvE0_clEvEUlffE_St5arrayIPcLm3EE23TrivialOffsetCalculatorILi2EjESA_ILi1EjENS0_6memory12LoadWithCastILi2EEENSD_13StoreWithCastILi1EEEN3c104HalfEJSJ_fEEEviT0_T1_T2_T3_T4_T5_.kd
    .uniform_work_group_size: 1
    .uses_dynamic_stack: false
    .vgpr_count:     120
    .vgpr_spill_count: 0
    .wavefront_size: 32
  - .args:
      - .offset:         0
        .size:           4
        .value_kind:     by_value
      - .offset:         4
        .size:           1
        .value_kind:     by_value
      - .offset:         8
        .size:           24
        .value_kind:     by_value
      - .offset:         32
        .size:           1
        .value_kind:     by_value
      - .offset:         33
        .size:           1
        .value_kind:     by_value
      - .offset:         36
        .size:           12
        .value_kind:     by_value
      - .offset:         48
        .size:           8
        .value_kind:     by_value
      - .offset:         56
        .size:           4
        .value_kind:     hidden_block_count_x
      - .offset:         60
        .size:           4
        .value_kind:     hidden_block_count_y
      - .offset:         64
        .size:           4
        .value_kind:     hidden_block_count_z
      - .offset:         68
        .size:           2
        .value_kind:     hidden_group_size_x
      - .offset:         70
        .size:           2
        .value_kind:     hidden_group_size_y
      - .offset:         72
        .size:           2
        .value_kind:     hidden_group_size_z
      - .offset:         74
        .size:           2
        .value_kind:     hidden_remainder_x
      - .offset:         76
        .size:           2
        .value_kind:     hidden_remainder_y
      - .offset:         78
        .size:           2
        .value_kind:     hidden_remainder_z
      - .offset:         96
        .size:           8
        .value_kind:     hidden_global_offset_x
      - .offset:         104
        .size:           8
        .value_kind:     hidden_global_offset_y
      - .offset:         112
        .size:           8
        .value_kind:     hidden_global_offset_z
      - .offset:         120
        .size:           2
        .value_kind:     hidden_grid_dims
    .group_segment_fixed_size: 0
    .kernarg_segment_align: 8
    .kernarg_segment_size: 312
    .language:       OpenCL C
    .language_version:
      - 2
      - 0
    .max_flat_workgroup_size: 512
    .name:           _ZN2at6native39vectorized_templated_elementwise_kernelILi4EZZZNS0_12prelu_kernelERNS_14TensorIteratorEENKUlvE_clEvENKUlvE0_clEvEUlffE_St5arrayIPcLm3EE23TrivialOffsetCalculatorILi2EjESA_ILi1EjENS0_6memory12LoadWithCastILi2EEENSD_13StoreWithCastILi1EEEN3c104HalfEJSJ_fEEEviT0_T1_T2_T3_T4_T5_
    .private_segment_fixed_size: 272
    .sgpr_count:     98
    .sgpr_spill_count: 0
    .symbol:         _ZN2at6native39vectorized_templated_elementwise_kernelILi4EZZZNS0_12prelu_kernelERNS_14TensorIteratorEENKUlvE_clEvENKUlvE0_clEvEUlffE_St5arrayIPcLm3EE23TrivialOffsetCalculatorILi2EjESA_ILi1EjENS0_6memory12LoadWithCastILi2EEENSD_13StoreWithCastILi1EEEN3c104HalfEJSJ_fEEEviT0_T1_T2_T3_T4_T5_.kd
    .uniform_work_group_size: 1
    .uses_dynamic_stack: false
    .vgpr_count:     120
    .vgpr_spill_count: 0
    .wavefront_size: 32
  - .args:
      - .offset:         0
        .size:           4
        .value_kind:     by_value
      - .offset:         4
        .size:           1
        .value_kind:     by_value
      - .offset:         8
        .size:           24
        .value_kind:     by_value
      - .offset:         32
        .size:           1
        .value_kind:     by_value
      - .offset:         33
        .size:           1
        .value_kind:     by_value
      - .offset:         36
        .size:           12
        .value_kind:     by_value
      - .offset:         48
        .size:           8
        .value_kind:     by_value
      - .offset:         56
        .size:           4
        .value_kind:     hidden_block_count_x
      - .offset:         60
        .size:           4
        .value_kind:     hidden_block_count_y
      - .offset:         64
        .size:           4
        .value_kind:     hidden_block_count_z
      - .offset:         68
        .size:           2
        .value_kind:     hidden_group_size_x
      - .offset:         70
        .size:           2
        .value_kind:     hidden_group_size_y
      - .offset:         72
        .size:           2
        .value_kind:     hidden_group_size_z
      - .offset:         74
        .size:           2
        .value_kind:     hidden_remainder_x
      - .offset:         76
        .size:           2
        .value_kind:     hidden_remainder_y
      - .offset:         78
        .size:           2
        .value_kind:     hidden_remainder_z
      - .offset:         96
        .size:           8
        .value_kind:     hidden_global_offset_x
      - .offset:         104
        .size:           8
        .value_kind:     hidden_global_offset_y
      - .offset:         112
        .size:           8
        .value_kind:     hidden_global_offset_z
      - .offset:         120
        .size:           2
        .value_kind:     hidden_grid_dims
    .group_segment_fixed_size: 0
    .kernarg_segment_align: 8
    .kernarg_segment_size: 312
    .language:       OpenCL C
    .language_version:
      - 2
      - 0
    .max_flat_workgroup_size: 512
    .name:           _ZN2at6native39vectorized_templated_elementwise_kernelILi2EZZZNS0_12prelu_kernelERNS_14TensorIteratorEENKUlvE_clEvENKUlvE0_clEvEUlffE_St5arrayIPcLm3EE23TrivialOffsetCalculatorILi2EjESA_ILi1EjENS0_6memory12LoadWithCastILi2EEENSD_13StoreWithCastILi1EEEN3c104HalfEJSJ_fEEEviT0_T1_T2_T3_T4_T5_
    .private_segment_fixed_size: 272
    .sgpr_count:     98
    .sgpr_spill_count: 0
    .symbol:         _ZN2at6native39vectorized_templated_elementwise_kernelILi2EZZZNS0_12prelu_kernelERNS_14TensorIteratorEENKUlvE_clEvENKUlvE0_clEvEUlffE_St5arrayIPcLm3EE23TrivialOffsetCalculatorILi2EjESA_ILi1EjENS0_6memory12LoadWithCastILi2EEENSD_13StoreWithCastILi1EEEN3c104HalfEJSJ_fEEEviT0_T1_T2_T3_T4_T5_.kd
    .uniform_work_group_size: 1
    .uses_dynamic_stack: false
    .vgpr_count:     120
    .vgpr_spill_count: 0
    .wavefront_size: 32
  - .args:
      - .offset:         0
        .size:           4
        .value_kind:     by_value
      - .offset:         8
        .size:           40
        .value_kind:     by_value
    .group_segment_fixed_size: 0
    .kernarg_segment_align: 8
    .kernarg_segment_size: 48
    .language:       OpenCL C
    .language_version:
      - 2
      - 0
    .max_flat_workgroup_size: 128
    .name:           _ZN2at6native32elementwise_kernel_manual_unrollILi128ELi4EZNS0_15gpu_kernel_implIZZZNS0_12prelu_kernelERNS_14TensorIteratorEENKUlvE_clEvENKUlvE0_clEvEUlffE_EEvRNS_18TensorIteratorBaseERKT_EUlibE_EEviT1_
    .private_segment_fixed_size: 0
    .sgpr_count:     37
    .sgpr_spill_count: 0
    .symbol:         _ZN2at6native32elementwise_kernel_manual_unrollILi128ELi4EZNS0_15gpu_kernel_implIZZZNS0_12prelu_kernelERNS_14TensorIteratorEENKUlvE_clEvENKUlvE0_clEvEUlffE_EEvRNS_18TensorIteratorBaseERKT_EUlibE_EEviT1_.kd
    .uniform_work_group_size: 1
    .uses_dynamic_stack: false
    .vgpr_count:     20
    .vgpr_spill_count: 0
    .wavefront_size: 32
  - .args:
      - .offset:         0
        .size:           4
        .value_kind:     by_value
      - .offset:         8
        .size:           424
        .value_kind:     by_value
    .group_segment_fixed_size: 0
    .kernarg_segment_align: 8
    .kernarg_segment_size: 432
    .language:       OpenCL C
    .language_version:
      - 2
      - 0
    .max_flat_workgroup_size: 128
    .name:           _ZN2at6native32elementwise_kernel_manual_unrollILi128ELi4EZNS0_12_GLOBAL__N_142type_specialized_broadcast_kernel_launcherILi0EE5applyIZZZNS0_12prelu_kernelERNS_14TensorIteratorEENKUlvE_clEvENKUlvE0_clEvEUlffE_St5arrayIPcLm3EESB_IN3c1010ScalarTypeELm3EE16OffsetCalculatorILi3EjLb0EEEEvlT_T0_T1_T2_EUlibE_EEviSL_
    .private_segment_fixed_size: 0
    .sgpr_count:     48
    .sgpr_spill_count: 0
    .symbol:         _ZN2at6native32elementwise_kernel_manual_unrollILi128ELi4EZNS0_12_GLOBAL__N_142type_specialized_broadcast_kernel_launcherILi0EE5applyIZZZNS0_12prelu_kernelERNS_14TensorIteratorEENKUlvE_clEvENKUlvE0_clEvEUlffE_St5arrayIPcLm3EESB_IN3c1010ScalarTypeELm3EE16OffsetCalculatorILi3EjLb0EEEEvlT_T0_T1_T2_EUlibE_EEviSL_.kd
    .uniform_work_group_size: 1
    .uses_dynamic_stack: false
    .vgpr_count:     20
    .vgpr_spill_count: 0
    .wavefront_size: 32
  - .args:
      - .offset:         0
        .size:           4
        .value_kind:     by_value
      - .offset:         8
        .size:           424
        .value_kind:     by_value
    .group_segment_fixed_size: 0
    .kernarg_segment_align: 8
    .kernarg_segment_size: 432
    .language:       OpenCL C
    .language_version:
      - 2
      - 0
    .max_flat_workgroup_size: 128
    .name:           _ZN2at6native32elementwise_kernel_manual_unrollILi128ELi4EZNS0_12_GLOBAL__N_142type_specialized_broadcast_kernel_launcherILi1EE5applyIZZZNS0_12prelu_kernelERNS_14TensorIteratorEENKUlvE_clEvENKUlvE0_clEvEUlffE_St5arrayIPcLm3EESB_IN3c1010ScalarTypeELm3EE16OffsetCalculatorILi3EjLb0EEEEvlT_T0_T1_T2_EUlibE_EEviSL_
    .private_segment_fixed_size: 0
    .sgpr_count:     48
    .sgpr_spill_count: 0
    .symbol:         _ZN2at6native32elementwise_kernel_manual_unrollILi128ELi4EZNS0_12_GLOBAL__N_142type_specialized_broadcast_kernel_launcherILi1EE5applyIZZZNS0_12prelu_kernelERNS_14TensorIteratorEENKUlvE_clEvENKUlvE0_clEvEUlffE_St5arrayIPcLm3EESB_IN3c1010ScalarTypeELm3EE16OffsetCalculatorILi3EjLb0EEEEvlT_T0_T1_T2_EUlibE_EEviSL_.kd
    .uniform_work_group_size: 1
    .uses_dynamic_stack: false
    .vgpr_count:     20
    .vgpr_spill_count: 0
    .wavefront_size: 32
  - .args:
      - .offset:         0
        .size:           4
        .value_kind:     by_value
      - .offset:         8
        .size:           424
        .value_kind:     by_value
    .group_segment_fixed_size: 0
    .kernarg_segment_align: 8
    .kernarg_segment_size: 432
    .language:       OpenCL C
    .language_version:
      - 2
      - 0
    .max_flat_workgroup_size: 128
    .name:           _ZN2at6native32elementwise_kernel_manual_unrollILi128ELi4EZNS0_12_GLOBAL__N_142type_specialized_broadcast_kernel_launcherILi2EE5applyIZZZNS0_12prelu_kernelERNS_14TensorIteratorEENKUlvE_clEvENKUlvE0_clEvEUlffE_St5arrayIPcLm3EESB_IN3c1010ScalarTypeELm3EE16OffsetCalculatorILi3EjLb0EEEEvlT_T0_T1_T2_EUlibE_EEviSL_
    .private_segment_fixed_size: 0
    .sgpr_count:     48
    .sgpr_spill_count: 0
    .symbol:         _ZN2at6native32elementwise_kernel_manual_unrollILi128ELi4EZNS0_12_GLOBAL__N_142type_specialized_broadcast_kernel_launcherILi2EE5applyIZZZNS0_12prelu_kernelERNS_14TensorIteratorEENKUlvE_clEvENKUlvE0_clEvEUlffE_St5arrayIPcLm3EESB_IN3c1010ScalarTypeELm3EE16OffsetCalculatorILi3EjLb0EEEEvlT_T0_T1_T2_EUlibE_EEviSL_.kd
    .uniform_work_group_size: 1
    .uses_dynamic_stack: false
    .vgpr_count:     20
    .vgpr_spill_count: 0
    .wavefront_size: 32
  - .args:
      - .offset:         0
        .size:           4
        .value_kind:     by_value
      - .offset:         8
        .size:           424
        .value_kind:     by_value
    .group_segment_fixed_size: 0
    .kernarg_segment_align: 8
    .kernarg_segment_size: 432
    .language:       OpenCL C
    .language_version:
      - 2
      - 0
    .max_flat_workgroup_size: 128
    .name:           _ZN2at6native32elementwise_kernel_manual_unrollILi128ELi4EZNS0_12_GLOBAL__N_142type_specialized_broadcast_kernel_launcherILi3EE5applyIZZZNS0_12prelu_kernelERNS_14TensorIteratorEENKUlvE_clEvENKUlvE0_clEvEUlffE_St5arrayIPcLm3EESB_IN3c1010ScalarTypeELm3EE16OffsetCalculatorILi3EjLb0EEEEvlT_T0_T1_T2_EUlibE_EEviSL_
    .private_segment_fixed_size: 0
    .sgpr_count:     48
    .sgpr_spill_count: 0
    .symbol:         _ZN2at6native32elementwise_kernel_manual_unrollILi128ELi4EZNS0_12_GLOBAL__N_142type_specialized_broadcast_kernel_launcherILi3EE5applyIZZZNS0_12prelu_kernelERNS_14TensorIteratorEENKUlvE_clEvENKUlvE0_clEvEUlffE_St5arrayIPcLm3EESB_IN3c1010ScalarTypeELm3EE16OffsetCalculatorILi3EjLb0EEEEvlT_T0_T1_T2_EUlibE_EEviSL_.kd
    .uniform_work_group_size: 1
    .uses_dynamic_stack: false
    .vgpr_count:     20
    .vgpr_spill_count: 0
    .wavefront_size: 32
  - .args:
      - .offset:         0
        .size:           4
        .value_kind:     by_value
      - .offset:         8
        .size:           424
        .value_kind:     by_value
    .group_segment_fixed_size: 0
    .kernarg_segment_align: 8
    .kernarg_segment_size: 432
    .language:       OpenCL C
    .language_version:
      - 2
      - 0
    .max_flat_workgroup_size: 128
    .name:           _ZN2at6native32elementwise_kernel_manual_unrollILi128ELi4EZNS0_12_GLOBAL__N_142type_specialized_broadcast_kernel_launcherILi4EE5applyIZZZNS0_12prelu_kernelERNS_14TensorIteratorEENKUlvE_clEvENKUlvE0_clEvEUlffE_St5arrayIPcLm3EESB_IN3c1010ScalarTypeELm3EE16OffsetCalculatorILi3EjLb0EEEEvlT_T0_T1_T2_EUlibE_EEviSL_
    .private_segment_fixed_size: 0
    .sgpr_count:     48
    .sgpr_spill_count: 0
    .symbol:         _ZN2at6native32elementwise_kernel_manual_unrollILi128ELi4EZNS0_12_GLOBAL__N_142type_specialized_broadcast_kernel_launcherILi4EE5applyIZZZNS0_12prelu_kernelERNS_14TensorIteratorEENKUlvE_clEvENKUlvE0_clEvEUlffE_St5arrayIPcLm3EESB_IN3c1010ScalarTypeELm3EE16OffsetCalculatorILi3EjLb0EEEEvlT_T0_T1_T2_EUlibE_EEviSL_.kd
    .uniform_work_group_size: 1
    .uses_dynamic_stack: false
    .vgpr_count:     20
    .vgpr_spill_count: 0
    .wavefront_size: 32
  - .args:
      - .offset:         0
        .size:           4
        .value_kind:     by_value
      - .offset:         8
        .size:           424
        .value_kind:     by_value
    .group_segment_fixed_size: 0
    .kernarg_segment_align: 8
    .kernarg_segment_size: 432
    .language:       OpenCL C
    .language_version:
      - 2
      - 0
    .max_flat_workgroup_size: 128
    .name:           _ZN2at6native32elementwise_kernel_manual_unrollILi128ELi4EZNS0_12_GLOBAL__N_142type_specialized_broadcast_kernel_launcherILi5EE5applyIZZZNS0_12prelu_kernelERNS_14TensorIteratorEENKUlvE_clEvENKUlvE0_clEvEUlffE_St5arrayIPcLm3EESB_IN3c1010ScalarTypeELm3EE16OffsetCalculatorILi3EjLb0EEEEvlT_T0_T1_T2_EUlibE_EEviSL_
    .private_segment_fixed_size: 0
    .sgpr_count:     48
    .sgpr_spill_count: 0
    .symbol:         _ZN2at6native32elementwise_kernel_manual_unrollILi128ELi4EZNS0_12_GLOBAL__N_142type_specialized_broadcast_kernel_launcherILi5EE5applyIZZZNS0_12prelu_kernelERNS_14TensorIteratorEENKUlvE_clEvENKUlvE0_clEvEUlffE_St5arrayIPcLm3EESB_IN3c1010ScalarTypeELm3EE16OffsetCalculatorILi3EjLb0EEEEvlT_T0_T1_T2_EUlibE_EEviSL_.kd
    .uniform_work_group_size: 1
    .uses_dynamic_stack: false
    .vgpr_count:     20
    .vgpr_spill_count: 0
    .wavefront_size: 32
  - .args:
      - .offset:         0
        .size:           4
        .value_kind:     by_value
      - .offset:         8
        .size:           424
        .value_kind:     by_value
    .group_segment_fixed_size: 0
    .kernarg_segment_align: 8
    .kernarg_segment_size: 432
    .language:       OpenCL C
    .language_version:
      - 2
      - 0
    .max_flat_workgroup_size: 128
    .name:           _ZN2at6native32elementwise_kernel_manual_unrollILi128ELi4EZNS0_15gpu_kernel_implIZZZNS0_12prelu_kernelERNS_14TensorIteratorEENKUlvE_clEvENKUlvE0_clEvEUlffE_EEvRNS_18TensorIteratorBaseERKT_EUlibE0_EEviT1_
    .private_segment_fixed_size: 0
    .sgpr_count:     62
    .sgpr_spill_count: 0
    .symbol:         _ZN2at6native32elementwise_kernel_manual_unrollILi128ELi4EZNS0_15gpu_kernel_implIZZZNS0_12prelu_kernelERNS_14TensorIteratorEENKUlvE_clEvENKUlvE0_clEvEUlffE_EEvRNS_18TensorIteratorBaseERKT_EUlibE0_EEviT1_.kd
    .uniform_work_group_size: 1
    .uses_dynamic_stack: false
    .vgpr_count:     26
    .vgpr_spill_count: 0
    .wavefront_size: 32
  - .args:
      - .offset:         0
        .size:           4
        .value_kind:     by_value
      - .offset:         4
        .size:           1
        .value_kind:     by_value
      - .offset:         8
        .size:           24
        .value_kind:     by_value
    .group_segment_fixed_size: 0
    .kernarg_segment_align: 8
    .kernarg_segment_size: 32
    .language:       OpenCL C
    .language_version:
      - 2
      - 0
    .max_flat_workgroup_size: 256
    .name:           _ZN2at6native29vectorized_elementwise_kernelILi16EZZZNS0_12prelu_kernelERNS_14TensorIteratorEENKUlvE_clEvENKUlvE1_clEvEUlN3c108BFloat16ES7_E_St5arrayIPcLm3EEEEviT0_T1_
    .private_segment_fixed_size: 0
    .sgpr_count:     15
    .sgpr_spill_count: 0
    .symbol:         _ZN2at6native29vectorized_elementwise_kernelILi16EZZZNS0_12prelu_kernelERNS_14TensorIteratorEENKUlvE_clEvENKUlvE1_clEvEUlN3c108BFloat16ES7_E_St5arrayIPcLm3EEEEviT0_T1_.kd
    .uniform_work_group_size: 1
    .uses_dynamic_stack: false
    .vgpr_count:     20
    .vgpr_spill_count: 0
    .wavefront_size: 32
  - .args:
      - .offset:         0
        .size:           4
        .value_kind:     by_value
      - .offset:         4
        .size:           1
        .value_kind:     by_value
      - .offset:         8
        .size:           24
        .value_kind:     by_value
    .group_segment_fixed_size: 0
    .kernarg_segment_align: 8
    .kernarg_segment_size: 32
    .language:       OpenCL C
    .language_version:
      - 2
      - 0
    .max_flat_workgroup_size: 256
    .name:           _ZN2at6native29vectorized_elementwise_kernelILi8EZZZNS0_12prelu_kernelERNS_14TensorIteratorEENKUlvE_clEvENKUlvE1_clEvEUlN3c108BFloat16ES7_E_St5arrayIPcLm3EEEEviT0_T1_
    .private_segment_fixed_size: 0
    .sgpr_count:     15
    .sgpr_spill_count: 0
    .symbol:         _ZN2at6native29vectorized_elementwise_kernelILi8EZZZNS0_12prelu_kernelERNS_14TensorIteratorEENKUlvE_clEvENKUlvE1_clEvEUlN3c108BFloat16ES7_E_St5arrayIPcLm3EEEEviT0_T1_.kd
    .uniform_work_group_size: 1
    .uses_dynamic_stack: false
    .vgpr_count:     20
    .vgpr_spill_count: 0
    .wavefront_size: 32
  - .args:
      - .offset:         0
        .size:           4
        .value_kind:     by_value
      - .offset:         4
        .size:           1
        .value_kind:     by_value
      - .offset:         8
        .size:           24
        .value_kind:     by_value
    .group_segment_fixed_size: 0
    .kernarg_segment_align: 8
    .kernarg_segment_size: 32
    .language:       OpenCL C
    .language_version:
      - 2
      - 0
    .max_flat_workgroup_size: 256
    .name:           _ZN2at6native29vectorized_elementwise_kernelILi4EZZZNS0_12prelu_kernelERNS_14TensorIteratorEENKUlvE_clEvENKUlvE1_clEvEUlN3c108BFloat16ES7_E_St5arrayIPcLm3EEEEviT0_T1_
    .private_segment_fixed_size: 0
    .sgpr_count:     18
    .sgpr_spill_count: 0
    .symbol:         _ZN2at6native29vectorized_elementwise_kernelILi4EZZZNS0_12prelu_kernelERNS_14TensorIteratorEENKUlvE_clEvENKUlvE1_clEvEUlN3c108BFloat16ES7_E_St5arrayIPcLm3EEEEviT0_T1_.kd
    .uniform_work_group_size: 1
    .uses_dynamic_stack: false
    .vgpr_count:     20
    .vgpr_spill_count: 0
    .wavefront_size: 32
  - .args:
      - .offset:         0
        .size:           4
        .value_kind:     by_value
      - .offset:         4
        .size:           1
        .value_kind:     by_value
      - .offset:         8
        .size:           24
        .value_kind:     by_value
    .group_segment_fixed_size: 0
    .kernarg_segment_align: 8
    .kernarg_segment_size: 32
    .language:       OpenCL C
    .language_version:
      - 2
      - 0
    .max_flat_workgroup_size: 256
    .name:           _ZN2at6native29vectorized_elementwise_kernelILi2EZZZNS0_12prelu_kernelERNS_14TensorIteratorEENKUlvE_clEvENKUlvE1_clEvEUlN3c108BFloat16ES7_E_St5arrayIPcLm3EEEEviT0_T1_
    .private_segment_fixed_size: 0
    .sgpr_count:     18
    .sgpr_spill_count: 0
    .symbol:         _ZN2at6native29vectorized_elementwise_kernelILi2EZZZNS0_12prelu_kernelERNS_14TensorIteratorEENKUlvE_clEvENKUlvE1_clEvEUlN3c108BFloat16ES7_E_St5arrayIPcLm3EEEEviT0_T1_.kd
    .uniform_work_group_size: 1
    .uses_dynamic_stack: false
    .vgpr_count:     20
    .vgpr_spill_count: 0
    .wavefront_size: 32
  - .args:
      - .offset:         0
        .size:           4
        .value_kind:     by_value
      - .offset:         4
        .size:           1
        .value_kind:     by_value
      - .offset:         8
        .size:           24
        .value_kind:     by_value
      - .offset:         32
        .size:           1
        .value_kind:     by_value
      - .offset:         33
        .size:           1
        .value_kind:     by_value
      - .offset:         34
        .size:           1
        .value_kind:     by_value
      - .offset:         35
        .size:           1
        .value_kind:     by_value
    .group_segment_fixed_size: 0
    .kernarg_segment_align: 8
    .kernarg_segment_size: 36
    .language:       OpenCL C
    .language_version:
      - 2
      - 0
    .max_flat_workgroup_size: 256
    .name:           _ZN2at6native27unrolled_elementwise_kernelIZZZNS0_12prelu_kernelERNS_14TensorIteratorEENKUlvE_clEvENKUlvE1_clEvEUlN3c108BFloat16ES7_E_St5arrayIPcLm3EELi4E23TrivialOffsetCalculatorILi2EjESC_ILi1EjENS0_6memory15LoadWithoutCastENSF_16StoreWithoutCastEEEviT_T0_T2_T3_T4_T5_
    .private_segment_fixed_size: 0
    .sgpr_count:     13
    .sgpr_spill_count: 0
    .symbol:         _ZN2at6native27unrolled_elementwise_kernelIZZZNS0_12prelu_kernelERNS_14TensorIteratorEENKUlvE_clEvENKUlvE1_clEvEUlN3c108BFloat16ES7_E_St5arrayIPcLm3EELi4E23TrivialOffsetCalculatorILi2EjESC_ILi1EjENS0_6memory15LoadWithoutCastENSF_16StoreWithoutCastEEEviT_T0_T2_T3_T4_T5_.kd
    .uniform_work_group_size: 1
    .uses_dynamic_stack: false
    .vgpr_count:     12
    .vgpr_spill_count: 0
    .wavefront_size: 32
  - .args:
      - .offset:         0
        .size:           4
        .value_kind:     by_value
      - .offset:         8
        .size:           424
        .value_kind:     by_value
    .group_segment_fixed_size: 0
    .kernarg_segment_align: 8
    .kernarg_segment_size: 432
    .language:       OpenCL C
    .language_version:
      - 2
      - 0
    .max_flat_workgroup_size: 128
    .name:           _ZN2at6native32elementwise_kernel_manual_unrollILi128ELi8EZNS0_22gpu_kernel_impl_nocastIZZZNS0_12prelu_kernelERNS_14TensorIteratorEENKUlvE_clEvENKUlvE1_clEvEUlN3c108BFloat16ES8_E_EEvRNS_18TensorIteratorBaseERKT_EUlibE_EEviT1_
    .private_segment_fixed_size: 0
    .sgpr_count:     48
    .sgpr_spill_count: 0
    .symbol:         _ZN2at6native32elementwise_kernel_manual_unrollILi128ELi8EZNS0_22gpu_kernel_impl_nocastIZZZNS0_12prelu_kernelERNS_14TensorIteratorEENKUlvE_clEvENKUlvE1_clEvEUlN3c108BFloat16ES8_E_EEvRNS_18TensorIteratorBaseERKT_EUlibE_EEviT1_.kd
    .uniform_work_group_size: 1
    .uses_dynamic_stack: false
    .vgpr_count:     29
    .vgpr_spill_count: 0
    .wavefront_size: 32
  - .args:
      - .offset:         0
        .size:           4
        .value_kind:     by_value
      - .offset:         8
        .size:           40
        .value_kind:     by_value
    .group_segment_fixed_size: 0
    .kernarg_segment_align: 8
    .kernarg_segment_size: 48
    .language:       OpenCL C
    .language_version:
      - 2
      - 0
    .max_flat_workgroup_size: 128
    .name:           _ZN2at6native32elementwise_kernel_manual_unrollILi128ELi4EZNS0_15gpu_kernel_implIZZZNS0_12prelu_kernelERNS_14TensorIteratorEENKUlvE_clEvENKUlvE1_clEvEUlN3c108BFloat16ES8_E_EEvRNS_18TensorIteratorBaseERKT_EUlibE_EEviT1_
    .private_segment_fixed_size: 0
    .sgpr_count:     37
    .sgpr_spill_count: 0
    .symbol:         _ZN2at6native32elementwise_kernel_manual_unrollILi128ELi4EZNS0_15gpu_kernel_implIZZZNS0_12prelu_kernelERNS_14TensorIteratorEENKUlvE_clEvENKUlvE1_clEvEUlN3c108BFloat16ES8_E_EEvRNS_18TensorIteratorBaseERKT_EUlibE_EEviT1_.kd
    .uniform_work_group_size: 1
    .uses_dynamic_stack: false
    .vgpr_count:     14
    .vgpr_spill_count: 0
    .wavefront_size: 32
  - .args:
      - .offset:         0
        .size:           4
        .value_kind:     by_value
      - .offset:         8
        .size:           424
        .value_kind:     by_value
    .group_segment_fixed_size: 0
    .kernarg_segment_align: 8
    .kernarg_segment_size: 432
    .language:       OpenCL C
    .language_version:
      - 2
      - 0
    .max_flat_workgroup_size: 128
    .name:           _ZN2at6native32elementwise_kernel_manual_unrollILi128ELi4EZNS0_15gpu_kernel_implIZZZNS0_12prelu_kernelERNS_14TensorIteratorEENKUlvE_clEvENKUlvE1_clEvEUlN3c108BFloat16ES8_E_EEvRNS_18TensorIteratorBaseERKT_EUlibE0_EEviT1_
    .private_segment_fixed_size: 0
    .sgpr_count:     62
    .sgpr_spill_count: 0
    .symbol:         _ZN2at6native32elementwise_kernel_manual_unrollILi128ELi4EZNS0_15gpu_kernel_implIZZZNS0_12prelu_kernelERNS_14TensorIteratorEENKUlvE_clEvENKUlvE1_clEvEUlN3c108BFloat16ES8_E_EEvRNS_18TensorIteratorBaseERKT_EUlibE0_EEviT1_.kd
    .uniform_work_group_size: 1
    .uses_dynamic_stack: false
    .vgpr_count:     26
    .vgpr_spill_count: 0
    .wavefront_size: 32
  - .args:
      - .offset:         0
        .size:           4
        .value_kind:     by_value
      - .offset:         4
        .size:           1
        .value_kind:     by_value
      - .offset:         8
        .size:           24
        .value_kind:     by_value
    .group_segment_fixed_size: 0
    .kernarg_segment_align: 8
    .kernarg_segment_size: 32
    .language:       OpenCL C
    .language_version:
      - 2
      - 0
    .max_flat_workgroup_size: 256
    .name:           _ZN2at6native29vectorized_elementwise_kernelILi16EZZZNS0_12prelu_kernelERNS_14TensorIteratorEENKUlvE_clEvENKUlvE2_clEvEUlN3c104HalfES7_E_St5arrayIPcLm3EEEEviT0_T1_
    .private_segment_fixed_size: 0
    .sgpr_count:     18
    .sgpr_spill_count: 0
    .symbol:         _ZN2at6native29vectorized_elementwise_kernelILi16EZZZNS0_12prelu_kernelERNS_14TensorIteratorEENKUlvE_clEvENKUlvE2_clEvEUlN3c104HalfES7_E_St5arrayIPcLm3EEEEviT0_T1_.kd
    .uniform_work_group_size: 1
    .uses_dynamic_stack: false
    .vgpr_count:     20
    .vgpr_spill_count: 0
    .wavefront_size: 32
  - .args:
      - .offset:         0
        .size:           4
        .value_kind:     by_value
      - .offset:         4
        .size:           1
        .value_kind:     by_value
      - .offset:         8
        .size:           24
        .value_kind:     by_value
    .group_segment_fixed_size: 0
    .kernarg_segment_align: 8
    .kernarg_segment_size: 32
    .language:       OpenCL C
    .language_version:
      - 2
      - 0
    .max_flat_workgroup_size: 256
    .name:           _ZN2at6native29vectorized_elementwise_kernelILi8EZZZNS0_12prelu_kernelERNS_14TensorIteratorEENKUlvE_clEvENKUlvE2_clEvEUlN3c104HalfES7_E_St5arrayIPcLm3EEEEviT0_T1_
    .private_segment_fixed_size: 0
    .sgpr_count:     18
    .sgpr_spill_count: 0
    .symbol:         _ZN2at6native29vectorized_elementwise_kernelILi8EZZZNS0_12prelu_kernelERNS_14TensorIteratorEENKUlvE_clEvENKUlvE2_clEvEUlN3c104HalfES7_E_St5arrayIPcLm3EEEEviT0_T1_.kd
    .uniform_work_group_size: 1
    .uses_dynamic_stack: false
    .vgpr_count:     20
    .vgpr_spill_count: 0
    .wavefront_size: 32
  - .args:
      - .offset:         0
        .size:           4
        .value_kind:     by_value
      - .offset:         4
        .size:           1
        .value_kind:     by_value
      - .offset:         8
        .size:           24
        .value_kind:     by_value
    .group_segment_fixed_size: 0
    .kernarg_segment_align: 8
    .kernarg_segment_size: 32
    .language:       OpenCL C
    .language_version:
      - 2
      - 0
    .max_flat_workgroup_size: 256
    .name:           _ZN2at6native29vectorized_elementwise_kernelILi4EZZZNS0_12prelu_kernelERNS_14TensorIteratorEENKUlvE_clEvENKUlvE2_clEvEUlN3c104HalfES7_E_St5arrayIPcLm3EEEEviT0_T1_
    .private_segment_fixed_size: 0
    .sgpr_count:     18
    .sgpr_spill_count: 0
    .symbol:         _ZN2at6native29vectorized_elementwise_kernelILi4EZZZNS0_12prelu_kernelERNS_14TensorIteratorEENKUlvE_clEvENKUlvE2_clEvEUlN3c104HalfES7_E_St5arrayIPcLm3EEEEviT0_T1_.kd
    .uniform_work_group_size: 1
    .uses_dynamic_stack: false
    .vgpr_count:     20
    .vgpr_spill_count: 0
    .wavefront_size: 32
  - .args:
      - .offset:         0
        .size:           4
        .value_kind:     by_value
      - .offset:         4
        .size:           1
        .value_kind:     by_value
      - .offset:         8
        .size:           24
        .value_kind:     by_value
    .group_segment_fixed_size: 0
    .kernarg_segment_align: 8
    .kernarg_segment_size: 32
    .language:       OpenCL C
    .language_version:
      - 2
      - 0
    .max_flat_workgroup_size: 256
    .name:           _ZN2at6native29vectorized_elementwise_kernelILi2EZZZNS0_12prelu_kernelERNS_14TensorIteratorEENKUlvE_clEvENKUlvE2_clEvEUlN3c104HalfES7_E_St5arrayIPcLm3EEEEviT0_T1_
    .private_segment_fixed_size: 0
    .sgpr_count:     18
    .sgpr_spill_count: 0
    .symbol:         _ZN2at6native29vectorized_elementwise_kernelILi2EZZZNS0_12prelu_kernelERNS_14TensorIteratorEENKUlvE_clEvENKUlvE2_clEvEUlN3c104HalfES7_E_St5arrayIPcLm3EEEEviT0_T1_.kd
    .uniform_work_group_size: 1
    .uses_dynamic_stack: false
    .vgpr_count:     20
    .vgpr_spill_count: 0
    .wavefront_size: 32
  - .args:
      - .offset:         0
        .size:           4
        .value_kind:     by_value
      - .offset:         4
        .size:           1
        .value_kind:     by_value
      - .offset:         8
        .size:           24
        .value_kind:     by_value
      - .offset:         32
        .size:           1
        .value_kind:     by_value
      - .offset:         33
        .size:           1
        .value_kind:     by_value
      - .offset:         34
        .size:           1
        .value_kind:     by_value
      - .offset:         35
        .size:           1
        .value_kind:     by_value
    .group_segment_fixed_size: 0
    .kernarg_segment_align: 8
    .kernarg_segment_size: 36
    .language:       OpenCL C
    .language_version:
      - 2
      - 0
    .max_flat_workgroup_size: 256
    .name:           _ZN2at6native27unrolled_elementwise_kernelIZZZNS0_12prelu_kernelERNS_14TensorIteratorEENKUlvE_clEvENKUlvE2_clEvEUlN3c104HalfES7_E_St5arrayIPcLm3EELi4E23TrivialOffsetCalculatorILi2EjESC_ILi1EjENS0_6memory15LoadWithoutCastENSF_16StoreWithoutCastEEEviT_T0_T2_T3_T4_T5_
    .private_segment_fixed_size: 0
    .sgpr_count:     13
    .sgpr_spill_count: 0
    .symbol:         _ZN2at6native27unrolled_elementwise_kernelIZZZNS0_12prelu_kernelERNS_14TensorIteratorEENKUlvE_clEvENKUlvE2_clEvEUlN3c104HalfES7_E_St5arrayIPcLm3EELi4E23TrivialOffsetCalculatorILi2EjESC_ILi1EjENS0_6memory15LoadWithoutCastENSF_16StoreWithoutCastEEEviT_T0_T2_T3_T4_T5_.kd
    .uniform_work_group_size: 1
    .uses_dynamic_stack: false
    .vgpr_count:     12
    .vgpr_spill_count: 0
    .wavefront_size: 32
  - .args:
      - .offset:         0
        .size:           4
        .value_kind:     by_value
      - .offset:         8
        .size:           424
        .value_kind:     by_value
    .group_segment_fixed_size: 0
    .kernarg_segment_align: 8
    .kernarg_segment_size: 432
    .language:       OpenCL C
    .language_version:
      - 2
      - 0
    .max_flat_workgroup_size: 128
    .name:           _ZN2at6native32elementwise_kernel_manual_unrollILi128ELi8EZNS0_22gpu_kernel_impl_nocastIZZZNS0_12prelu_kernelERNS_14TensorIteratorEENKUlvE_clEvENKUlvE2_clEvEUlN3c104HalfES8_E_EEvRNS_18TensorIteratorBaseERKT_EUlibE_EEviT1_
    .private_segment_fixed_size: 0
    .sgpr_count:     48
    .sgpr_spill_count: 0
    .symbol:         _ZN2at6native32elementwise_kernel_manual_unrollILi128ELi8EZNS0_22gpu_kernel_impl_nocastIZZZNS0_12prelu_kernelERNS_14TensorIteratorEENKUlvE_clEvENKUlvE2_clEvEUlN3c104HalfES8_E_EEvRNS_18TensorIteratorBaseERKT_EUlibE_EEviT1_.kd
    .uniform_work_group_size: 1
    .uses_dynamic_stack: false
    .vgpr_count:     39
    .vgpr_spill_count: 0
    .wavefront_size: 32
  - .args:
      - .offset:         0
        .size:           4
        .value_kind:     by_value
      - .offset:         8
        .size:           40
        .value_kind:     by_value
    .group_segment_fixed_size: 0
    .kernarg_segment_align: 8
    .kernarg_segment_size: 48
    .language:       OpenCL C
    .language_version:
      - 2
      - 0
    .max_flat_workgroup_size: 128
    .name:           _ZN2at6native32elementwise_kernel_manual_unrollILi128ELi4EZNS0_15gpu_kernel_implIZZZNS0_12prelu_kernelERNS_14TensorIteratorEENKUlvE_clEvENKUlvE2_clEvEUlN3c104HalfES8_E_EEvRNS_18TensorIteratorBaseERKT_EUlibE_EEviT1_
    .private_segment_fixed_size: 0
    .sgpr_count:     37
    .sgpr_spill_count: 0
    .symbol:         _ZN2at6native32elementwise_kernel_manual_unrollILi128ELi4EZNS0_15gpu_kernel_implIZZZNS0_12prelu_kernelERNS_14TensorIteratorEENKUlvE_clEvENKUlvE2_clEvEUlN3c104HalfES8_E_EEvRNS_18TensorIteratorBaseERKT_EUlibE_EEviT1_.kd
    .uniform_work_group_size: 1
    .uses_dynamic_stack: false
    .vgpr_count:     18
    .vgpr_spill_count: 0
    .wavefront_size: 32
  - .args:
      - .offset:         0
        .size:           4
        .value_kind:     by_value
      - .offset:         8
        .size:           424
        .value_kind:     by_value
    .group_segment_fixed_size: 0
    .kernarg_segment_align: 8
    .kernarg_segment_size: 432
    .language:       OpenCL C
    .language_version:
      - 2
      - 0
    .max_flat_workgroup_size: 128
    .name:           _ZN2at6native32elementwise_kernel_manual_unrollILi128ELi4EZNS0_15gpu_kernel_implIZZZNS0_12prelu_kernelERNS_14TensorIteratorEENKUlvE_clEvENKUlvE2_clEvEUlN3c104HalfES8_E_EEvRNS_18TensorIteratorBaseERKT_EUlibE0_EEviT1_
    .private_segment_fixed_size: 0
    .sgpr_count:     62
    .sgpr_spill_count: 0
    .symbol:         _ZN2at6native32elementwise_kernel_manual_unrollILi128ELi4EZNS0_15gpu_kernel_implIZZZNS0_12prelu_kernelERNS_14TensorIteratorEENKUlvE_clEvENKUlvE2_clEvEUlN3c104HalfES8_E_EEvRNS_18TensorIteratorBaseERKT_EUlibE0_EEviT1_.kd
    .uniform_work_group_size: 1
    .uses_dynamic_stack: false
    .vgpr_count:     26
    .vgpr_spill_count: 0
    .wavefront_size: 32
  - .args:
      - .offset:         0
        .size:           4
        .value_kind:     by_value
      - .offset:         4
        .size:           1
        .value_kind:     by_value
      - .offset:         8
        .size:           40
        .value_kind:     by_value
      - .offset:         48
        .size:           1
        .value_kind:     by_value
      - .offset:         49
        .size:           1
        .value_kind:     by_value
    .group_segment_fixed_size: 0
    .kernarg_segment_align: 8
    .kernarg_segment_size: 52
    .language:       OpenCL C
    .language_version:
      - 2
      - 0
    .max_flat_workgroup_size: 256
    .name:           _ZN2at6native12_GLOBAL__N_145unrolled_elementwise_kernel_for_multi_outputsILi2EZZZNS0_21prelu_backward_kernelERNS_14TensorIteratorEENKUlvE_clEvENKUlvE_clEvEUldddE_St5arrayIPcLm5EE23TrivialOffsetCalculatorILi3EjESB_ILi2EjEEEviT0_T1_T2_T3_
    .private_segment_fixed_size: 0
    .sgpr_count:     19
    .sgpr_spill_count: 0
    .symbol:         _ZN2at6native12_GLOBAL__N_145unrolled_elementwise_kernel_for_multi_outputsILi2EZZZNS0_21prelu_backward_kernelERNS_14TensorIteratorEENKUlvE_clEvENKUlvE_clEvEUldddE_St5arrayIPcLm5EE23TrivialOffsetCalculatorILi3EjESB_ILi2EjEEEviT0_T1_T2_T3_.kd
    .uniform_work_group_size: 1
    .uses_dynamic_stack: false
    .vgpr_count:     32
    .vgpr_spill_count: 0
    .wavefront_size: 32
  - .args:
      - .offset:         0
        .size:           4
        .value_kind:     by_value
      - .offset:         4
        .size:           1
        .value_kind:     by_value
      - .offset:         8
        .size:           40
        .value_kind:     by_value
      - .offset:         48
        .size:           388
        .value_kind:     by_value
      - .offset:         436
        .size:           324
        .value_kind:     by_value
    .group_segment_fixed_size: 0
    .kernarg_segment_align: 8
    .kernarg_segment_size: 760
    .language:       OpenCL C
    .language_version:
      - 2
      - 0
    .max_flat_workgroup_size: 256
    .name:           _ZN2at6native12_GLOBAL__N_145unrolled_elementwise_kernel_for_multi_outputsILi2EZZZNS0_21prelu_backward_kernelERNS_14TensorIteratorEENKUlvE_clEvENKUlvE_clEvEUldddE_St5arrayIPcLm5EE16OffsetCalculatorILi3EjLb0EESB_ILi2EjLb0EEEEviT0_T1_T2_T3_
    .private_segment_fixed_size: 768
    .sgpr_count:     78
    .sgpr_spill_count: 0
    .symbol:         _ZN2at6native12_GLOBAL__N_145unrolled_elementwise_kernel_for_multi_outputsILi2EZZZNS0_21prelu_backward_kernelERNS_14TensorIteratorEENKUlvE_clEvENKUlvE_clEvEUldddE_St5arrayIPcLm5EE16OffsetCalculatorILi3EjLb0EESB_ILi2EjLb0EEEEviT0_T1_T2_T3_.kd
    .uniform_work_group_size: 1
    .uses_dynamic_stack: false
    .vgpr_count:     66
    .vgpr_spill_count: 0
    .wavefront_size: 32
  - .args:
      - .offset:         0
        .size:           4
        .value_kind:     by_value
      - .offset:         4
        .size:           1
        .value_kind:     by_value
      - .offset:         8
        .size:           40
        .value_kind:     by_value
      - .offset:         48
        .size:           1
        .value_kind:     by_value
      - .offset:         49
        .size:           1
        .value_kind:     by_value
    .group_segment_fixed_size: 0
    .kernarg_segment_align: 8
    .kernarg_segment_size: 52
    .language:       OpenCL C
    .language_version:
      - 2
      - 0
    .max_flat_workgroup_size: 256
    .name:           _ZN2at6native12_GLOBAL__N_145unrolled_elementwise_kernel_for_multi_outputsILi2EZZZNS0_21prelu_backward_kernelERNS_14TensorIteratorEENKUlvE_clEvENKUlvE0_clEvEUlfffE_St5arrayIPcLm5EE23TrivialOffsetCalculatorILi3EjESB_ILi2EjEEEviT0_T1_T2_T3_
    .private_segment_fixed_size: 0
    .sgpr_count:     19
    .sgpr_spill_count: 0
    .symbol:         _ZN2at6native12_GLOBAL__N_145unrolled_elementwise_kernel_for_multi_outputsILi2EZZZNS0_21prelu_backward_kernelERNS_14TensorIteratorEENKUlvE_clEvENKUlvE0_clEvEUlfffE_St5arrayIPcLm5EE23TrivialOffsetCalculatorILi3EjESB_ILi2EjEEEviT0_T1_T2_T3_.kd
    .uniform_work_group_size: 1
    .uses_dynamic_stack: false
    .vgpr_count:     16
    .vgpr_spill_count: 0
    .wavefront_size: 32
  - .args:
      - .offset:         0
        .size:           4
        .value_kind:     by_value
      - .offset:         4
        .size:           1
        .value_kind:     by_value
      - .offset:         8
        .size:           40
        .value_kind:     by_value
      - .offset:         48
        .size:           388
        .value_kind:     by_value
      - .offset:         436
        .size:           324
        .value_kind:     by_value
    .group_segment_fixed_size: 0
    .kernarg_segment_align: 8
    .kernarg_segment_size: 760
    .language:       OpenCL C
    .language_version:
      - 2
      - 0
    .max_flat_workgroup_size: 256
    .name:           _ZN2at6native12_GLOBAL__N_145unrolled_elementwise_kernel_for_multi_outputsILi2EZZZNS0_21prelu_backward_kernelERNS_14TensorIteratorEENKUlvE_clEvENKUlvE0_clEvEUlfffE_St5arrayIPcLm5EE16OffsetCalculatorILi3EjLb0EESB_ILi2EjLb0EEEEviT0_T1_T2_T3_
    .private_segment_fixed_size: 768
    .sgpr_count:     86
    .sgpr_spill_count: 0
    .symbol:         _ZN2at6native12_GLOBAL__N_145unrolled_elementwise_kernel_for_multi_outputsILi2EZZZNS0_21prelu_backward_kernelERNS_14TensorIteratorEENKUlvE_clEvENKUlvE0_clEvEUlfffE_St5arrayIPcLm5EE16OffsetCalculatorILi3EjLb0EESB_ILi2EjLb0EEEEviT0_T1_T2_T3_.kd
    .uniform_work_group_size: 1
    .uses_dynamic_stack: false
    .vgpr_count:     56
    .vgpr_spill_count: 0
    .wavefront_size: 32
  - .args:
      - .offset:         0
        .size:           4
        .value_kind:     by_value
      - .offset:         4
        .size:           1
        .value_kind:     by_value
      - .offset:         8
        .size:           40
        .value_kind:     by_value
      - .offset:         48
        .size:           1
        .value_kind:     by_value
      - .offset:         49
        .size:           1
        .value_kind:     by_value
    .group_segment_fixed_size: 0
    .kernarg_segment_align: 8
    .kernarg_segment_size: 52
    .language:       OpenCL C
    .language_version:
      - 2
      - 0
    .max_flat_workgroup_size: 256
    .name:           _ZN2at6native12_GLOBAL__N_145unrolled_elementwise_kernel_for_multi_outputsILi2EZZZNS0_21prelu_backward_kernelERNS_14TensorIteratorEENKUlvE_clEvENKUlvE1_clEvEUlN3c108BFloat16ES8_S8_E_St5arrayIPcLm5EE23TrivialOffsetCalculatorILi3EjESD_ILi2EjEEEviT0_T1_T2_T3_
    .private_segment_fixed_size: 0
    .sgpr_count:     19
    .sgpr_spill_count: 0
    .symbol:         _ZN2at6native12_GLOBAL__N_145unrolled_elementwise_kernel_for_multi_outputsILi2EZZZNS0_21prelu_backward_kernelERNS_14TensorIteratorEENKUlvE_clEvENKUlvE1_clEvEUlN3c108BFloat16ES8_S8_E_St5arrayIPcLm5EE23TrivialOffsetCalculatorILi3EjESD_ILi2EjEEEviT0_T1_T2_T3_.kd
    .uniform_work_group_size: 1
    .uses_dynamic_stack: false
    .vgpr_count:     17
    .vgpr_spill_count: 0
    .wavefront_size: 32
  - .args:
      - .offset:         0
        .size:           4
        .value_kind:     by_value
      - .offset:         4
        .size:           1
        .value_kind:     by_value
      - .offset:         8
        .size:           40
        .value_kind:     by_value
      - .offset:         48
        .size:           388
        .value_kind:     by_value
      - .offset:         436
        .size:           324
        .value_kind:     by_value
    .group_segment_fixed_size: 0
    .kernarg_segment_align: 8
    .kernarg_segment_size: 760
    .language:       OpenCL C
    .language_version:
      - 2
      - 0
    .max_flat_workgroup_size: 256
    .name:           _ZN2at6native12_GLOBAL__N_145unrolled_elementwise_kernel_for_multi_outputsILi2EZZZNS0_21prelu_backward_kernelERNS_14TensorIteratorEENKUlvE_clEvENKUlvE1_clEvEUlN3c108BFloat16ES8_S8_E_St5arrayIPcLm5EE16OffsetCalculatorILi3EjLb0EESD_ILi2EjLb0EEEEviT0_T1_T2_T3_
    .private_segment_fixed_size: 768
    .sgpr_count:     78
    .sgpr_spill_count: 0
    .symbol:         _ZN2at6native12_GLOBAL__N_145unrolled_elementwise_kernel_for_multi_outputsILi2EZZZNS0_21prelu_backward_kernelERNS_14TensorIteratorEENKUlvE_clEvENKUlvE1_clEvEUlN3c108BFloat16ES8_S8_E_St5arrayIPcLm5EE16OffsetCalculatorILi3EjLb0EESD_ILi2EjLb0EEEEviT0_T1_T2_T3_.kd
    .uniform_work_group_size: 1
    .uses_dynamic_stack: false
    .vgpr_count:     52
    .vgpr_spill_count: 0
    .wavefront_size: 32
  - .args:
      - .offset:         0
        .size:           4
        .value_kind:     by_value
      - .offset:         4
        .size:           1
        .value_kind:     by_value
      - .offset:         8
        .size:           40
        .value_kind:     by_value
      - .offset:         48
        .size:           1
        .value_kind:     by_value
      - .offset:         49
        .size:           1
        .value_kind:     by_value
    .group_segment_fixed_size: 0
    .kernarg_segment_align: 8
    .kernarg_segment_size: 52
    .language:       OpenCL C
    .language_version:
      - 2
      - 0
    .max_flat_workgroup_size: 256
    .name:           _ZN2at6native12_GLOBAL__N_145unrolled_elementwise_kernel_for_multi_outputsILi2EZZZNS0_21prelu_backward_kernelERNS_14TensorIteratorEENKUlvE_clEvENKUlvE2_clEvEUlN3c104HalfES8_S8_E_St5arrayIPcLm5EE23TrivialOffsetCalculatorILi3EjESD_ILi2EjEEEviT0_T1_T2_T3_
    .private_segment_fixed_size: 0
    .sgpr_count:     19
    .sgpr_spill_count: 0
    .symbol:         _ZN2at6native12_GLOBAL__N_145unrolled_elementwise_kernel_for_multi_outputsILi2EZZZNS0_21prelu_backward_kernelERNS_14TensorIteratorEENKUlvE_clEvENKUlvE2_clEvEUlN3c104HalfES8_S8_E_St5arrayIPcLm5EE23TrivialOffsetCalculatorILi3EjESD_ILi2EjEEEviT0_T1_T2_T3_.kd
    .uniform_work_group_size: 1
    .uses_dynamic_stack: false
    .vgpr_count:     17
    .vgpr_spill_count: 0
    .wavefront_size: 32
  - .args:
      - .offset:         0
        .size:           4
        .value_kind:     by_value
      - .offset:         4
        .size:           1
        .value_kind:     by_value
      - .offset:         8
        .size:           40
        .value_kind:     by_value
      - .offset:         48
        .size:           388
        .value_kind:     by_value
      - .offset:         436
        .size:           324
        .value_kind:     by_value
    .group_segment_fixed_size: 0
    .kernarg_segment_align: 8
    .kernarg_segment_size: 760
    .language:       OpenCL C
    .language_version:
      - 2
      - 0
    .max_flat_workgroup_size: 256
    .name:           _ZN2at6native12_GLOBAL__N_145unrolled_elementwise_kernel_for_multi_outputsILi2EZZZNS0_21prelu_backward_kernelERNS_14TensorIteratorEENKUlvE_clEvENKUlvE2_clEvEUlN3c104HalfES8_S8_E_St5arrayIPcLm5EE16OffsetCalculatorILi3EjLb0EESD_ILi2EjLb0EEEEviT0_T1_T2_T3_
    .private_segment_fixed_size: 768
    .sgpr_count:     78
    .sgpr_spill_count: 0
    .symbol:         _ZN2at6native12_GLOBAL__N_145unrolled_elementwise_kernel_for_multi_outputsILi2EZZZNS0_21prelu_backward_kernelERNS_14TensorIteratorEENKUlvE_clEvENKUlvE2_clEvEUlN3c104HalfES8_S8_E_St5arrayIPcLm5EE16OffsetCalculatorILi3EjLb0EESD_ILi2EjLb0EEEEviT0_T1_T2_T3_.kd
    .uniform_work_group_size: 1
    .uses_dynamic_stack: false
    .vgpr_count:     54
    .vgpr_spill_count: 0
    .wavefront_size: 32
amdhsa.target:   amdgcn-amd-amdhsa--gfx1250
amdhsa.version:
  - 1
  - 2
...

	.end_amdgpu_metadata
